;; amdgpu-corpus repo=ROCm/rocBLAS kind=compiled arch=gfx1030 opt=O3
	.amdgcn_target "amdgcn-amd-amdhsa--gfx1030"
	.amdhsa_code_object_version 6
	.section	.text._ZL26rocblas_hemvn_kernel_upperILb1ELi64ELi4ELi33ELi32ELi16ElPK19rocblas_complex_numIfES3_PS1_EviT6_lT7_lT5_lS6_lS7_lS5_lT8_i,"axG",@progbits,_ZL26rocblas_hemvn_kernel_upperILb1ELi64ELi4ELi33ELi32ELi16ElPK19rocblas_complex_numIfES3_PS1_EviT6_lT7_lT5_lS6_lS7_lS5_lT8_i,comdat
	.globl	_ZL26rocblas_hemvn_kernel_upperILb1ELi64ELi4ELi33ELi32ELi16ElPK19rocblas_complex_numIfES3_PS1_EviT6_lT7_lT5_lS6_lS7_lS5_lT8_i ; -- Begin function _ZL26rocblas_hemvn_kernel_upperILb1ELi64ELi4ELi33ELi32ELi16ElPK19rocblas_complex_numIfES3_PS1_EviT6_lT7_lT5_lS6_lS7_lS5_lT8_i
	.p2align	8
	.type	_ZL26rocblas_hemvn_kernel_upperILb1ELi64ELi4ELi33ELi32ELi16ElPK19rocblas_complex_numIfES3_PS1_EviT6_lT7_lT5_lS6_lS7_lS5_lT8_i,@function
_ZL26rocblas_hemvn_kernel_upperILb1ELi64ELi4ELi33ELi32ELi16ElPK19rocblas_complex_numIfES3_PS1_EviT6_lT7_lT5_lS6_lS7_lS5_lT8_i: ; @_ZL26rocblas_hemvn_kernel_upperILb1ELi64ELi4ELi33ELi32ELi16ElPK19rocblas_complex_numIfES3_PS1_EviT6_lT7_lT5_lS6_lS7_lS5_lT8_i
; %bb.0:
	s_load_dwordx2 s[2:3], s[4:5], 0x84
	s_add_u32 s0, s4, 0x78
	s_addc_u32 s1, s5, 0
	s_waitcnt lgkmcnt(0)
	s_lshr_b32 s8, s2, 16
	s_and_b32 s2, s2, 0xffff
	s_and_b32 s3, s3, 0xffff
	s_mul_i32 s2, s8, s2
	s_mul_i32 s2, s2, s3
	s_cmpk_lg_i32 s2, 0x100
	s_cbranch_scc1 .LBB0_202
; %bb.1:
	s_load_dwordx16 s[8:23], s[4:5], 0x8
	s_waitcnt lgkmcnt(0)
	s_mul_i32 s2, s11, s7
	s_mul_hi_u32 s3, s10, s7
	s_add_i32 s3, s3, s2
	s_mul_i32 s2, s10, s7
	s_lshl_b64 s[2:3], s[2:3], 3
	s_add_u32 s2, s8, s2
	s_addc_u32 s3, s9, s3
	s_load_dwordx2 s[2:3], s[2:3], 0x0
	s_clause 0x1
	s_load_dwordx2 s[34:35], s[4:5], 0x68
	s_load_dwordx8 s[24:31], s[4:5], 0x48
	s_waitcnt lgkmcnt(0)
	s_or_b32 s2, s2, s3
	s_mov_b32 s3, -1
	s_bitset0_b32 s2, 31
	s_cmp_lg_u32 s2, 0
	s_cselect_b32 s2, -1, 0
	s_and_b32 vcc_lo, exec_lo, s2
	s_cbranch_vccnz .LBB0_3
; %bb.2:
	s_mul_i32 s3, s31, s7
	s_mul_hi_u32 s9, s30, s7
	s_mul_i32 s8, s30, s7
	s_add_i32 s9, s9, s3
	s_lshl_b64 s[8:9], s[8:9], 3
	s_add_u32 s8, s28, s8
	s_addc_u32 s9, s29, s9
	s_load_dwordx2 s[8:9], s[8:9], 0x0
	s_waitcnt lgkmcnt(0)
	v_cmp_neq_f32_e64 s3, s8, 1.0
	v_cmp_neq_f32_e64 s8, s9, 0
	s_or_b32 s3, s3, s8
.LBB0_3:
	s_andn2_b32 vcc_lo, exec_lo, s3
	s_cbranch_vccnz .LBB0_202
; %bb.4:
	s_andn2_b32 vcc_lo, exec_lo, s2
	s_cbranch_vccnz .LBB0_202
; %bb.5:
	s_mul_i32 s3, s27, s7
	s_mul_hi_u32 s8, s26, s7
	s_mul_i32 s2, s26, s7
	s_add_i32 s3, s8, s3
	s_lshl_b64 s[2:3], s[2:3], 3
	s_add_u32 s8, s20, s2
	s_addc_u32 s9, s21, s3
	s_lshl_b64 s[2:3], s[22:23], 3
	s_load_dword s23, s[4:5], 0x0
	s_add_u32 s2, s8, s2
	s_addc_u32 s3, s9, s3
	s_lshl_b32 s20, s6, 6
	s_load_dword s9, s[0:1], 0x0
	v_add_nc_u32_e32 v58, s20, v0
	v_ashrrev_i32_e32 v59, 31, v58
	v_mul_lo_u32 v4, s25, v58
	v_mad_u64_u32 v[2:3], null, s24, v58, 0
	v_mul_lo_u32 v5, s24, v59
	s_waitcnt lgkmcnt(0)
	s_ashr_i32 s26, s23, 31
	s_lshr_b32 s0, s26, 26
	v_add3_u32 v3, v3, v5, v4
	s_add_i32 s0, s23, s0
	s_add_i32 s1, s9, -1
	s_andn2_b32 s0, s0, 63
	v_lshlrev_b64 v[2:3], 3, v[2:3]
	s_sub_i32 s22, s23, s0
	v_cmp_eq_u32_e64 s0, 0, v1
	s_cmp_eq_u32 s6, s1
	s_cselect_b32 s10, s22, 0
	v_add_co_u32 v16, vcc_lo, s2, v2
	v_add_co_ci_u32_e64 v17, null, s3, v3, vcc_lo
	s_mov_b32 s3, -1
	s_and_saveexec_b32 s1, s0
	s_cbranch_execz .LBB0_10
; %bb.6:
	v_cmp_le_i32_e32 vcc_lo, s10, v0
	s_cmp_lg_u32 s10, 0
	v_lshl_add_u32 v2, v0, 3, 0x2380
	s_cselect_b32 s2, -1, 0
	s_and_b32 s2, s2, vcc_lo
	s_and_saveexec_b32 s4, s2
	s_xor_b32 s2, exec_lo, s4
; %bb.7:
	v_mov_b32_e32 v3, 0
	v_mov_b32_e32 v4, v3
	ds_write_b64 v2, v[3:4]
                                        ; implicit-def: $vgpr2
; %bb.8:
	s_andn2_saveexec_b32 s2, s2
	s_cbranch_execz .LBB0_10
; %bb.9:
	global_load_dwordx2 v[3:4], v[16:17], off
	s_waitcnt vmcnt(0)
	ds_write_b64 v2, v[3:4]
.LBB0_10:
	s_or_b32 exec_lo, exec_lo, s1
	v_lshl_add_u32 v24, v1, 6, v0
	v_and_b32_e32 v2, 31, v0
	v_mov_b32_e32 v3, 0
	s_mul_i32 s1, s19, s7
	s_mul_hi_u32 s2, s18, s7
	v_lshrrev_b32_e32 v9, 5, v24
	s_mul_i32 s4, s18, s7
	s_add_i32 s5, s2, s1
	s_mul_hi_u32 s2, s16, s20
	s_lshl_b64 s[4:5], s[4:5], 3
	v_mad_u64_u32 v[3:4], null, s16, v9, v[2:3]
	s_add_u32 s1, s12, s4
	s_addc_u32 s11, s13, s5
	s_lshl_b64 s[4:5], s[14:15], 3
	s_mul_i32 s8, s17, s20
	s_add_u32 s13, s1, s4
	s_addc_u32 s11, s11, s5
	v_mad_u64_u32 v[4:5], null, s17, v9, v[4:5]
	s_ashr_i32 s21, s20, 31
	s_mul_i32 s12, s16, s20
	s_lshl_b64 s[4:5], s[20:21], 3
	s_mul_i32 s14, s16, s21
	s_add_u32 s18, s13, s4
	s_addc_u32 s11, s11, s5
	v_lshlrev_b64 v[14:15], 3, v[3:4]
	s_add_i32 s2, s2, s14
	v_cmp_gt_i32_e64 s1, s10, v2
	s_add_i32 s13, s2, s8
	v_lshlrev_b32_e32 v10, 3, v2
	s_lshl_b64 s[4:5], s[12:13], 3
	v_add_co_u32 v3, vcc_lo, s18, v14
	v_add_co_ci_u32_e64 v4, null, s11, v15, vcc_lo
	s_cmp_eq_u32 s10, 0
	v_add_co_u32 v5, s2, v3, s4
	s_cselect_b32 s14, -1, 0
	s_cmp_lg_u32 s10, 0
	v_lshlrev_b32_e32 v11, 3, v2
	v_add_co_ci_u32_e64 v6, null, s5, v4, s2
	v_mul_u32_u24_e32 v12, 0x108, v9
	s_cselect_b32 s15, -1, 0
                                        ; implicit-def: $vgpr3_vgpr4
	s_and_b32 vcc_lo, exec_lo, s15
	s_cbranch_vccz .LBB0_28
; %bb.11:
	v_sub_co_u32 v3, vcc_lo, v5, v10
	s_ashr_i32 s11, s10, 31
	v_subrev_co_ci_u32_e64 v4, null, 0, v6, vcc_lo
	s_lshl_b64 s[2:3], s[10:11], 3
	v_add_nc_u32_e32 v7, v11, v12
	v_add_co_u32 v3, vcc_lo, v3, s2
	v_add_co_ci_u32_e64 v4, null, s3, v4, vcc_lo
	s_mov_b32 s4, exec_lo
	v_add_co_u32 v3, vcc_lo, v3, -8
	v_add_co_ci_u32_e64 v4, null, -1, v4, vcc_lo
	v_cndmask_b32_e64 v3, v3, v5, s1
	v_cndmask_b32_e64 v4, v4, v6, s1
	v_cmpx_le_i32_e64 s10, v9
	s_xor_b32 s4, exec_lo, s4
; %bb.12:
	v_mov_b32_e32 v18, 0
	v_mov_b32_e32 v19, v18
	ds_write_b64 v7, v[18:19]
; %bb.13:
	s_andn2_saveexec_b32 s4, s4
	s_cbranch_execz .LBB0_15
; %bb.14:
	global_load_dwordx2 v[18:19], v[3:4], off
	s_waitcnt vmcnt(0)
	ds_write_b64 v7, v[18:19]
.LBB0_15:
	s_or_b32 exec_lo, exec_lo, s4
	v_add_nc_u32_e32 v8, 8, v9
	s_mov_b32 s4, exec_lo
	v_cmpx_le_i32_e64 s10, v8
	s_xor_b32 s4, exec_lo, s4
; %bb.16:
	v_mov_b32_e32 v18, 0
	v_mov_b32_e32 v19, v18
	ds_write_b64 v7, v[18:19] offset:2112
; %bb.17:
	s_andn2_saveexec_b32 s4, s4
	s_cbranch_execz .LBB0_19
; %bb.18:
	s_lshl_b64 s[12:13], s[16:17], 6
	v_add_co_u32 v18, vcc_lo, v3, s12
	v_add_co_ci_u32_e64 v19, null, s13, v4, vcc_lo
	global_load_dwordx2 v[18:19], v[18:19], off
	s_waitcnt vmcnt(0)
	ds_write_b64 v7, v[18:19] offset:2112
.LBB0_19:
	s_or_b32 exec_lo, exec_lo, s4
	v_add_nc_u32_e32 v8, 16, v9
	s_mov_b32 s4, exec_lo
	v_cmpx_le_i32_e64 s10, v8
	s_xor_b32 s4, exec_lo, s4
; %bb.20:
	v_mov_b32_e32 v18, 0
	v_mov_b32_e32 v19, v18
	ds_write_b64 v7, v[18:19] offset:4224
; %bb.21:
	s_andn2_saveexec_b32 s4, s4
	s_cbranch_execz .LBB0_23
; %bb.22:
	s_lshl_b64 s[12:13], s[16:17], 7
	v_add_co_u32 v18, vcc_lo, v3, s12
	v_add_co_ci_u32_e64 v19, null, s13, v4, vcc_lo
	global_load_dwordx2 v[18:19], v[18:19], off
	s_waitcnt vmcnt(0)
	ds_write_b64 v7, v[18:19] offset:4224
.LBB0_23:
	s_or_b32 exec_lo, exec_lo, s4
	v_add_nc_u32_e32 v8, 24, v9
	s_mov_b32 s4, exec_lo
	v_cmpx_le_i32_e64 s10, v8
	s_xor_b32 s4, exec_lo, s4
; %bb.24:
	v_mov_b32_e32 v18, 0
	v_mov_b32_e32 v19, v18
	ds_write_b64 v7, v[18:19] offset:6336
                                        ; implicit-def: $vgpr7
; %bb.25:
	s_andn2_saveexec_b32 s4, s4
	s_cbranch_execz .LBB0_27
; %bb.26:
	v_mad_u64_u32 v[18:19], null, 0xc0, s16, v[3:4]
	v_mov_b32_e32 v8, v19
	v_mad_u64_u32 v[19:20], null, 0xc0, s17, v[8:9]
	global_load_dwordx2 v[18:19], v[18:19], off
	s_waitcnt vmcnt(0)
	ds_write_b64 v7, v[18:19] offset:6336
.LBB0_27:
	s_or_b32 exec_lo, exec_lo, s4
	v_add_co_u32 v3, vcc_lo, v3, v10
	v_add_co_ci_u32_e64 v4, null, 0, v4, vcc_lo
	v_sub_co_u32 v3, vcc_lo, v3, s2
	v_subrev_co_ci_u32_e64 v4, null, s3, v4, vcc_lo
	s_mov_b32 s3, 0
	v_add_co_u32 v3, vcc_lo, v3, 8
	v_add_co_ci_u32_e64 v4, null, 0, v4, vcc_lo
	v_cndmask_b32_e64 v3, v3, v5, s1
	v_cndmask_b32_e64 v4, v4, v6, s1
.LBB0_28:
	s_and_b32 vcc_lo, exec_lo, s3
	s_cbranch_vccz .LBB0_30
; %bb.29:
	s_lshl_b64 s[2:3], s[16:17], 6
	v_lshl_add_u32 v13, v2, 3, v12
	v_add_co_u32 v3, vcc_lo, v5, s2
	v_add_co_ci_u32_e64 v4, null, s3, v6, vcc_lo
	v_add_co_u32 v7, vcc_lo, v3, s2
	v_add_co_ci_u32_e64 v8, null, s3, v4, vcc_lo
	;; [unrolled: 2-line block ×3, first 2 shown]
	s_clause 0x3
	global_load_dwordx2 v[20:21], v[5:6], off
	global_load_dwordx2 v[22:23], v[3:4], off
	;; [unrolled: 1-line block ×4, first 2 shown]
	v_mov_b32_e32 v3, v5
	v_mov_b32_e32 v4, v6
	s_waitcnt vmcnt(3)
	ds_write_b64 v13, v[20:21]
	s_waitcnt vmcnt(2)
	ds_write_b64 v13, v[22:23] offset:2112
	s_waitcnt vmcnt(1)
	ds_write_b64 v13, v[7:8] offset:4224
	;; [unrolled: 2-line block ×3, first 2 shown]
.LBB0_30:
	v_lshlrev_b32_e32 v18, 2, v9
	v_mul_u32_u24_e32 v13, 0x108, v2
	s_mov_b32 s1, 0
	s_waitcnt lgkmcnt(0)
	s_barrier
	v_cmp_le_u32_e64 s2, v18, v2
	buffer_gl0_inv
                                        ; implicit-def: $vgpr6
	s_and_saveexec_b32 s3, s2
	s_xor_b32 s3, exec_lo, s3
	s_cbranch_execz .LBB0_34
; %bb.31:
	s_mov_b32 s4, exec_lo
                                        ; implicit-def: $vgpr6
	v_cmpx_eq_u32_e64 v18, v2
	s_xor_b32 s4, exec_lo, s4
; %bb.32:
	s_mov_b32 s1, exec_lo
	v_add_nc_u32_e32 v6, v11, v13
; %bb.33:
	s_or_b32 exec_lo, exec_lo, s4
	s_and_b32 s1, s1, exec_lo
.LBB0_34:
	s_or_saveexec_b32 s3, s3
	v_lshl_or_b32 v7, v2, 8, v11
	v_mov_b32_e32 v8, 0
	v_mad_u32_u24 v5, 0x420, v9, v11
	v_lshl_add_u32 v7, v18, 3, v7
	s_xor_b32 exec_lo, exec_lo, s3
	s_cbranch_execz .LBB0_36
; %bb.35:
	ds_read_b64 v[19:20], v5
	v_mov_b32_e32 v6, v7
	s_or_b32 s1, s1, exec_lo
	s_waitcnt lgkmcnt(0)
	v_xor_b32_e32 v8, 0x80000000, v20
	ds_write_b32 v7, v19
.LBB0_36:
	s_or_b32 exec_lo, exec_lo, s3
	s_and_saveexec_b32 s3, s1
; %bb.37:
	ds_write_b32 v6, v8 offset:4
; %bb.38:
	s_or_b32 exec_lo, exec_lo, s3
	v_or_b32_e32 v19, 1, v18
	v_cmp_ge_u32_e64 s3, v18, v2
	s_mov_b32 s1, 0
                                        ; implicit-def: $vgpr20
                                        ; implicit-def: $vgpr8
	v_mad_u32_u24 v6, 0x108, v19, v11
	s_and_saveexec_b32 s4, s3
	s_xor_b32 s4, exec_lo, s4
	s_cbranch_execnz .LBB0_70
; %bb.39:
	s_andn2_saveexec_b32 s4, s4
	s_cbranch_execnz .LBB0_71
.LBB0_40:
	s_or_b32 exec_lo, exec_lo, s4
	s_and_saveexec_b32 s4, s1
.LBB0_41:
	ds_write_b32 v8, v20 offset:4
.LBB0_42:
	s_or_b32 exec_lo, exec_lo, s4
	v_or_b32_e32 v21, 2, v18
	s_mov_b32 s1, 0
                                        ; implicit-def: $vgpr8
	v_cmp_le_u32_e64 s4, v21, v2
	s_and_saveexec_b32 s5, s4
	s_xor_b32 s5, exec_lo, s5
	s_cbranch_execnz .LBB0_74
; %bb.43:
	s_or_saveexec_b32 s5, s5
	v_mov_b32_e32 v20, 0
	s_xor_b32 exec_lo, exec_lo, s5
	s_cbranch_execnz .LBB0_77
.LBB0_44:
	s_or_b32 exec_lo, exec_lo, s5
	s_and_saveexec_b32 s5, s1
.LBB0_45:
	ds_write_b32 v8, v20 offset:4
.LBB0_46:
	s_or_b32 exec_lo, exec_lo, s5
	v_or_b32_e32 v22, 3, v18
	s_mov_b32 s1, 0
                                        ; implicit-def: $vgpr8
	v_cmp_le_u32_e64 s5, v22, v2
	s_and_saveexec_b32 s8, s5
	s_xor_b32 s8, exec_lo, s8
	s_cbranch_execnz .LBB0_78
; %bb.47:
	s_or_saveexec_b32 s8, s8
	v_mov_b32_e32 v20, 0
	s_xor_b32 exec_lo, exec_lo, s8
	s_cbranch_execnz .LBB0_81
.LBB0_48:
	s_or_b32 exec_lo, exec_lo, s8
	s_and_saveexec_b32 s8, s1
.LBB0_49:
	ds_write_b32 v8, v20 offset:4
.LBB0_50:
	s_or_b32 exec_lo, exec_lo, s8
	v_lshlrev_b32_e32 v27, 3, v18
	s_waitcnt lgkmcnt(0)
	s_barrier
	buffer_gl0_inv
	ds_read_b64 v[7:8], v5
	ds_read_b128 v[28:31], v27 offset:9088
	ds_read2_b64 v[32:35], v6 offset1:33
	ds_read_b128 v[36:39], v27 offset:9104
	ds_read_b64 v[5:6], v6 offset:528
	v_mul_u32_u24_e32 v20, 33, v2
	v_mov_b32_e32 v60, 0
	v_cmp_gt_u32_e64 s1, 32, v24
	v_mov_b32_e32 v61, 0
	s_waitcnt lgkmcnt(0)
	s_barrier
	buffer_gl0_inv
	v_mul_f32_e32 v23, v29, v8
	v_mul_f32_e32 v8, v28, v8
	v_mul_f32_e32 v25, v31, v33
	v_mul_f32_e32 v26, v30, v33
	v_mul_f32_e32 v33, v37, v35
	v_fma_f32 v23, v28, v7, -v23
	v_fmac_f32_e32 v8, v29, v7
	v_mul_f32_e32 v35, v36, v35
	v_fma_f32 v25, v30, v32, -v25
	v_fmac_f32_e32 v26, v31, v32
	v_add_f32_e32 v23, 0, v23
	v_add_f32_e32 v8, 0, v8
	v_mul_f32_e32 v7, v39, v6
	v_mul_f32_e32 v6, v38, v6
	v_fma_f32 v28, v36, v34, -v33
	v_fmac_f32_e32 v35, v37, v34
	v_add_f32_e32 v23, v23, v25
	v_add_f32_e32 v8, v8, v26
	v_lshlrev_b32_e32 v25, 3, v20
	v_fma_f32 v7, v38, v5, -v7
	v_fmac_f32_e32 v6, v39, v5
	v_add_f32_e32 v5, v23, v28
	v_add_f32_e32 v8, v8, v35
	v_lshl_add_u32 v26, v9, 3, v25
	v_add_f32_e32 v5, v5, v7
	v_add_f32_e32 v6, v8, v6
	ds_write_b64 v26, v[5:6]
	s_waitcnt lgkmcnt(0)
	s_barrier
	buffer_gl0_inv
	s_and_saveexec_b32 s8, s1
	s_cbranch_execz .LBB0_52
; %bb.51:
	ds_read2_b64 v[5:8], v25 offset1:7
	ds_read2_b64 v[28:31], v25 offset0:1 offset1:2
	ds_read2_b64 v[32:35], v25 offset0:3 offset1:4
	;; [unrolled: 1-line block ×3, first 2 shown]
	s_waitcnt lgkmcnt(2)
	v_add_f32_e32 v5, v28, v5
	v_add_f32_e32 v6, v29, v6
	v_add_f32_e32 v5, v30, v5
	v_add_f32_e32 v6, v31, v6
	s_waitcnt lgkmcnt(1)
	v_add_f32_e32 v5, v5, v32
	v_add_f32_e32 v6, v6, v33
	v_add_f32_e32 v5, v5, v34
	v_add_f32_e32 v6, v6, v35
	;; [unrolled: 5-line block ×3, first 2 shown]
	v_add_f32_e32 v60, v5, v7
	v_add_f32_e32 v61, v6, v8
.LBB0_52:
	s_or_b32 exec_lo, exec_lo, s8
	s_lshl_b64 s[12:13], s[16:17], 8
	v_add_co_u32 v7, vcc_lo, v3, s12
	v_add_co_ci_u32_e64 v8, null, s13, v4, vcc_lo
	s_barrier
	v_add_co_u32 v5, vcc_lo, 0x100, v7
	v_add_co_ci_u32_e64 v6, null, 0, v8, vcc_lo
	s_and_b32 vcc_lo, exec_lo, s15
	buffer_gl0_inv
	s_cbranch_vccz .LBB0_82
; %bb.53:
	v_sub_co_u32 v3, vcc_lo, v7, v10
	s_ashr_i32 s11, s10, 31
	v_subrev_co_ci_u32_e64 v4, null, 0, v8, vcc_lo
	s_lshl_b64 s[12:13], s[10:11], 3
	v_or_b32_e32 v20, 32, v2
	v_add_co_u32 v3, vcc_lo, v3, s12
	v_add_co_ci_u32_e64 v4, null, s13, v4, vcc_lo
	s_sub_i32 s11, s10, 32
	v_add_co_u32 v3, vcc_lo, v3, -8
	v_add_co_ci_u32_e64 v4, null, -1, v4, vcc_lo
	v_cmp_gt_i32_e32 vcc_lo, s10, v20
	v_cmp_le_i32_e64 s8, s11, v9
	v_add_nc_u32_e32 v20, v11, v12
	v_cndmask_b32_e32 v4, v4, v6, vcc_lo
	v_cndmask_b32_e32 v3, v3, v5, vcc_lo
	s_and_saveexec_b32 s18, s8
	s_xor_b32 s8, exec_lo, s18
; %bb.54:
	v_mov_b32_e32 v28, 0
	v_mov_b32_e32 v29, v28
	ds_write_b64 v20, v[28:29]
; %bb.55:
	s_andn2_saveexec_b32 s8, s8
	s_cbranch_execz .LBB0_57
; %bb.56:
	global_load_dwordx2 v[28:29], v[3:4], off
	s_waitcnt vmcnt(0)
	ds_write_b64 v20, v[28:29]
.LBB0_57:
	s_or_b32 exec_lo, exec_lo, s8
	v_add_nc_u32_e32 v23, 8, v9
	v_cmp_le_i32_e64 s8, s11, v23
	s_and_saveexec_b32 s18, s8
	s_xor_b32 s8, exec_lo, s18
; %bb.58:
	v_mov_b32_e32 v28, 0
	v_mov_b32_e32 v29, v28
	ds_write_b64 v20, v[28:29] offset:2112
; %bb.59:
	s_andn2_saveexec_b32 s18, s8
	s_cbranch_execz .LBB0_61
; %bb.60:
	s_lshl_b64 s[28:29], s[16:17], 6
	v_add_co_u32 v28, s8, v3, s28
	v_add_co_ci_u32_e64 v29, null, s29, v4, s8
	global_load_dwordx2 v[28:29], v[28:29], off
	s_waitcnt vmcnt(0)
	ds_write_b64 v20, v[28:29] offset:2112
.LBB0_61:
	s_or_b32 exec_lo, exec_lo, s18
	v_add_nc_u32_e32 v23, 16, v9
	v_cmp_le_i32_e64 s8, s11, v23
	s_and_saveexec_b32 s18, s8
	s_xor_b32 s8, exec_lo, s18
; %bb.62:
	v_mov_b32_e32 v28, 0
	v_mov_b32_e32 v29, v28
	ds_write_b64 v20, v[28:29] offset:4224
; %bb.63:
	s_andn2_saveexec_b32 s18, s8
	s_cbranch_execz .LBB0_65
; %bb.64:
	s_lshl_b64 s[28:29], s[16:17], 7
	v_add_co_u32 v28, s8, v3, s28
	v_add_co_ci_u32_e64 v29, null, s29, v4, s8
	global_load_dwordx2 v[28:29], v[28:29], off
	s_waitcnt vmcnt(0)
	ds_write_b64 v20, v[28:29] offset:4224
.LBB0_65:
	s_or_b32 exec_lo, exec_lo, s18
	v_add_nc_u32_e32 v23, 24, v9
	v_cmp_le_i32_e64 s8, s11, v23
	s_and_saveexec_b32 s11, s8
	s_xor_b32 s8, exec_lo, s11
; %bb.66:
	v_mov_b32_e32 v28, 0
	v_mov_b32_e32 v29, v28
	ds_write_b64 v20, v[28:29] offset:6336
                                        ; implicit-def: $vgpr20
; %bb.67:
	s_andn2_saveexec_b32 s8, s8
	s_cbranch_execz .LBB0_69
; %bb.68:
	v_mad_u64_u32 v[28:29], null, 0xc0, s16, v[3:4]
	v_mov_b32_e32 v23, v29
	v_mad_u64_u32 v[29:30], null, 0xc0, s17, v[23:24]
	global_load_dwordx2 v[28:29], v[28:29], off
	s_waitcnt vmcnt(0)
	ds_write_b64 v20, v[28:29] offset:6336
.LBB0_69:
	s_or_b32 exec_lo, exec_lo, s8
	v_add_co_u32 v3, s8, v3, v10
	v_add_co_ci_u32_e64 v4, null, 0, v4, s8
	v_sub_co_u32 v3, s8, v3, s12
	v_subrev_co_ci_u32_e64 v4, null, s13, v4, s8
	v_add_co_u32 v3, s8, 0x108, v3
	v_add_co_ci_u32_e64 v4, null, 0, v4, s8
	v_cndmask_b32_e32 v3, v3, v5, vcc_lo
	v_cndmask_b32_e32 v4, v4, v6, vcc_lo
	v_mad_u32_u24 v20, 0x108, v9, v11
	s_branch .LBB0_84
.LBB0_70:
	ds_read_b64 v[21:22], v6
	s_mov_b32 s1, exec_lo
	v_add_nc_u32_e32 v8, 8, v7
	s_waitcnt lgkmcnt(0)
	v_xor_b32_e32 v20, 0x80000000, v22
	ds_write_b32 v7, v21 offset:8
	s_andn2_saveexec_b32 s4, s4
	s_cbranch_execz .LBB0_40
.LBB0_71:
	s_mov_b32 s5, s1
	s_mov_b32 s8, exec_lo
                                        ; implicit-def: $vgpr8
	v_cmpx_eq_u32_e64 v19, v2
; %bb.72:
	v_add_nc_u32_e32 v8, v11, v13
	s_or_b32 s5, s1, exec_lo
; %bb.73:
	s_or_b32 exec_lo, exec_lo, s8
	v_mov_b32_e32 v20, 0
	s_andn2_b32 s1, s1, exec_lo
	s_and_b32 s5, s5, exec_lo
	s_or_b32 s1, s1, s5
	s_or_b32 exec_lo, exec_lo, s4
	s_and_saveexec_b32 s4, s1
	s_cbranch_execnz .LBB0_41
	s_branch .LBB0_42
.LBB0_74:
	s_mov_b32 s8, exec_lo
                                        ; implicit-def: $vgpr8
	v_cmpx_eq_u32_e64 v21, v2
; %bb.75:
	v_add_nc_u32_e32 v8, v11, v13
	s_mov_b32 s1, exec_lo
; %bb.76:
	s_or_b32 exec_lo, exec_lo, s8
	s_and_b32 s1, s1, exec_lo
	s_or_saveexec_b32 s5, s5
	v_mov_b32_e32 v20, 0
	s_xor_b32 exec_lo, exec_lo, s5
	s_cbranch_execz .LBB0_44
.LBB0_77:
	v_mad_u32_u24 v8, 0x108, v21, v11
	s_or_b32 s1, s1, exec_lo
	ds_read_b64 v[22:23], v8
	v_add_nc_u32_e32 v8, 16, v7
	s_waitcnt lgkmcnt(0)
	v_xor_b32_e32 v20, 0x80000000, v23
	ds_write_b32 v7, v22 offset:16
	s_or_b32 exec_lo, exec_lo, s5
	s_and_saveexec_b32 s5, s1
	s_cbranch_execnz .LBB0_45
	s_branch .LBB0_46
.LBB0_78:
	s_mov_b32 s11, exec_lo
                                        ; implicit-def: $vgpr8
	v_cmpx_eq_u32_e64 v22, v2
; %bb.79:
	v_add_nc_u32_e32 v8, v11, v13
	s_mov_b32 s1, exec_lo
; %bb.80:
	s_or_b32 exec_lo, exec_lo, s11
	s_and_b32 s1, s1, exec_lo
                                        ; implicit-def: $vgpr7
	s_or_saveexec_b32 s8, s8
	v_mov_b32_e32 v20, 0
	s_xor_b32 exec_lo, exec_lo, s8
	s_cbranch_execz .LBB0_48
.LBB0_81:
	v_mad_u32_u24 v8, 0x108, v22, v11
	s_or_b32 s1, s1, exec_lo
	ds_read_b64 v[25:26], v8
	v_add_nc_u32_e32 v8, 24, v7
	s_waitcnt lgkmcnt(0)
	v_xor_b32_e32 v20, 0x80000000, v26
	ds_write_b32 v7, v25 offset:24
	s_or_b32 exec_lo, exec_lo, s8
	s_and_saveexec_b32 s8, s1
	s_cbranch_execnz .LBB0_49
	s_branch .LBB0_50
.LBB0_82:
                                        ; implicit-def: $vgpr3_vgpr4
	v_mad_u32_u24 v20, 0x108, v9, v11
	s_cbranch_execz .LBB0_84
; %bb.83:
	s_lshl_b64 s[12:13], s[16:17], 6
	v_add_co_u32 v3, vcc_lo, v7, s12
	v_add_co_ci_u32_e64 v4, null, s13, v8, vcc_lo
	v_add_co_u32 v28, vcc_lo, v3, s12
	v_add_co_ci_u32_e64 v29, null, s13, v4, vcc_lo
	;; [unrolled: 2-line block ×3, first 2 shown]
	s_clause 0x3
	global_load_dwordx2 v[7:8], v[7:8], off offset:256
	global_load_dwordx2 v[32:33], v[3:4], off offset:256
	;; [unrolled: 1-line block ×4, first 2 shown]
	v_mov_b32_e32 v3, v5
	v_mov_b32_e32 v4, v6
	s_waitcnt vmcnt(3)
	ds_write_b64 v20, v[7:8]
	s_waitcnt vmcnt(2)
	ds_write_b64 v20, v[32:33] offset:2112
	s_waitcnt vmcnt(1)
	ds_write_b64 v20, v[28:29] offset:4224
	;; [unrolled: 2-line block ×3, first 2 shown]
.LBB0_84:
	v_mul_u32_u24_e32 v5, 0x420, v9
	s_mov_b32 s8, 0
	s_waitcnt lgkmcnt(0)
	s_barrier
	buffer_gl0_inv
                                        ; implicit-def: $vgpr6
	s_and_saveexec_b32 s11, s2
	s_xor_b32 s2, exec_lo, s11
	s_cbranch_execz .LBB0_88
; %bb.85:
	s_mov_b32 s11, exec_lo
                                        ; implicit-def: $vgpr6
	v_cmpx_eq_u32_e64 v18, v2
	s_xor_b32 s11, exec_lo, s11
; %bb.86:
	v_add_nc_u32_e32 v6, v11, v13
	s_mov_b32 s8, exec_lo
; %bb.87:
	s_or_b32 exec_lo, exec_lo, s11
	s_and_b32 s8, s8, exec_lo
.LBB0_88:
	s_or_saveexec_b32 s2, s2
	v_mov_b32_e32 v7, 0
	v_add_nc_u32_e32 v23, v11, v5
	v_lshl_add_u32 v5, v18, 3, v25
	s_xor_b32 exec_lo, exec_lo, s2
	s_cbranch_execz .LBB0_90
; %bb.89:
	ds_read_b64 v[28:29], v23
	v_mov_b32_e32 v6, v5
	s_or_b32 s8, s8, exec_lo
	s_waitcnt lgkmcnt(0)
	v_xor_b32_e32 v7, 0x80000000, v29
	ds_write_b32 v5, v28
.LBB0_90:
	s_or_b32 exec_lo, exec_lo, s2
	v_mul_u32_u24_e32 v8, 0x108, v19
	s_and_saveexec_b32 s2, s8
; %bb.91:
	ds_write_b32 v6, v7 offset:4
; %bb.92:
	s_or_b32 exec_lo, exec_lo, s2
	v_add_nc_u32_e32 v28, v11, v8
	s_mov_b32 s2, 0
                                        ; implicit-def: $vgpr7
                                        ; implicit-def: $vgpr6
	s_and_saveexec_b32 s8, s3
	s_xor_b32 s3, exec_lo, s8
	s_cbranch_execnz .LBB0_124
; %bb.93:
	s_andn2_saveexec_b32 s3, s3
	s_cbranch_execnz .LBB0_125
.LBB0_94:
	s_or_b32 exec_lo, exec_lo, s3
	s_and_saveexec_b32 s3, s2
.LBB0_95:
	ds_write_b32 v6, v7 offset:4
.LBB0_96:
	s_or_b32 exec_lo, exec_lo, s3
	s_mov_b32 s2, 0
                                        ; implicit-def: $vgpr6
	s_and_saveexec_b32 s3, s4
	s_xor_b32 s3, exec_lo, s3
	s_cbranch_execnz .LBB0_128
; %bb.97:
	s_or_saveexec_b32 s3, s3
	v_mov_b32_e32 v7, 0
	s_xor_b32 exec_lo, exec_lo, s3
	s_cbranch_execnz .LBB0_131
.LBB0_98:
	s_or_b32 exec_lo, exec_lo, s3
	s_and_saveexec_b32 s3, s2
.LBB0_99:
	ds_write_b32 v6, v7 offset:4
.LBB0_100:
	s_or_b32 exec_lo, exec_lo, s3
	s_mov_b32 s2, 0
                                        ; implicit-def: $vgpr6
	s_and_saveexec_b32 s3, s5
	s_xor_b32 s3, exec_lo, s3
	s_cbranch_execnz .LBB0_132
; %bb.101:
	s_or_saveexec_b32 s3, s3
	v_mov_b32_e32 v7, 0
	s_xor_b32 exec_lo, exec_lo, s3
	s_cbranch_execnz .LBB0_135
.LBB0_102:
	s_or_b32 exec_lo, exec_lo, s3
	v_add_nc_u32_e32 v21, 0x2380, v27
	s_and_saveexec_b32 s3, s2
.LBB0_103:
	ds_write_b32 v6, v7 offset:4
.LBB0_104:
	s_or_b32 exec_lo, exec_lo, s3
	s_waitcnt lgkmcnt(0)
	s_barrier
	buffer_gl0_inv
	ds_read_b64 v[18:19], v23
	ds_read_b128 v[5:8], v21 offset:256
	ds_read2_b64 v[29:32], v28 offset1:33
	ds_read_b128 v[33:36], v21 offset:272
	ds_read_b64 v[37:38], v28 offset:528
	v_cmp_eq_u32_e64 s2, 1, v9
	s_waitcnt lgkmcnt(0)
	s_barrier
	buffer_gl0_inv
	v_mul_f32_e32 v13, v6, v19
	v_mul_f32_e32 v19, v5, v19
	;; [unrolled: 1-line block ×5, first 2 shown]
	v_fma_f32 v5, v5, v18, -v13
	v_fmac_f32_e32 v19, v6, v18
	v_mul_f32_e32 v32, v33, v32
	v_fma_f32 v7, v7, v29, -v22
	v_fmac_f32_e32 v27, v8, v29
	v_add_f32_e32 v5, 0, v5
	v_add_f32_e32 v8, 0, v19
	v_mul_f32_e32 v6, v36, v38
	v_mul_f32_e32 v13, v35, v38
	v_fma_f32 v18, v33, v31, -v30
	v_fmac_f32_e32 v32, v34, v31
	v_add_f32_e32 v5, v5, v7
	v_add_f32_e32 v7, v8, v27
	v_fma_f32 v6, v35, v37, -v6
	v_fmac_f32_e32 v13, v36, v37
	v_add_f32_e32 v5, v5, v18
	v_add_f32_e32 v7, v7, v32
	v_add_f32_e32 v5, v5, v6
	v_add_f32_e32 v6, v7, v13
	ds_write_b64 v26, v[5:6]
	s_waitcnt lgkmcnt(0)
	s_barrier
	buffer_gl0_inv
	s_and_saveexec_b32 s3, s2
	s_cbranch_execz .LBB0_106
; %bb.105:
	ds_read2_b64 v[5:8], v25 offset1:7
	ds_read2_b64 v[29:32], v25 offset0:1 offset1:2
	ds_read2_b64 v[33:36], v25 offset0:3 offset1:4
	ds_read2_b64 v[37:40], v25 offset0:5 offset1:6
	s_waitcnt lgkmcnt(2)
	v_add_f32_e32 v5, v29, v5
	v_add_f32_e32 v6, v30, v6
	v_add_f32_e32 v5, v31, v5
	v_add_f32_e32 v6, v32, v6
	s_waitcnt lgkmcnt(1)
	v_add_f32_e32 v5, v5, v33
	v_add_f32_e32 v6, v6, v34
	v_add_f32_e32 v5, v5, v35
	v_add_f32_e32 v6, v6, v36
	;; [unrolled: 5-line block ×3, first 2 shown]
	v_add_f32_e32 v60, v5, v7
	v_add_f32_e32 v61, v6, v8
.LBB0_106:
	s_or_b32 exec_lo, exec_lo, s3
	v_add_co_u32 v5, vcc_lo, 0xffffff00, v3
	v_add_co_ci_u32_e64 v6, null, -1, v4, vcc_lo
	s_and_b32 vcc_lo, exec_lo, s15
	s_barrier
	buffer_gl0_inv
	s_cbranch_vccz .LBB0_136
; %bb.107:
	v_sub_co_u32 v7, vcc_lo, v3, v10
	s_ashr_i32 s11, s10, 31
	v_subrev_co_ci_u32_e64 v8, null, 0, v4, vcc_lo
	s_lshl_b64 s[4:5], s[10:11], 3
	s_sub_i32 s8, s10, 32
	v_add_co_u32 v7, vcc_lo, v7, s4
	v_add_co_ci_u32_e64 v8, null, s5, v8, vcc_lo
	v_cmp_le_i32_e64 s3, s8, v9
	v_add_co_u32 v7, vcc_lo, 0xfffffef8, v7
	v_add_co_ci_u32_e64 v8, null, -1, v8, vcc_lo
	v_cmp_gt_i32_e32 vcc_lo, s10, v2
	v_add_nc_u32_e32 v13, v11, v12
	v_cndmask_b32_e32 v8, v8, v6, vcc_lo
	v_cndmask_b32_e32 v7, v7, v5, vcc_lo
	s_and_saveexec_b32 s11, s3
	s_xor_b32 s3, exec_lo, s11
; %bb.108:
	v_mov_b32_e32 v11, 0
	v_mov_b32_e32 v12, v11
	ds_write_b64 v13, v[11:12]
; %bb.109:
	s_andn2_saveexec_b32 s3, s3
	s_cbranch_execz .LBB0_111
; %bb.110:
	global_load_dwordx2 v[11:12], v[7:8], off
	s_waitcnt vmcnt(0)
	ds_write_b64 v13, v[11:12]
.LBB0_111:
	s_or_b32 exec_lo, exec_lo, s3
	v_add_nc_u32_e32 v2, 8, v9
	v_cmp_le_i32_e64 s3, s8, v2
	s_and_saveexec_b32 s11, s3
	s_xor_b32 s3, exec_lo, s11
; %bb.112:
	v_mov_b32_e32 v11, 0
	v_mov_b32_e32 v12, v11
	ds_write_b64 v13, v[11:12] offset:2112
; %bb.113:
	s_andn2_saveexec_b32 s11, s3
	s_cbranch_execz .LBB0_115
; %bb.114:
	s_lshl_b64 s[12:13], s[16:17], 6
	v_add_co_u32 v11, s3, v7, s12
	v_add_co_ci_u32_e64 v12, null, s13, v8, s3
	global_load_dwordx2 v[11:12], v[11:12], off
	s_waitcnt vmcnt(0)
	ds_write_b64 v13, v[11:12] offset:2112
.LBB0_115:
	s_or_b32 exec_lo, exec_lo, s11
	v_add_nc_u32_e32 v11, 16, v9
	v_cmp_le_i32_e64 s3, s8, v11
	s_and_saveexec_b32 s11, s3
	s_xor_b32 s3, exec_lo, s11
; %bb.116:
	v_mov_b32_e32 v18, 0
	v_mov_b32_e32 v19, v18
	ds_write_b64 v13, v[18:19] offset:4224
; %bb.117:
	s_andn2_saveexec_b32 s11, s3
	s_cbranch_execz .LBB0_119
; %bb.118:
	s_lshl_b64 s[12:13], s[16:17], 7
	v_add_co_u32 v18, s3, v7, s12
	v_add_co_ci_u32_e64 v19, null, s13, v8, s3
	global_load_dwordx2 v[18:19], v[18:19], off
	s_waitcnt vmcnt(0)
	ds_write_b64 v13, v[18:19] offset:4224
.LBB0_119:
	s_or_b32 exec_lo, exec_lo, s11
	v_add_nc_u32_e32 v12, 24, v9
	v_cmp_le_i32_e64 s3, s8, v12
	s_and_saveexec_b32 s8, s3
	s_xor_b32 s3, exec_lo, s8
; %bb.120:
	v_mov_b32_e32 v18, 0
	v_mov_b32_e32 v19, v18
	ds_write_b64 v13, v[18:19] offset:6336
                                        ; implicit-def: $vgpr13
; %bb.121:
	s_andn2_saveexec_b32 s3, s3
	s_cbranch_execz .LBB0_123
; %bb.122:
	v_mad_u64_u32 v[18:19], null, 0xc0, s16, v[7:8]
	v_mad_u64_u32 v[29:30], null, 0xc0, s17, v[19:20]
	v_mov_b32_e32 v19, v29
	global_load_dwordx2 v[18:19], v[18:19], off
	s_waitcnt vmcnt(0)
	ds_write_b64 v13, v[18:19] offset:6336
.LBB0_123:
	s_or_b32 exec_lo, exec_lo, s3
	v_add_co_u32 v7, s3, v7, v10
	v_add_co_ci_u32_e64 v8, null, 0, v8, s3
	v_sub_co_u32 v7, s3, v7, s4
	v_subrev_co_ci_u32_e64 v8, null, s5, v8, s3
	v_add_co_u32 v7, s3, v7, 8
	v_add_co_ci_u32_e64 v8, null, 0, v8, s3
	v_cndmask_b32_e32 v18, v7, v5, vcc_lo
	v_cndmask_b32_e32 v19, v8, v6, vcc_lo
	s_branch .LBB0_138
.LBB0_124:
	ds_read_b64 v[18:19], v28
	s_mov_b32 s2, exec_lo
	v_add_nc_u32_e32 v6, 8, v5
	s_waitcnt lgkmcnt(0)
	v_xor_b32_e32 v7, 0x80000000, v19
	ds_write_b32 v5, v18 offset:8
                                        ; implicit-def: $vgpr19
	s_andn2_saveexec_b32 s3, s3
	s_cbranch_execz .LBB0_94
.LBB0_125:
	s_mov_b32 s8, s2
	s_mov_b32 s11, exec_lo
                                        ; implicit-def: $vgpr6
	v_cmpx_eq_u32_e64 v19, v2
; %bb.126:
	v_add_nc_u32_e32 v6, v11, v13
	s_or_b32 s8, s2, exec_lo
; %bb.127:
	s_or_b32 exec_lo, exec_lo, s11
	v_mov_b32_e32 v7, 0
	s_andn2_b32 s2, s2, exec_lo
	s_and_b32 s8, s8, exec_lo
	s_or_b32 s2, s2, s8
	s_or_b32 exec_lo, exec_lo, s3
	s_and_saveexec_b32 s3, s2
	s_cbranch_execnz .LBB0_95
	s_branch .LBB0_96
.LBB0_128:
	s_mov_b32 s4, exec_lo
                                        ; implicit-def: $vgpr6
	v_cmpx_eq_u32_e64 v21, v2
; %bb.129:
	v_add_nc_u32_e32 v6, v11, v13
	s_mov_b32 s2, exec_lo
; %bb.130:
	s_or_b32 exec_lo, exec_lo, s4
	s_and_b32 s2, s2, exec_lo
	s_or_saveexec_b32 s3, s3
	v_mov_b32_e32 v7, 0
	s_xor_b32 exec_lo, exec_lo, s3
	s_cbranch_execz .LBB0_98
.LBB0_131:
	ds_read_b64 v[18:19], v28 offset:264
	v_add_nc_u32_e32 v6, 16, v5
	s_or_b32 s2, s2, exec_lo
	s_waitcnt lgkmcnt(0)
	v_xor_b32_e32 v7, 0x80000000, v19
	ds_write_b32 v5, v18 offset:16
	s_or_b32 exec_lo, exec_lo, s3
	s_and_saveexec_b32 s3, s2
	s_cbranch_execnz .LBB0_99
	s_branch .LBB0_100
.LBB0_132:
	s_mov_b32 s4, exec_lo
                                        ; implicit-def: $vgpr6
	v_cmpx_eq_u32_e64 v22, v2
; %bb.133:
	v_add_nc_u32_e32 v6, v11, v13
	s_mov_b32 s2, exec_lo
; %bb.134:
	s_or_b32 exec_lo, exec_lo, s4
	s_and_b32 s2, s2, exec_lo
                                        ; implicit-def: $vgpr5
	s_or_saveexec_b32 s3, s3
	v_mov_b32_e32 v7, 0
	s_xor_b32 exec_lo, exec_lo, s3
	s_cbranch_execz .LBB0_102
.LBB0_135:
	ds_read_b64 v[18:19], v28 offset:528
	v_add_nc_u32_e32 v6, 24, v5
	s_or_b32 s2, s2, exec_lo
	s_waitcnt lgkmcnt(0)
	v_xor_b32_e32 v7, 0x80000000, v19
	ds_write_b32 v5, v18 offset:24
	s_or_b32 exec_lo, exec_lo, s3
	v_add_nc_u32_e32 v21, 0x2380, v27
	s_and_saveexec_b32 s3, s2
	s_cbranch_execnz .LBB0_103
	s_branch .LBB0_104
.LBB0_136:
                                        ; implicit-def: $vgpr18_vgpr19
                                        ; implicit-def: $vgpr2
                                        ; implicit-def: $vgpr11
                                        ; implicit-def: $vgpr12
	s_cbranch_execz .LBB0_138
; %bb.137:
	s_lshl_b64 s[4:5], s[16:17], 6
	v_mov_b32_e32 v19, v6
	v_add_co_u32 v7, vcc_lo, v3, s4
	v_add_co_ci_u32_e64 v8, null, s5, v4, vcc_lo
	v_add_nc_u32_e32 v2, 8, v9
	v_add_co_u32 v10, vcc_lo, v7, s4
	v_add_co_ci_u32_e64 v11, null, s5, v8, vcc_lo
	v_mov_b32_e32 v18, v5
	v_add_co_u32 v12, vcc_lo, v10, s4
	v_add_co_ci_u32_e64 v13, null, s5, v11, vcc_lo
	s_clause 0x3
	global_load_dwordx2 v[3:4], v[3:4], off offset:-256
	global_load_dwordx2 v[7:8], v[7:8], off offset:-256
	;; [unrolled: 1-line block ×4, first 2 shown]
	v_add_nc_u32_e32 v11, 16, v9
	v_add_nc_u32_e32 v12, 24, v9
	s_waitcnt vmcnt(3)
	ds_write_b64 v20, v[3:4]
	s_waitcnt vmcnt(2)
	ds_write_b64 v20, v[7:8] offset:2112
	s_waitcnt vmcnt(1)
	ds_write_b64 v20, v[29:30] offset:4224
	;; [unrolled: 2-line block ×3, first 2 shown]
.LBB0_138:
	v_lshlrev_b32_e32 v3, 3, v9
	v_lshlrev_b32_e32 v2, 3, v2
	s_waitcnt lgkmcnt(0)
	s_barrier
	buffer_gl0_inv
	v_add_nc_u32_e32 v5, v25, v3
	v_add_nc_u32_e32 v6, v25, v2
	v_lshlrev_b32_e32 v4, 3, v11
	v_lshlrev_b32_e32 v7, 3, v12
	ds_read_b64 v[29:30], v5
	ds_read_b64 v[31:32], v6
	ds_read_b64 v[33:34], v2 offset:9088
	ds_read_b64 v[35:36], v3 offset:9088
	v_add_nc_u32_e32 v8, v25, v4
	v_add_nc_u32_e32 v2, v25, v7
	ds_read_b64 v[37:38], v8
	ds_read_b64 v[39:40], v7 offset:9088
	ds_read_b64 v[41:42], v4 offset:9088
	ds_read_b64 v[43:44], v2
	ds_read_b128 v[10:13], v21 offset:256
	ds_read_b128 v[2:5], v21 offset:272
	ds_read2_b64 v[6:9], v28 offset1:33
	ds_read_b64 v[22:23], v23
	ds_read_b64 v[20:21], v28 offset:528
	s_waitcnt lgkmcnt(0)
	s_barrier
	buffer_gl0_inv
	v_mul_f32_e32 v27, v30, v36
	v_mul_f32_e32 v28, v30, v35
	v_mul_f32_e32 v30, v32, v34
	v_mul_f32_e32 v32, v32, v33
	v_mul_f32_e32 v45, v38, v42
	v_fmac_f32_e32 v27, v29, v35
	v_fma_f32 v28, v29, v36, -v28
	v_mul_f32_e32 v38, v38, v41
	v_fmac_f32_e32 v30, v31, v33
	v_fma_f32 v31, v31, v34, -v32
	v_add_f32_e32 v27, 0, v27
	v_add_f32_e32 v28, 0, v28
	v_mul_f32_e32 v29, v44, v40
	v_mul_f32_e32 v32, v44, v39
	v_fmac_f32_e32 v45, v37, v41
	v_fma_f32 v33, v37, v42, -v38
	v_add_f32_e32 v27, v27, v30
	v_add_f32_e32 v28, v28, v31
	v_fmac_f32_e32 v29, v43, v39
	v_fma_f32 v30, v43, v40, -v32
	v_add_f32_e32 v27, v27, v45
	v_add_f32_e32 v28, v28, v33
	;; [unrolled: 1-line block ×4, first 2 shown]
	ds_write_b64 v26, v[27:28]
	s_waitcnt lgkmcnt(0)
	s_barrier
	buffer_gl0_inv
	s_and_saveexec_b32 s3, s2
	s_cbranch_execz .LBB0_140
; %bb.139:
	ds_read2_b64 v[27:30], v25 offset1:1
	ds_read2_b64 v[31:34], v25 offset0:2 offset1:3
	ds_read2_b64 v[35:38], v25 offset0:4 offset1:5
	s_waitcnt lgkmcnt(2)
	v_add_f32_e32 v27, v60, v27
	v_add_f32_e32 v28, v61, v28
	;; [unrolled: 1-line block ×4, first 2 shown]
	ds_read2_b64 v[27:30], v25 offset0:6 offset1:7
	s_waitcnt lgkmcnt(2)
	v_add_f32_e32 v31, v39, v31
	v_add_f32_e32 v32, v40, v32
	v_add_f32_e32 v31, v31, v33
	v_add_f32_e32 v32, v32, v34
	s_waitcnt lgkmcnt(1)
	v_add_f32_e32 v31, v31, v35
	v_add_f32_e32 v32, v32, v36
	v_add_f32_e32 v31, v31, v37
	v_add_f32_e32 v32, v32, v38
	;; [unrolled: 5-line block ×3, first 2 shown]
.LBB0_140:
	s_or_b32 exec_lo, exec_lo, s3
	v_mul_f32_e32 v27, v11, v23
	v_mul_f32_e32 v23, v10, v23
	;; [unrolled: 1-line block ×5, first 2 shown]
	v_fma_f32 v10, v10, v22, -v27
	v_fmac_f32_e32 v23, v11, v22
	v_mul_f32_e32 v9, v2, v9
	v_fma_f32 v12, v12, v6, -v28
	v_fmac_f32_e32 v7, v13, v6
	v_add_f32_e32 v10, 0, v10
	v_add_f32_e32 v6, 0, v23
	v_mul_f32_e32 v11, v5, v21
	v_mul_f32_e32 v13, v4, v21
	v_fma_f32 v2, v2, v8, -v29
	v_add_f32_e32 v10, v10, v12
	v_fmac_f32_e32 v9, v3, v8
	v_add_f32_e32 v3, v6, v7
	v_fma_f32 v4, v4, v20, -v11
	v_fmac_f32_e32 v13, v5, v20
	v_add_f32_e32 v2, v10, v2
	v_add_f32_e32 v3, v3, v9
	s_barrier
	buffer_gl0_inv
	v_add_f32_e32 v2, v2, v4
	v_add_f32_e32 v3, v3, v13
	ds_write_b64 v26, v[2:3]
	s_waitcnt lgkmcnt(0)
	s_barrier
	buffer_gl0_inv
	s_and_saveexec_b32 s2, s1
	s_cbranch_execz .LBB0_142
; %bb.141:
	ds_read2_b64 v[2:5], v25 offset1:1
	ds_read2_b64 v[6:9], v25 offset0:2 offset1:3
	ds_read2_b64 v[10:13], v25 offset0:4 offset1:5
	s_waitcnt lgkmcnt(2)
	v_add_f32_e32 v2, v60, v2
	v_add_f32_e32 v3, v61, v3
	;; [unrolled: 1-line block ×4, first 2 shown]
	ds_read2_b64 v[2:5], v25 offset0:6 offset1:7
	s_waitcnt lgkmcnt(2)
	v_add_f32_e32 v6, v20, v6
	v_add_f32_e32 v7, v21, v7
	v_add_f32_e32 v6, v6, v8
	v_add_f32_e32 v7, v7, v9
	s_waitcnt lgkmcnt(1)
	v_add_f32_e32 v6, v6, v10
	v_add_f32_e32 v7, v7, v11
	v_add_f32_e32 v6, v6, v12
	v_add_f32_e32 v7, v7, v13
	;; [unrolled: 5-line block ×3, first 2 shown]
.LBB0_142:
	s_or_b32 exec_lo, exec_lo, s2
	s_mul_hi_u32 s1, s23, s7
	s_mul_i32 s26, s26, s7
	s_mul_i32 s2, s23, s7
	s_add_i32 s1, s1, s26
	s_mul_hi_u32 s3, s2, s9
	s_mul_i32 s1, s1, s9
	s_mul_i32 s2, s2, s9
	s_add_i32 s3, s3, s1
	s_mul_hi_i32 s5, s23, s6
	s_lshl_b64 s[2:3], s[2:3], 3
	s_mul_i32 s4, s23, s6
	s_add_u32 s1, s34, s2
	s_addc_u32 s2, s35, s3
	s_lshl_b64 s[4:5], s[4:5], 3
	v_lshlrev_b32_e32 v95, 3, v0
	s_add_u32 s3, s1, s4
	s_addc_u32 s7, s2, s5
	s_add_i32 s1, s6, 1
	s_cmp_ge_u32 s1, s9
	s_barrier
	buffer_gl0_inv
	s_cbranch_scc1 .LBB0_200
; %bb.143:
	v_lshrrev_b32_e32 v2, 4, v24
	v_lshlrev_b32_e32 v12, 5, v1
	v_and_b32_e32 v4, 48, v0
	v_and_b32_e32 v6, 15, v0
	s_mul_i32 s1, s24, s21
	v_lshlrev_b32_e32 v3, 5, v2
	v_add_nc_u32_e32 v7, 0x100, v12
	v_lshlrev_b32_e32 v4, 3, v4
	v_add_nc_u32_e32 v9, 0x298, v12
	s_mul_hi_u32 s2, s24, s20
	v_mad_u32_u24 v103, 0x218, v6, v3
	v_mul_i32_i24_e32 v13, 0xffffffe8, v2
	v_mad_u64_u32 v[2:3], null, s16, v7, 0
	v_mad_u32_u24 v104, 0x218, v6, v4
	v_mad_u64_u32 v[4:5], null, s16, v9, 0
	s_mul_i32 s4, s25, s20
	s_add_i32 s1, s2, s1
	v_or_b32_e32 v8, 0x78, v95
	s_add_i32 s5, s1, s4
	s_mul_i32 s4, s24, s20
	v_cmp_gt_u32_e64 s1, 64, v24
	s_lshl_b64 s[4:5], s[4:5], 3
	v_mad_u32_u24 v105, 0x218, v6, v8
	v_sub_co_u32 v97, vcc_lo, v16, s4
	v_mad_u64_u32 v[6:7], null, s17, v7, v[3:4]
	v_mov_b32_e32 v3, v5
	v_subrev_co_ci_u32_e64 v98, null, s5, v17, vcc_lo
	v_add_nc_u32_e32 v16, 0x110, v12
	v_add_nc_u32_e32 v17, 0x290, v12
	v_mad_u64_u32 v[9:10], null, s17, v9, v[3:4]
	v_sub_co_u32 v20, vcc_lo, v2, v14
	v_mad_u64_u32 v[7:8], null, s16, v16, 0
	v_mad_u64_u32 v[10:11], null, s16, v17, 0
	v_sub_co_ci_u32_e64 v21, null, v6, v15, vcc_lo
	v_sub_co_u32 v22, vcc_lo, v4, v14
	v_mov_b32_e32 v2, v8
	v_add_nc_u32_e32 v8, 0x108, v12
	v_mov_b32_e32 v3, v11
	v_sub_co_ci_u32_e64 v23, null, v9, v15, vcc_lo
	v_add_nc_u32_e32 v9, 0x288, v12
	v_sub_co_u32 v11, vcc_lo, v7, v14
	v_mad_u64_u32 v[4:5], null, s17, v16, v[2:3]
	v_mad_u64_u32 v[5:6], null, s16, v8, 0
	v_add_nc_u32_e32 v25, 0x118, v12
	v_add_nc_u32_e32 v26, 0x280, v12
	;; [unrolled: 1-line block ×4, first 2 shown]
	v_mad_u64_u32 v[2:3], null, s17, v17, v[3:4]
	v_mov_b32_e32 v3, v6
	v_mad_u64_u32 v[6:7], null, s16, v9, 0
	v_sub_co_ci_u32_e64 v16, null, v4, v15, vcc_lo
	v_sub_co_u32 v17, vcc_lo, v10, v14
	v_sub_co_ci_u32_e64 v24, null, v2, v15, vcc_lo
	v_mad_u64_u32 v[2:3], null, s17, v8, v[3:4]
	v_mov_b32_e32 v3, v7
	v_mad_u64_u32 v[7:8], null, s16, v25, 0
	v_sub_co_u32 v27, vcc_lo, v5, v14
	v_mad_u64_u32 v[3:4], null, s17, v9, v[3:4]
	v_mad_u64_u32 v[9:10], null, s16, v26, 0
	v_sub_co_ci_u32_e64 v28, null, v2, v15, vcc_lo
	v_sub_co_u32 v29, vcc_lo, v6, v14
	v_mov_b32_e32 v2, v8
	v_sub_co_ci_u32_e64 v30, null, v3, v15, vcc_lo
	v_mov_b32_e32 v3, v10
	v_add_nc_u32_e32 v8, 0x180, v12
	v_add_nc_u32_e32 v10, 0x218, v12
	;; [unrolled: 1-line block ×4, first 2 shown]
	v_mad_u64_u32 v[4:5], null, s17, v25, v[2:3]
	v_mad_u64_u32 v[5:6], null, s16, v8, 0
	v_sub_co_u32 v25, vcc_lo, v7, v14
	v_lshlrev_b32_e32 v96, 2, v1
	v_add_nc_u32_e32 v99, 0x2180, v95
	v_mad_u64_u32 v[2:3], null, s17, v26, v[3:4]
	v_mov_b32_e32 v3, v6
	v_mad_u64_u32 v[6:7], null, s16, v10, 0
	v_sub_co_ci_u32_e64 v26, null, v4, v15, vcc_lo
	v_sub_co_u32 v31, vcc_lo, v9, v14
	v_sub_co_ci_u32_e64 v32, null, v2, v15, vcc_lo
	v_mad_u64_u32 v[2:3], null, s17, v8, v[3:4]
	v_mov_b32_e32 v3, v7
	v_mad_u64_u32 v[7:8], null, s16, v33, 0
	v_sub_co_u32 v35, vcc_lo, v5, v14
	v_mad_u64_u32 v[3:4], null, s17, v10, v[3:4]
	v_mad_u64_u32 v[9:10], null, s16, v34, 0
	v_sub_co_ci_u32_e64 v36, null, v2, v15, vcc_lo
	v_sub_co_u32 v37, vcc_lo, v6, v14
	v_mov_b32_e32 v2, v8
	v_sub_co_ci_u32_e64 v38, null, v3, v15, vcc_lo
	v_mov_b32_e32 v3, v10
	v_add_nc_u32_e32 v8, 0x190, v12
	v_add_nc_u32_e32 v10, 0x208, v12
	;; [unrolled: 1-line block ×4, first 2 shown]
	v_mad_u64_u32 v[4:5], null, s17, v33, v[2:3]
	v_mad_u64_u32 v[5:6], null, s16, v8, 0
	v_sub_co_u32 v33, vcc_lo, v7, v14
	v_mad_u32_u24 v102, 0x860, v1, v95
	v_or_b32_e32 v106, 3, v96
	v_mad_u64_u32 v[2:3], null, s17, v34, v[3:4]
	v_mov_b32_e32 v3, v6
	v_mad_u64_u32 v[6:7], null, s16, v10, 0
	v_sub_co_ci_u32_e64 v34, null, v4, v15, vcc_lo
	v_sub_co_u32 v39, vcc_lo, v9, v14
	v_sub_co_ci_u32_e64 v40, null, v2, v15, vcc_lo
	v_mad_u64_u32 v[2:3], null, s17, v8, v[3:4]
	v_mov_b32_e32 v3, v7
	v_mad_u64_u32 v[7:8], null, s16, v41, 0
	v_sub_co_u32 v42, vcc_lo, v5, v14
	v_mad_u64_u32 v[3:4], null, s17, v10, v[3:4]
	v_mad_u64_u32 v[9:10], null, s16, v12, 0
	v_sub_co_ci_u32_e64 v43, null, v2, v15, vcc_lo
	v_sub_co_u32 v6, vcc_lo, v6, v14
	v_mov_b32_e32 v2, v8
	v_sub_co_ci_u32_e64 v8, null, v3, v15, vcc_lo
	v_mov_b32_e32 v3, v10
	v_add_nc_u32_e32 v107, 16, v96
	v_add_nc_u32_e32 v108, 17, v96
	;; [unrolled: 1-line block ×4, first 2 shown]
	v_mad_u64_u32 v[4:5], null, s17, v41, v[2:3]
	v_or_b32_e32 v5, 4, v20
	v_add_nc_u32_e32 v111, 32, v96
	v_add_nc_u32_e32 v112, 33, v96
	;; [unrolled: 1-line block ×5, first 2 shown]
	v_mad_u64_u32 v[2:3], null, s17, v12, v[3:4]
	v_sub_co_u32 v3, vcc_lo, v7, v14
	v_sub_co_ci_u32_e64 v4, null, v4, v15, vcc_lo
	v_sub_co_u32 v7, vcc_lo, v9, v14
	v_sub_co_ci_u32_e64 v2, null, v2, v15, vcc_lo
	v_add_co_u32 v116, vcc_lo, v18, v5
	v_add_co_ci_u32_e64 v117, null, v19, v21, vcc_lo
	v_add_co_u32 v118, vcc_lo, v18, v22
	v_or_b32_e32 v5, 4, v27
	v_add_co_ci_u32_e64 v119, null, v19, v23, vcc_lo
	v_add_co_u32 v120, vcc_lo, v18, v11
	v_add_co_ci_u32_e64 v121, null, v19, v16, vcc_lo
	v_add_co_u32 v122, vcc_lo, v18, v17
	;; [unrolled: 2-line block ×3, first 2 shown]
	v_or_b32_e32 v5, 4, v25
	v_add_co_ci_u32_e64 v125, null, v19, v28, vcc_lo
	v_add_co_u32 v126, vcc_lo, v18, v29
	v_add_co_ci_u32_e64 v127, null, v19, v30, vcc_lo
	v_add_co_u32 v128, vcc_lo, v18, v5
	v_or_b32_e32 v5, 4, v35
	v_add_co_ci_u32_e64 v129, null, v19, v26, vcc_lo
	v_add_co_u32 v130, vcc_lo, v18, v31
	v_add_co_ci_u32_e64 v131, null, v19, v32, vcc_lo
	v_add_co_u32 v132, vcc_lo, v18, v5
	;; [unrolled: 5-line block ×3, first 2 shown]
	v_or_b32_e32 v5, 4, v42
	v_add_co_ci_u32_e64 v137, null, v19, v34, vcc_lo
	v_add_co_u32 v138, vcc_lo, v18, v39
	v_or_b32_e32 v3, 4, v3
	v_add_co_ci_u32_e64 v139, null, v19, v40, vcc_lo
	v_add_co_u32 v140, vcc_lo, v18, v5
	;; [unrolled: 3-line block ×3, first 2 shown]
	v_add_co_ci_u32_e64 v143, null, v19, v8, vcc_lo
	v_add_co_u32 v144, vcc_lo, v18, v3
	v_add_co_ci_u32_e64 v145, null, v19, v4, vcc_lo
	v_add_co_u32 v146, vcc_lo, v18, v5
	v_add_co_ci_u32_e64 v147, null, v19, v2, vcc_lo
	v_add_nc_u32_e32 v148, 49, v96
	v_add_nc_u32_e32 v149, 50, v96
	;; [unrolled: 1-line block ×4, first 2 shown]
	v_mov_b32_e32 v62, 0
	s_add_i32 s8, s9, -2
	s_add_i32 s11, s20, 64
	s_lshl_b64 s[4:5], s[16:17], 9
	s_cmp_eq_u32 s8, s6
	s_cselect_b32 s12, s22, 0
	s_and_saveexec_b32 s2, s0
	s_cbranch_execz .LBB0_148
.LBB0_144:
	v_cmp_le_i32_e32 vcc_lo, s12, v0
	s_cmp_lg_u32 s12, 0
	s_cselect_b32 s13, -1, 0
	s_and_b32 s13, s13, vcc_lo
	s_and_saveexec_b32 s15, s13
	s_xor_b32 s13, exec_lo, s15
; %bb.145:
	v_mov_b32_e32 v63, v62
	ds_write_b64 v99, v[62:63]
; %bb.146:
	s_andn2_saveexec_b32 s13, s13
	s_cbranch_execz .LBB0_148
; %bb.147:
	s_ashr_i32 s13, s11, 31
	s_mul_hi_u32 s15, s24, s11
	s_mul_i32 s13, s24, s13
	s_mul_i32 s17, s25, s11
	s_add_i32 s13, s15, s13
	s_mul_i32 s16, s24, s11
	s_add_i32 s17, s13, s17
	s_lshl_b64 s[16:17], s[16:17], 3
	v_add_co_u32 v2, vcc_lo, v97, s16
	v_add_co_ci_u32_e64 v3, null, s17, v98, vcc_lo
	global_load_dwordx2 v[2:3], v[2:3], off
	s_waitcnt vmcnt(0)
	ds_write_b64 v99, v[2:3]
.LBB0_148:                              ; =>This Inner Loop Header: Depth=1
	s_or_b32 exec_lo, exec_lo, s2
	s_cmp_eq_u32 s12, 0
	v_add_co_u32 v2, vcc_lo, v116, v95
	s_cselect_b32 s13, -1, 0
	s_cmp_lg_u32 s12, 0
	v_add_co_ci_u32_e64 v3, null, 0, v117, vcc_lo
	s_cselect_b32 s2, -1, 0
	s_waitcnt lgkmcnt(0)
	s_and_b32 vcc_lo, exec_lo, s2
	s_barrier
	buffer_gl0_inv
	s_cbranch_vccz .LBB0_156
; %bb.149:                              ;   in Loop: Header=BB0_148 Depth=1
	v_mov_b32_e32 v65, 0
	v_mov_b32_e32 v63, 0
	;; [unrolled: 1-line block ×3, first 2 shown]
	s_mov_b32 s15, exec_lo
	v_cmpx_gt_i32_e64 s12, v96
	s_cbranch_execz .LBB0_151
; %bb.150:                              ;   in Loop: Header=BB0_148 Depth=1
	global_load_dwordx2 v[63:64], v[2:3], off offset:-4
.LBB0_151:                              ;   in Loop: Header=BB0_148 Depth=1
	s_or_b32 exec_lo, exec_lo, s15
	v_or_b32_e32 v4, 1, v96
	v_mov_b32_e32 v66, 0
	s_mov_b32 s15, exec_lo
	v_cmpx_gt_i32_e64 s12, v4
	s_cbranch_execz .LBB0_153
; %bb.152:                              ;   in Loop: Header=BB0_148 Depth=1
	v_add_co_u32 v4, vcc_lo, v124, v95
	v_add_co_ci_u32_e64 v5, null, 0, v125, vcc_lo
	global_load_dwordx2 v[65:66], v[4:5], off offset:-4
.LBB0_153:                              ;   in Loop: Header=BB0_148 Depth=1
	s_or_b32 exec_lo, exec_lo, s15
	v_or_b32_e32 v4, 2, v96
	v_mov_b32_e32 v67, 0
	v_mov_b32_e32 v68, 0
	s_mov_b32 s15, exec_lo
	v_cmpx_gt_i32_e64 s12, v4
	s_cbranch_execz .LBB0_155
; %bb.154:                              ;   in Loop: Header=BB0_148 Depth=1
	v_add_co_u32 v4, vcc_lo, v120, v95
	v_add_co_ci_u32_e64 v5, null, 0, v121, vcc_lo
	global_load_dwordx2 v[67:68], v[4:5], off
.LBB0_155:                              ;   in Loop: Header=BB0_148 Depth=1
	s_or_b32 exec_lo, exec_lo, s15
	v_cmp_gt_i32_e64 s15, s12, v106
	s_branch .LBB0_158
.LBB0_156:                              ;   in Loop: Header=BB0_148 Depth=1
	s_mov_b32 s15, 0
                                        ; implicit-def: $vgpr64
                                        ; implicit-def: $vgpr66
                                        ; implicit-def: $vgpr68
	s_cbranch_execz .LBB0_158
; %bb.157:                              ;   in Loop: Header=BB0_148 Depth=1
	v_add_co_u32 v4, vcc_lo, v124, v95
	v_add_co_ci_u32_e64 v5, null, 0, v125, vcc_lo
	v_add_co_u32 v6, vcc_lo, v120, v95
	v_add_co_ci_u32_e64 v7, null, 0, v121, vcc_lo
	global_load_dwordx2 v[63:64], v[2:3], off offset:-4
	global_load_dwordx2 v[65:66], v[4:5], off offset:-4
	global_load_dwordx2 v[67:68], v[6:7], off
	s_or_b32 s15, s15, exec_lo
.LBB0_158:                              ;   in Loop: Header=BB0_148 Depth=1
	v_mov_b32_e32 v69, 0
	v_mov_b32_e32 v70, 0
	s_and_saveexec_b32 s16, s15
	s_cbranch_execz .LBB0_160
; %bb.159:                              ;   in Loop: Header=BB0_148 Depth=1
	v_add_co_u32 v2, vcc_lo, v128, v95
	v_add_co_ci_u32_e64 v3, null, 0, v129, vcc_lo
	global_load_dwordx2 v[69:70], v[2:3], off offset:-4
.LBB0_160:                              ;   in Loop: Header=BB0_148 Depth=1
	s_or_b32 exec_lo, exec_lo, s16
	ds_read_b64 v[2:3], v101
	v_add_co_u32 v18, vcc_lo, v132, v95
	v_cndmask_b32_e64 v42, 0, 1, s2
	v_add_co_ci_u32_e64 v19, null, 0, v133, vcc_lo
	s_andn2_b32 vcc_lo, exec_lo, s2
	s_waitcnt vmcnt(0) lgkmcnt(0)
	v_mul_f32_e32 v10, v64, v3
	v_mul_f32_e32 v4, v64, v2
	;; [unrolled: 1-line block ×8, first 2 shown]
	v_fmac_f32_e32 v10, v63, v2
	v_fma_f32 v11, v63, v3, -v4
	v_fmac_f32_e32 v12, v65, v2
	v_fma_f32 v13, v65, v3, -v5
	;; [unrolled: 2-line block ×4, first 2 shown]
	ds_read_b128 v[6:9], v100
	ds_read_b128 v[2:5], v100 offset:16
	ds_write2_b64 v102, v[10:11], v[12:13] offset1:67
	ds_write2_b64 v102, v[14:15], v[16:17] offset0:134 offset1:201
	s_waitcnt lgkmcnt(0)
	s_barrier
	buffer_gl0_inv
	ds_read2_b64 v[14:17], v103 offset1:1
	ds_read2_b64 v[10:13], v103 offset0:2 offset1:3
	s_waitcnt lgkmcnt(0)
	s_barrier
	buffer_gl0_inv
	s_cbranch_vccnz .LBB0_168
; %bb.161:                              ;   in Loop: Header=BB0_148 Depth=1
	v_mov_b32_e32 v71, 0
	v_mov_b32_e32 v73, 0
	;; [unrolled: 1-line block ×3, first 2 shown]
	s_mov_b32 s2, exec_lo
	v_cmpx_gt_i32_e64 s12, v107
	s_cbranch_execz .LBB0_163
; %bb.162:                              ;   in Loop: Header=BB0_148 Depth=1
	global_load_dwordx2 v[73:74], v[18:19], off offset:-4
.LBB0_163:                              ;   in Loop: Header=BB0_148 Depth=1
	s_or_b32 exec_lo, exec_lo, s2
	v_mov_b32_e32 v72, 0
	s_mov_b32 s2, exec_lo
	v_cmpx_gt_i32_e64 s12, v108
	s_cbranch_execz .LBB0_165
; %bb.164:                              ;   in Loop: Header=BB0_148 Depth=1
	v_add_co_u32 v20, vcc_lo, v136, v95
	v_add_co_ci_u32_e64 v21, null, 0, v137, vcc_lo
	global_load_dwordx2 v[71:72], v[20:21], off offset:-4
.LBB0_165:                              ;   in Loop: Header=BB0_148 Depth=1
	s_or_b32 exec_lo, exec_lo, s2
	v_mov_b32_e32 v75, 0
	v_mov_b32_e32 v76, 0
	s_mov_b32 s2, exec_lo
	v_cmpx_gt_i32_e64 s12, v109
	s_cbranch_execz .LBB0_167
; %bb.166:                              ;   in Loop: Header=BB0_148 Depth=1
	v_add_co_u32 v20, vcc_lo, v140, v95
	v_add_co_ci_u32_e64 v21, null, 0, v141, vcc_lo
	global_load_dwordx2 v[75:76], v[20:21], off offset:-4
.LBB0_167:                              ;   in Loop: Header=BB0_148 Depth=1
	s_or_b32 exec_lo, exec_lo, s2
	v_cmp_gt_i32_e64 s2, s12, v110
	s_branch .LBB0_170
.LBB0_168:                              ;   in Loop: Header=BB0_148 Depth=1
	s_mov_b32 s2, 0
                                        ; implicit-def: $vgpr74
                                        ; implicit-def: $vgpr72
                                        ; implicit-def: $vgpr76
	s_cbranch_execz .LBB0_170
; %bb.169:                              ;   in Loop: Header=BB0_148 Depth=1
	v_add_co_u32 v20, vcc_lo, v136, v95
	v_add_co_ci_u32_e64 v21, null, 0, v137, vcc_lo
	v_add_co_u32 v22, vcc_lo, v140, v95
	v_add_co_ci_u32_e64 v23, null, 0, v141, vcc_lo
	global_load_dwordx2 v[73:74], v[18:19], off offset:-4
	global_load_dwordx2 v[71:72], v[20:21], off offset:-4
	;; [unrolled: 1-line block ×3, first 2 shown]
	s_or_b32 s2, s2, exec_lo
.LBB0_170:                              ;   in Loop: Header=BB0_148 Depth=1
	v_mov_b32_e32 v77, 0
	v_mov_b32_e32 v78, 0
	s_and_saveexec_b32 s15, s2
	s_cbranch_execz .LBB0_172
; %bb.171:                              ;   in Loop: Header=BB0_148 Depth=1
	v_add_co_u32 v18, vcc_lo, v144, v95
	v_add_co_ci_u32_e64 v19, null, 0, v145, vcc_lo
	global_load_dwordx2 v[77:78], v[18:19], off offset:-4
.LBB0_172:                              ;   in Loop: Header=BB0_148 Depth=1
	s_or_b32 exec_lo, exec_lo, s15
	ds_read_b64 v[18:19], v101
	v_cmp_ne_u32_e32 vcc_lo, 1, v42
	s_and_b32 vcc_lo, exec_lo, vcc_lo
	s_waitcnt vmcnt(0) lgkmcnt(0)
	v_mul_f32_e32 v26, v74, v19
	v_mul_f32_e32 v20, v74, v18
	;; [unrolled: 1-line block ×8, first 2 shown]
	v_fmac_f32_e32 v26, v73, v18
	v_fma_f32 v27, v73, v19, -v20
	v_fmac_f32_e32 v28, v71, v18
	v_fma_f32 v29, v71, v19, -v21
	;; [unrolled: 2-line block ×4, first 2 shown]
	ds_read_b128 v[22:25], v100 offset:128
	ds_read_b128 v[18:21], v100 offset:144
	ds_write2_b64 v102, v[26:27], v[28:29] offset1:67
	ds_write2_b64 v102, v[30:31], v[32:33] offset0:134 offset1:201
	s_waitcnt lgkmcnt(0)
	s_barrier
	buffer_gl0_inv
	ds_read2_b64 v[38:41], v103 offset1:1
	ds_read2_b64 v[30:33], v103 offset0:2 offset1:3
	v_add_co_u32 v26, s2, v146, v95
	v_add_co_ci_u32_e64 v27, null, 0, v147, s2
	s_waitcnt lgkmcnt(0)
	s_barrier
	buffer_gl0_inv
	s_cbranch_vccnz .LBB0_180
; %bb.173:                              ;   in Loop: Header=BB0_148 Depth=1
	v_mov_b32_e32 v79, 0
	v_mov_b32_e32 v81, 0
	v_mov_b32_e32 v82, 0
	s_mov_b32 s2, exec_lo
	v_cmpx_gt_i32_e64 s12, v111
	s_cbranch_execz .LBB0_175
; %bb.174:                              ;   in Loop: Header=BB0_148 Depth=1
	global_load_dwordx2 v[81:82], v[26:27], off offset:-4
.LBB0_175:                              ;   in Loop: Header=BB0_148 Depth=1
	s_or_b32 exec_lo, exec_lo, s2
	v_mov_b32_e32 v80, 0
	s_mov_b32 s2, exec_lo
	v_cmpx_gt_i32_e64 s12, v112
	s_cbranch_execz .LBB0_177
; %bb.176:                              ;   in Loop: Header=BB0_148 Depth=1
	v_add_co_u32 v28, vcc_lo, v142, v95
	v_add_co_ci_u32_e64 v29, null, 0, v143, vcc_lo
	global_load_dwordx2 v[79:80], v[28:29], off
.LBB0_177:                              ;   in Loop: Header=BB0_148 Depth=1
	s_or_b32 exec_lo, exec_lo, s2
	v_mov_b32_e32 v83, 0
	v_mov_b32_e32 v84, 0
	s_mov_b32 s2, exec_lo
	v_cmpx_gt_i32_e64 s12, v113
	s_cbranch_execz .LBB0_179
; %bb.178:                              ;   in Loop: Header=BB0_148 Depth=1
	v_add_co_u32 v28, vcc_lo, v138, v95
	v_add_co_ci_u32_e64 v29, null, 0, v139, vcc_lo
	global_load_dwordx2 v[83:84], v[28:29], off
.LBB0_179:                              ;   in Loop: Header=BB0_148 Depth=1
	s_or_b32 exec_lo, exec_lo, s2
	v_cmp_gt_i32_e64 s2, s12, v114
	s_branch .LBB0_182
.LBB0_180:                              ;   in Loop: Header=BB0_148 Depth=1
	s_mov_b32 s2, 0
                                        ; implicit-def: $vgpr82
                                        ; implicit-def: $vgpr80
                                        ; implicit-def: $vgpr84
	s_cbranch_execz .LBB0_182
; %bb.181:                              ;   in Loop: Header=BB0_148 Depth=1
	v_add_co_u32 v28, vcc_lo, v142, v95
	v_add_co_ci_u32_e64 v29, null, 0, v143, vcc_lo
	v_add_co_u32 v34, vcc_lo, v138, v95
	v_add_co_ci_u32_e64 v35, null, 0, v139, vcc_lo
	global_load_dwordx2 v[81:82], v[26:27], off offset:-4
	global_load_dwordx2 v[79:80], v[28:29], off
	global_load_dwordx2 v[83:84], v[34:35], off
	s_or_b32 s2, s2, exec_lo
.LBB0_182:                              ;   in Loop: Header=BB0_148 Depth=1
	v_mov_b32_e32 v85, 0
	v_mov_b32_e32 v86, 0
	s_and_saveexec_b32 s15, s2
	s_cbranch_execz .LBB0_184
; %bb.183:                              ;   in Loop: Header=BB0_148 Depth=1
	v_add_co_u32 v26, vcc_lo, v134, v95
	v_add_co_ci_u32_e64 v27, null, 0, v135, vcc_lo
	global_load_dwordx2 v[85:86], v[26:27], off
.LBB0_184:                              ;   in Loop: Header=BB0_148 Depth=1
	s_or_b32 exec_lo, exec_lo, s15
	ds_read_b64 v[26:27], v101
	v_cmp_ne_u32_e32 vcc_lo, 1, v42
	v_add_co_u32 v42, s2, v130, v95
	s_and_b32 vcc_lo, exec_lo, vcc_lo
	s_waitcnt vmcnt(0) lgkmcnt(0)
	v_mul_f32_e32 v43, v82, v27
	v_mul_f32_e32 v28, v82, v26
	;; [unrolled: 1-line block ×8, first 2 shown]
	v_fmac_f32_e32 v43, v81, v26
	v_fma_f32 v44, v81, v27, -v28
	v_fmac_f32_e32 v45, v79, v26
	v_fma_f32 v46, v79, v27, -v29
	v_fmac_f32_e32 v47, v83, v26
	v_fma_f32 v48, v83, v27, -v34
	v_fmac_f32_e32 v49, v85, v26
	v_fma_f32 v50, v85, v27, -v35
	ds_read_b128 v[34:37], v100 offset:256
	ds_read_b128 v[26:29], v100 offset:272
	ds_write2_b64 v102, v[43:44], v[45:46] offset1:67
	ds_write2_b64 v102, v[47:48], v[49:50] offset0:134 offset1:201
	s_waitcnt lgkmcnt(0)
	s_barrier
	buffer_gl0_inv
	ds_read2_b64 v[54:57], v103 offset1:1
	ds_read2_b64 v[50:53], v103 offset0:2 offset1:3
	v_add_co_ci_u32_e64 v43, null, 0, v131, s2
	s_waitcnt lgkmcnt(0)
	s_barrier
	buffer_gl0_inv
	s_cbranch_vccnz .LBB0_192
; %bb.185:                              ;   in Loop: Header=BB0_148 Depth=1
	v_mov_b32_e32 v89, 0
	v_mov_b32_e32 v87, 0
	;; [unrolled: 1-line block ×3, first 2 shown]
	s_mov_b32 s2, exec_lo
	v_cmpx_gt_i32_e64 s12, v115
	s_cbranch_execz .LBB0_187
; %bb.186:                              ;   in Loop: Header=BB0_148 Depth=1
	global_load_dwordx2 v[87:88], v[42:43], off
.LBB0_187:                              ;   in Loop: Header=BB0_148 Depth=1
	s_or_b32 exec_lo, exec_lo, s2
	v_mov_b32_e32 v90, 0
	s_mov_b32 s2, exec_lo
	v_cmpx_gt_i32_e64 s12, v148
	s_cbranch_execz .LBB0_189
; %bb.188:                              ;   in Loop: Header=BB0_148 Depth=1
	v_add_co_u32 v44, vcc_lo, v126, v95
	v_add_co_ci_u32_e64 v45, null, 0, v127, vcc_lo
	global_load_dwordx2 v[89:90], v[44:45], off
.LBB0_189:                              ;   in Loop: Header=BB0_148 Depth=1
	s_or_b32 exec_lo, exec_lo, s2
	v_mov_b32_e32 v91, 0
	v_mov_b32_e32 v92, 0
	s_mov_b32 s2, exec_lo
	v_cmpx_gt_i32_e64 s12, v149
	s_cbranch_execz .LBB0_191
; %bb.190:                              ;   in Loop: Header=BB0_148 Depth=1
	v_add_co_u32 v44, vcc_lo, v122, v95
	v_add_co_ci_u32_e64 v45, null, 0, v123, vcc_lo
	global_load_dwordx2 v[91:92], v[44:45], off
.LBB0_191:                              ;   in Loop: Header=BB0_148 Depth=1
	s_or_b32 exec_lo, exec_lo, s2
	v_cmp_gt_i32_e64 s2, s12, v151
	s_branch .LBB0_194
.LBB0_192:                              ;   in Loop: Header=BB0_148 Depth=1
	s_mov_b32 s2, 0
                                        ; implicit-def: $vgpr88
                                        ; implicit-def: $vgpr90
                                        ; implicit-def: $vgpr92
	s_cbranch_execz .LBB0_194
; %bb.193:                              ;   in Loop: Header=BB0_148 Depth=1
	v_add_co_u32 v44, vcc_lo, v126, v95
	v_add_co_ci_u32_e64 v45, null, 0, v127, vcc_lo
	v_add_co_u32 v46, vcc_lo, v122, v95
	v_add_co_ci_u32_e64 v47, null, 0, v123, vcc_lo
	global_load_dwordx2 v[87:88], v[42:43], off
	global_load_dwordx2 v[89:90], v[44:45], off
	;; [unrolled: 1-line block ×3, first 2 shown]
	s_or_b32 s2, s2, exec_lo
.LBB0_194:                              ;   in Loop: Header=BB0_148 Depth=1
	v_mov_b32_e32 v93, 0
	v_mov_b32_e32 v94, 0
	s_and_saveexec_b32 s15, s2
	s_cbranch_execz .LBB0_196
; %bb.195:                              ;   in Loop: Header=BB0_148 Depth=1
	v_add_co_u32 v42, vcc_lo, v118, v95
	v_add_co_ci_u32_e64 v43, null, 0, v119, vcc_lo
	global_load_dwordx2 v[93:94], v[42:43], off
.LBB0_196:                              ;   in Loop: Header=BB0_148 Depth=1
	s_or_b32 exec_lo, exec_lo, s15
	ds_read_b64 v[42:43], v101
	v_add_f32_e32 v54, 0, v54
	v_add_f32_e32 v55, 0, v55
	;; [unrolled: 1-line block ×6, first 2 shown]
	v_cmp_gt_i32_e32 vcc_lo, s12, v0
	v_add_f32_e32 v38, v38, v40
	v_add_f32_e32 v15, v15, v17
	v_add_f32_e32 v39, v39, v41
	v_add_f32_e32 v14, v14, v16
	s_or_b32 s2, s13, vcc_lo
	v_add_f32_e32 v30, v38, v30
	v_add_f32_e32 v41, v15, v11
	v_add_f32_e32 v31, v39, v31
	v_add_f32_e32 v39, v14, v10
	s_and_b32 s12, s1, s2
	v_add_f32_e32 v14, v30, v32
	v_add_f32_e32 v13, v41, v13
	s_waitcnt vmcnt(0) lgkmcnt(0)
	v_mul_f32_e32 v152, v88, v43
	v_mul_f32_e32 v44, v88, v42
	;; [unrolled: 1-line block ×8, first 2 shown]
	v_fmac_f32_e32 v152, v87, v42
	v_fma_f32 v153, v87, v43, -v44
	v_fmac_f32_e32 v154, v89, v42
	v_fma_f32 v155, v89, v43, -v45
	;; [unrolled: 2-line block ×4, first 2 shown]
	ds_read_b128 v[46:49], v100 offset:384
	ds_read_b128 v[42:45], v100 offset:400
	ds_write2_b64 v102, v[152:153], v[154:155] offset1:67
	ds_write2_b64 v102, v[156:157], v[158:159] offset0:134 offset1:201
	s_waitcnt lgkmcnt(0)
	s_barrier
	buffer_gl0_inv
	ds_read2_b64 v[152:155], v103 offset1:1
	v_add_f32_e32 v156, v54, v56
	v_add_f32_e32 v157, v55, v57
	ds_read2_b64 v[54:57], v103 offset0:2 offset1:3
	v_add_f32_e32 v12, v39, v12
	s_waitcnt lgkmcnt(0)
	v_add_f32_e32 v16, v156, v50
	v_add_f32_e32 v17, v157, v51
	s_barrier
	buffer_gl0_inv
	v_add_f32_e32 v10, v16, v52
	v_add_f32_e32 v11, v17, v53
	;; [unrolled: 1-line block ×11, first 2 shown]
	ds_write2_b64 v150, v[12:13], v[14:15] offset1:16
	ds_write2_b64 v150, v[10:11], v[16:17] offset0:32 offset1:48
	s_waitcnt lgkmcnt(0)
	s_barrier
	buffer_gl0_inv
	s_and_saveexec_b32 s2, s12
	s_cbranch_execz .LBB0_198
; %bb.197:                              ;   in Loop: Header=BB0_148 Depth=1
	ds_read_b64 v[38:39], v104
	ds_read2_b64 v[10:13], v104 offset0:1 offset1:2
	ds_read2_b64 v[14:17], v104 offset0:3 offset1:4
	;; [unrolled: 1-line block ×3, first 2 shown]
	s_waitcnt lgkmcnt(2)
	v_add_f32_e32 v10, v10, v38
	v_add_f32_e32 v11, v11, v39
	v_add_f32_e32 v38, v12, v10
	v_add_f32_e32 v39, v13, v11
	ds_read2_b64 v[10:13], v104 offset0:7 offset1:8
	s_waitcnt lgkmcnt(2)
	v_add_f32_e32 v14, v38, v14
	v_add_f32_e32 v15, v39, v15
	v_add_f32_e32 v38, v14, v16
	v_add_f32_e32 v39, v15, v17
	ds_read2_b64 v[14:17], v104 offset0:9 offset1:10
	;; [unrolled: 6-line block ×4, first 2 shown]
	s_waitcnt lgkmcnt(2)
	v_add_f32_e32 v14, v38, v14
	v_add_f32_e32 v15, v39, v15
	;; [unrolled: 1-line block ×4, first 2 shown]
	ds_read_b64 v[14:15], v105
	s_waitcnt lgkmcnt(2)
	v_add_f32_e32 v16, v16, v30
	v_add_f32_e32 v17, v17, v31
	;; [unrolled: 1-line block ×4, first 2 shown]
	v_add_nc_u32_e32 v16, s11, v0
	s_waitcnt lgkmcnt(1)
	v_add_f32_e32 v10, v30, v10
	v_add_f32_e32 v11, v17, v11
	v_ashrrev_i32_e32 v17, 31, v16
	v_add_f32_e32 v12, v10, v12
	v_add_f32_e32 v13, v11, v13
	v_lshlrev_b64 v[10:11], 3, v[16:17]
	s_waitcnt lgkmcnt(0)
	v_add_f32_e32 v12, v12, v14
	v_add_f32_e32 v13, v13, v15
	v_add_co_u32 v10, vcc_lo, s3, v10
	v_add_co_ci_u32_e64 v11, null, s7, v11, vcc_lo
	global_store_dwordx2 v[10:11], v[12:13], off
.LBB0_198:                              ;   in Loop: Header=BB0_148 Depth=1
	s_or_b32 exec_lo, exec_lo, s2
	v_mul_f32_e32 v10, v64, v7
	v_mul_f32_e32 v7, v63, v7
	;; [unrolled: 1-line block ×5, first 2 shown]
	v_fma_f32 v10, v63, v6, -v10
	v_fmac_f32_e32 v7, v64, v6
	v_fma_f32 v11, v65, v8, -v11
	v_mul_f32_e32 v3, v67, v3
	v_mul_f32_e32 v13, v70, v5
	v_add_f32_e32 v10, v60, v10
	v_fma_f32 v6, v67, v2, -v12
	v_fmac_f32_e32 v9, v66, v8
	v_add_f32_e32 v7, v61, v7
	v_mul_f32_e32 v5, v69, v5
	v_add_f32_e32 v10, v10, v11
	v_mul_f32_e32 v14, v74, v23
	v_fma_f32 v8, v69, v4, -v13
	v_fmac_f32_e32 v3, v68, v2
	v_add_f32_e32 v2, v7, v9
	v_add_f32_e32 v6, v10, v6
	v_mul_f32_e32 v15, v73, v23
	v_mul_f32_e32 v11, v72, v25
	v_fma_f32 v7, v73, v22, -v14
	v_fmac_f32_e32 v5, v70, v4
	v_add_f32_e32 v6, v6, v8
	v_add_f32_e32 v2, v2, v3
	v_mul_f32_e32 v10, v71, v25
	v_mul_f32_e32 v8, v76, v19
	v_fma_f32 v3, v71, v24, -v11
	v_add_f32_e32 v4, v6, v7
	v_fmac_f32_e32 v15, v74, v22
	v_add_f32_e32 v2, v2, v5
	v_mul_f32_e32 v6, v78, v21
	v_fma_f32 v5, v75, v18, -v8
	v_add_f32_e32 v3, v4, v3
	v_mul_f32_e32 v4, v75, v19
	v_fmac_f32_e32 v10, v72, v24
	v_add_f32_e32 v2, v2, v15
	v_fma_f32 v6, v77, v20, -v6
	v_add_f32_e32 v3, v3, v5
	v_mul_f32_e32 v5, v82, v35
	v_fmac_f32_e32 v4, v76, v18
	v_add_f32_e32 v2, v2, v10
	v_mul_f32_e32 v7, v77, v21
	v_add_f32_e32 v3, v3, v6
	v_fma_f32 v5, v81, v34, -v5
	v_mul_f32_e32 v6, v80, v37
	v_add_f32_e32 v2, v2, v4
	v_fmac_f32_e32 v7, v78, v20
	v_mul_f32_e32 v4, v81, v35
	v_add_f32_e32 v3, v3, v5
	v_fma_f32 v5, v79, v36, -v6
	v_mul_f32_e32 v6, v84, v27
	v_add_f32_e32 v2, v2, v7
	v_fmac_f32_e32 v4, v82, v34
	;; [unrolled: 6-line block ×3, first 2 shown]
	v_mul_f32_e32 v4, v83, v27
	v_add_co_u32 v116, vcc_lo, v116, s4
	v_add_f32_e32 v3, v3, v5
	v_fma_f32 v5, v85, v28, -v6
	v_add_f32_e32 v2, v2, v7
	v_fmac_f32_e32 v4, v84, v26
	v_mul_f32_e32 v6, v88, v47
	v_mul_f32_e32 v7, v85, v29
	v_add_co_ci_u32_e64 v117, null, s5, v117, vcc_lo
	v_add_co_u32 v118, vcc_lo, v118, s4
	v_add_co_ci_u32_e64 v119, null, s5, v119, vcc_lo
	v_add_co_u32 v120, vcc_lo, v120, s4
	;; [unrolled: 2-line block ×3, first 2 shown]
	v_add_f32_e32 v3, v3, v5
	v_add_f32_e32 v2, v2, v4
	v_fma_f32 v4, v87, v46, -v6
	v_mul_f32_e32 v5, v90, v49
	v_fmac_f32_e32 v7, v86, v28
	v_mul_f32_e32 v6, v87, v47
	v_add_co_ci_u32_e64 v123, null, s5, v123, vcc_lo
	v_add_co_u32 v124, vcc_lo, v124, s4
	v_add_co_ci_u32_e64 v125, null, s5, v125, vcc_lo
	v_add_co_u32 v126, vcc_lo, v126, s4
	v_add_f32_e32 v3, v3, v4
	v_fma_f32 v4, v89, v48, -v5
	v_add_f32_e32 v2, v2, v7
	v_mul_f32_e32 v5, v89, v49
	v_fmac_f32_e32 v6, v88, v46
	v_add_co_ci_u32_e64 v127, null, s5, v127, vcc_lo
	v_add_co_u32 v128, vcc_lo, v128, s4
	v_add_co_ci_u32_e64 v129, null, s5, v129, vcc_lo
	v_add_co_u32 v130, vcc_lo, v130, s4
	;; [unrolled: 2-line block ×3, first 2 shown]
	v_mul_f32_e32 v7, v92, v43
	v_add_f32_e32 v3, v3, v4
	v_mul_f32_e32 v4, v91, v43
	v_fmac_f32_e32 v5, v90, v48
	v_add_f32_e32 v2, v2, v6
	v_add_co_ci_u32_e64 v133, null, s5, v133, vcc_lo
	v_add_co_u32 v134, vcc_lo, v134, s4
	v_add_co_ci_u32_e64 v135, null, s5, v135, vcc_lo
	v_add_co_u32 v136, vcc_lo, v136, s4
	v_fma_f32 v6, v91, v42, -v7
	v_mul_f32_e32 v7, v94, v45
	v_mul_f32_e32 v8, v93, v45
	v_fmac_f32_e32 v4, v92, v42
	v_add_f32_e32 v2, v2, v5
	v_add_co_ci_u32_e64 v137, null, s5, v137, vcc_lo
	v_add_co_u32 v138, vcc_lo, v138, s4
	v_add_co_ci_u32_e64 v139, null, s5, v139, vcc_lo
	v_add_co_u32 v140, vcc_lo, v140, s4
	;; [unrolled: 2-line block ×3, first 2 shown]
	v_add_f32_e32 v3, v3, v6
	v_fma_f32 v5, v93, v44, -v7
	v_fmac_f32_e32 v8, v94, v44
	v_add_f32_e32 v2, v2, v4
	v_add_co_ci_u32_e64 v143, null, s5, v143, vcc_lo
	v_add_co_u32 v144, vcc_lo, v144, s4
	v_add_co_ci_u32_e64 v145, null, s5, v145, vcc_lo
	v_add_co_u32 v146, vcc_lo, v146, s4
	v_add_f32_e32 v60, v3, v5
	v_add_f32_e32 v61, v2, v8
	v_add_co_ci_u32_e64 v147, null, s5, v147, vcc_lo
	s_add_i32 s2, s6, 1
	s_add_i32 s6, s6, 2
	;; [unrolled: 1-line block ×3, first 2 shown]
	s_cmp_ge_u32 s6, s9
	s_waitcnt_vscnt null, 0x0
	s_barrier
	buffer_gl0_inv
	s_cbranch_scc1 .LBB0_200
; %bb.199:                              ;   in Loop: Header=BB0_148 Depth=1
	s_mov_b32 s6, s2
	s_cmp_eq_u32 s8, s6
	s_cselect_b32 s12, s22, 0
	s_and_saveexec_b32 s2, s0
	s_cbranch_execnz .LBB0_144
	s_branch .LBB0_148
.LBB0_200:
	v_cmp_gt_i32_e32 vcc_lo, s10, v0
	v_mad_u32_u24 v1, 0x218, v1, v95
	s_or_b32 s1, s14, vcc_lo
	ds_write_b64 v1, v[60:61]
	s_and_b32 s0, s0, s1
	s_waitcnt lgkmcnt(0)
	s_barrier
	buffer_gl0_inv
	s_and_saveexec_b32 s1, s0
	s_cbranch_execz .LBB0_202
; %bb.201:
	ds_read2_b64 v[0:3], v95 offset1:67
	ds_read2_b64 v[4:7], v95 offset0:134 offset1:201
	s_waitcnt lgkmcnt(1)
	v_add_f32_e32 v0, v2, v0
	v_add_f32_e32 v1, v3, v1
	s_waitcnt lgkmcnt(0)
	v_add_f32_e32 v2, v4, v0
	v_add_f32_e32 v3, v5, v1
	v_lshlrev_b64 v[0:1], 3, v[58:59]
	v_add_f32_e32 v2, v2, v6
	v_add_f32_e32 v3, v3, v7
	v_add_co_u32 v0, vcc_lo, s3, v0
	v_add_co_ci_u32_e64 v1, null, s7, v1, vcc_lo
	global_store_dwordx2 v[0:1], v[2:3], off
.LBB0_202:
	s_endpgm
	.section	.rodata,"a",@progbits
	.p2align	6, 0x0
	.amdhsa_kernel _ZL26rocblas_hemvn_kernel_upperILb1ELi64ELi4ELi33ELi32ELi16ElPK19rocblas_complex_numIfES3_PS1_EviT6_lT7_lT5_lS6_lS7_lS5_lT8_i
		.amdhsa_group_segment_fixed_size 9600
		.amdhsa_private_segment_fixed_size 0
		.amdhsa_kernarg_size 376
		.amdhsa_user_sgpr_count 6
		.amdhsa_user_sgpr_private_segment_buffer 1
		.amdhsa_user_sgpr_dispatch_ptr 0
		.amdhsa_user_sgpr_queue_ptr 0
		.amdhsa_user_sgpr_kernarg_segment_ptr 1
		.amdhsa_user_sgpr_dispatch_id 0
		.amdhsa_user_sgpr_flat_scratch_init 0
		.amdhsa_user_sgpr_private_segment_size 0
		.amdhsa_wavefront_size32 1
		.amdhsa_uses_dynamic_stack 0
		.amdhsa_system_sgpr_private_segment_wavefront_offset 0
		.amdhsa_system_sgpr_workgroup_id_x 1
		.amdhsa_system_sgpr_workgroup_id_y 0
		.amdhsa_system_sgpr_workgroup_id_z 1
		.amdhsa_system_sgpr_workgroup_info 0
		.amdhsa_system_vgpr_workitem_id 1
		.amdhsa_next_free_vgpr 160
		.amdhsa_next_free_sgpr 36
		.amdhsa_reserve_vcc 1
		.amdhsa_reserve_flat_scratch 0
		.amdhsa_float_round_mode_32 0
		.amdhsa_float_round_mode_16_64 0
		.amdhsa_float_denorm_mode_32 3
		.amdhsa_float_denorm_mode_16_64 3
		.amdhsa_dx10_clamp 1
		.amdhsa_ieee_mode 1
		.amdhsa_fp16_overflow 0
		.amdhsa_workgroup_processor_mode 1
		.amdhsa_memory_ordered 1
		.amdhsa_forward_progress 1
		.amdhsa_shared_vgpr_count 0
		.amdhsa_exception_fp_ieee_invalid_op 0
		.amdhsa_exception_fp_denorm_src 0
		.amdhsa_exception_fp_ieee_div_zero 0
		.amdhsa_exception_fp_ieee_overflow 0
		.amdhsa_exception_fp_ieee_underflow 0
		.amdhsa_exception_fp_ieee_inexact 0
		.amdhsa_exception_int_div_zero 0
	.end_amdhsa_kernel
	.section	.text._ZL26rocblas_hemvn_kernel_upperILb1ELi64ELi4ELi33ELi32ELi16ElPK19rocblas_complex_numIfES3_PS1_EviT6_lT7_lT5_lS6_lS7_lS5_lT8_i,"axG",@progbits,_ZL26rocblas_hemvn_kernel_upperILb1ELi64ELi4ELi33ELi32ELi16ElPK19rocblas_complex_numIfES3_PS1_EviT6_lT7_lT5_lS6_lS7_lS5_lT8_i,comdat
.Lfunc_end0:
	.size	_ZL26rocblas_hemvn_kernel_upperILb1ELi64ELi4ELi33ELi32ELi16ElPK19rocblas_complex_numIfES3_PS1_EviT6_lT7_lT5_lS6_lS7_lS5_lT8_i, .Lfunc_end0-_ZL26rocblas_hemvn_kernel_upperILb1ELi64ELi4ELi33ELi32ELi16ElPK19rocblas_complex_numIfES3_PS1_EviT6_lT7_lT5_lS6_lS7_lS5_lT8_i
                                        ; -- End function
	.set _ZL26rocblas_hemvn_kernel_upperILb1ELi64ELi4ELi33ELi32ELi16ElPK19rocblas_complex_numIfES3_PS1_EviT6_lT7_lT5_lS6_lS7_lS5_lT8_i.num_vgpr, 160
	.set _ZL26rocblas_hemvn_kernel_upperILb1ELi64ELi4ELi33ELi32ELi16ElPK19rocblas_complex_numIfES3_PS1_EviT6_lT7_lT5_lS6_lS7_lS5_lT8_i.num_agpr, 0
	.set _ZL26rocblas_hemvn_kernel_upperILb1ELi64ELi4ELi33ELi32ELi16ElPK19rocblas_complex_numIfES3_PS1_EviT6_lT7_lT5_lS6_lS7_lS5_lT8_i.numbered_sgpr, 36
	.set _ZL26rocblas_hemvn_kernel_upperILb1ELi64ELi4ELi33ELi32ELi16ElPK19rocblas_complex_numIfES3_PS1_EviT6_lT7_lT5_lS6_lS7_lS5_lT8_i.num_named_barrier, 0
	.set _ZL26rocblas_hemvn_kernel_upperILb1ELi64ELi4ELi33ELi32ELi16ElPK19rocblas_complex_numIfES3_PS1_EviT6_lT7_lT5_lS6_lS7_lS5_lT8_i.private_seg_size, 0
	.set _ZL26rocblas_hemvn_kernel_upperILb1ELi64ELi4ELi33ELi32ELi16ElPK19rocblas_complex_numIfES3_PS1_EviT6_lT7_lT5_lS6_lS7_lS5_lT8_i.uses_vcc, 1
	.set _ZL26rocblas_hemvn_kernel_upperILb1ELi64ELi4ELi33ELi32ELi16ElPK19rocblas_complex_numIfES3_PS1_EviT6_lT7_lT5_lS6_lS7_lS5_lT8_i.uses_flat_scratch, 0
	.set _ZL26rocblas_hemvn_kernel_upperILb1ELi64ELi4ELi33ELi32ELi16ElPK19rocblas_complex_numIfES3_PS1_EviT6_lT7_lT5_lS6_lS7_lS5_lT8_i.has_dyn_sized_stack, 0
	.set _ZL26rocblas_hemvn_kernel_upperILb1ELi64ELi4ELi33ELi32ELi16ElPK19rocblas_complex_numIfES3_PS1_EviT6_lT7_lT5_lS6_lS7_lS5_lT8_i.has_recursion, 0
	.set _ZL26rocblas_hemvn_kernel_upperILb1ELi64ELi4ELi33ELi32ELi16ElPK19rocblas_complex_numIfES3_PS1_EviT6_lT7_lT5_lS6_lS7_lS5_lT8_i.has_indirect_call, 0
	.section	.AMDGPU.csdata,"",@progbits
; Kernel info:
; codeLenInByte = 10148
; TotalNumSgprs: 38
; NumVgprs: 160
; ScratchSize: 0
; MemoryBound: 1
; FloatMode: 240
; IeeeMode: 1
; LDSByteSize: 9600 bytes/workgroup (compile time only)
; SGPRBlocks: 0
; VGPRBlocks: 19
; NumSGPRsForWavesPerEU: 38
; NumVGPRsForWavesPerEU: 160
; Occupancy: 6
; WaveLimiterHint : 0
; COMPUTE_PGM_RSRC2:SCRATCH_EN: 0
; COMPUTE_PGM_RSRC2:USER_SGPR: 6
; COMPUTE_PGM_RSRC2:TRAP_HANDLER: 0
; COMPUTE_PGM_RSRC2:TGID_X_EN: 1
; COMPUTE_PGM_RSRC2:TGID_Y_EN: 0
; COMPUTE_PGM_RSRC2:TGID_Z_EN: 1
; COMPUTE_PGM_RSRC2:TIDIG_COMP_CNT: 1
	.section	.text._ZL36rocblas_hemvn_kernel_upper_block_sumILi64ElPK19rocblas_complex_numIfEPS1_S1_EviT1_lS5_lT2_lT0_lPT3_i,"axG",@progbits,_ZL36rocblas_hemvn_kernel_upper_block_sumILi64ElPK19rocblas_complex_numIfEPS1_S1_EviT1_lS5_lT2_lT0_lPT3_i,comdat
	.globl	_ZL36rocblas_hemvn_kernel_upper_block_sumILi64ElPK19rocblas_complex_numIfEPS1_S1_EviT1_lS5_lT2_lT0_lPT3_i ; -- Begin function _ZL36rocblas_hemvn_kernel_upper_block_sumILi64ElPK19rocblas_complex_numIfEPS1_S1_EviT1_lS5_lT2_lT0_lPT3_i
	.p2align	8
	.type	_ZL36rocblas_hemvn_kernel_upper_block_sumILi64ElPK19rocblas_complex_numIfEPS1_S1_EviT1_lS5_lT2_lT0_lPT3_i,@function
_ZL36rocblas_hemvn_kernel_upper_block_sumILi64ElPK19rocblas_complex_numIfEPS1_S1_EviT1_lS5_lT2_lT0_lPT3_i: ; @_ZL36rocblas_hemvn_kernel_upper_block_sumILi64ElPK19rocblas_complex_numIfEPS1_S1_EviT1_lS5_lT2_lT0_lPT3_i
; %bb.0:
	s_load_dwordx8 s[8:15], s[4:5], 0x8
	s_waitcnt lgkmcnt(0)
	s_mul_i32 s1, s11, s7
	s_mul_hi_u32 s2, s10, s7
	s_mul_i32 s0, s10, s7
	s_add_i32 s1, s2, s1
	s_mul_i32 s2, s15, s7
	s_lshl_b64 s[0:1], s[0:1], 3
	s_add_u32 s0, s8, s0
	s_addc_u32 s1, s9, s1
	s_load_dwordx2 s[16:17], s[0:1], 0x0
	s_mul_hi_u32 s1, s14, s7
	s_mul_i32 s0, s14, s7
	s_add_i32 s1, s1, s2
	s_lshl_b64 s[0:1], s[0:1], 3
	s_add_u32 s0, s12, s0
	s_addc_u32 s1, s13, s1
	s_load_dwordx2 s[2:3], s[0:1], 0x0
	s_waitcnt lgkmcnt(0)
	s_or_b32 s0, s16, s17
	s_bitset0_b32 s0, 31
	s_cmp_eq_u32 s0, 0
	s_cselect_b32 s1, -1, 0
	s_cmp_lg_u32 s0, 0
	s_mov_b32 s0, -1
	s_cbranch_scc1 .LBB1_2
; %bb.1:
	v_cmp_neq_f32_e64 s0, s2, 1.0
	v_cmp_neq_f32_e64 s8, s3, 0
	s_or_b32 s0, s0, s8
.LBB1_2:
	s_andn2_b32 vcc_lo, exec_lo, s0
	s_cbranch_vccnz .LBB1_19
; %bb.3:
	s_clause 0x2
	s_load_dwordx8 s[8:15], s[4:5], 0x30
	s_load_dwordx2 s[20:21], s[4:5], 0x28
	s_load_dword s18, s[4:5], 0x0
	v_lshl_or_b32 v0, s6, 6, v0
	s_waitcnt lgkmcnt(0)
	s_mul_i32 s0, s13, s7
	s_mul_hi_u32 s13, s12, s7
	s_mul_i32 s12, s12, s7
	s_add_i32 s13, s13, s0
	v_cmp_gt_i32_e64 s0, s18, v0
	s_lshl_b64 s[12:13], s[12:13], 3
	s_add_u32 s12, s20, s12
	s_addc_u32 s13, s21, s13
	s_lshl_b64 s[8:9], s[8:9], 3
	s_add_u32 s8, s12, s8
	s_addc_u32 s9, s13, s9
	s_andn2_b32 vcc_lo, exec_lo, s1
	s_mov_b32 s1, -1
	s_cbranch_vccnz .LBB1_9
; %bb.4:
	s_and_saveexec_b32 s1, s0
	s_cbranch_execz .LBB1_8
; %bb.5:
	v_ashrrev_i32_e32 v1, 31, v0
	v_mul_lo_u32 v3, s11, v0
	v_cmp_neq_f32_e64 s0, s2, 0
	v_cmp_neq_f32_e64 s12, s3, 0
	v_mul_lo_u32 v4, s10, v1
	v_mad_u64_u32 v[1:2], null, s10, v0, 0
	s_or_b32 s0, s0, s12
	s_andn2_b32 vcc_lo, exec_lo, s0
	v_add3_u32 v2, v2, v4, v3
	v_mov_b32_e32 v3, 0
	v_mov_b32_e32 v4, 0
	v_lshlrev_b64 v[1:2], 3, v[1:2]
	s_cbranch_vccnz .LBB1_7
; %bb.6:
	v_add_co_u32 v3, vcc_lo, s8, v1
	v_add_co_ci_u32_e64 v4, null, s9, v2, vcc_lo
	global_load_dwordx2 v[5:6], v[3:4], off
	s_waitcnt vmcnt(0)
	v_mul_f32_e32 v3, s3, v6
	v_mul_f32_e32 v4, s2, v6
	v_fma_f32 v3, v5, s2, -v3
	v_fmac_f32_e32 v4, s3, v5
.LBB1_7:
	v_add_co_u32 v1, vcc_lo, s8, v1
	v_add_co_ci_u32_e64 v2, null, s9, v2, vcc_lo
	global_store_dwordx2 v[1:2], v[3:4], off
.LBB1_8:
	s_or_b32 exec_lo, exec_lo, s1
	s_mov_b32 s1, 0
.LBB1_9:
	s_andn2_b32 vcc_lo, exec_lo, s1
	s_cbranch_vccnz .LBB1_19
; %bb.10:
	s_mov_b32 s0, exec_lo
	v_cmpx_gt_i32_e64 s18, v0
	s_cbranch_execz .LBB1_19
; %bb.11:
	v_ashrrev_i32_e32 v1, 31, v0
	v_mov_b32_e32 v4, 0
	v_mov_b32_e32 v5, 0
	s_cmp_lt_i32 s6, 0
	s_cbranch_scc1 .LBB1_14
; %bb.12:
	s_load_dword s0, s[4:5], 0x58
	s_ashr_i32 s19, s18, 31
	s_mul_hi_u32 s1, s18, s7
	s_mul_i32 s4, s19, s7
	v_lshlrev_b64 v[2:3], 3, v[0:1]
	s_add_i32 s1, s1, s4
	s_mul_i32 s4, s18, s7
	v_mov_b32_e32 v4, 0
	v_mov_b32_e32 v5, 0
	s_waitcnt lgkmcnt(0)
	s_mul_i32 s1, s1, s0
	s_mul_hi_u32 s5, s4, s0
	s_mul_i32 s0, s4, s0
	s_add_i32 s1, s5, s1
	s_add_i32 s4, s6, 1
	s_lshl_b64 s[0:1], s[0:1], 3
	s_add_u32 s0, s14, s0
	s_addc_u32 s1, s15, s1
	v_add_co_u32 v2, vcc_lo, s0, v2
	v_add_co_ci_u32_e64 v3, null, s1, v3, vcc_lo
	s_lshl_b64 s[0:1], s[18:19], 3
	v_add_co_u32 v2, vcc_lo, v2, 4
	v_add_co_ci_u32_e64 v3, null, 0, v3, vcc_lo
.LBB1_13:                               ; =>This Inner Loop Header: Depth=1
	global_load_dwordx2 v[6:7], v[2:3], off offset:-4
	v_add_co_u32 v2, vcc_lo, v2, s0
	v_add_co_ci_u32_e64 v3, null, s1, v3, vcc_lo
	s_add_i32 s4, s4, -1
	s_cmp_eq_u32 s4, 0
	s_waitcnt vmcnt(0)
	v_add_f32_e32 v5, v5, v6
	v_add_f32_e32 v4, v4, v7
	s_cbranch_scc0 .LBB1_13
.LBB1_14:
	v_mul_f32_e32 v3, s17, v4
	v_mul_f32_e32 v2, s16, v4
	v_cmp_neq_f32_e64 s0, s2, 0
	v_cmp_neq_f32_e64 s1, s3, 0
	v_mul_lo_u32 v6, s11, v0
	v_mul_lo_u32 v7, s10, v1
	v_fma_f32 v1, v5, s16, -v3
	v_fmac_f32_e32 v2, s17, v5
	s_or_b32 s0, s0, s1
	s_andn2_b32 vcc_lo, exec_lo, s0
	s_mov_b32 s0, 0
	s_cbranch_vccz .LBB1_16
; %bb.15:
	v_mad_u64_u32 v[3:4], null, s10, v0, 0
	v_add3_u32 v4, v4, v7, v6
	s_andn2_b32 vcc_lo, exec_lo, s0
	s_cbranch_vccz .LBB1_17
	s_branch .LBB1_18
.LBB1_16:
                                        ; implicit-def: $vgpr3_vgpr4
.LBB1_17:
	v_mad_u64_u32 v[3:4], null, s10, v0, 0
	v_add3_u32 v4, v4, v7, v6
	v_lshlrev_b64 v[5:6], 3, v[3:4]
	v_add_co_u32 v5, vcc_lo, s8, v5
	v_add_co_ci_u32_e64 v6, null, s9, v6, vcc_lo
	global_load_dwordx2 v[5:6], v[5:6], off
	s_waitcnt vmcnt(0)
	v_mul_f32_e32 v0, s3, v6
	v_mul_f32_e32 v6, s2, v6
	v_fma_f32 v0, v5, s2, -v0
	v_fmac_f32_e32 v6, s3, v5
	v_add_f32_e32 v1, v1, v0
	v_add_f32_e32 v2, v2, v6
.LBB1_18:
	v_lshlrev_b64 v[3:4], 3, v[3:4]
	v_add_co_u32 v3, vcc_lo, s8, v3
	v_add_co_ci_u32_e64 v4, null, s9, v4, vcc_lo
	global_store_dwordx2 v[3:4], v[1:2], off
.LBB1_19:
	s_endpgm
	.section	.rodata,"a",@progbits
	.p2align	6, 0x0
	.amdhsa_kernel _ZL36rocblas_hemvn_kernel_upper_block_sumILi64ElPK19rocblas_complex_numIfEPS1_S1_EviT1_lS5_lT2_lT0_lPT3_i
		.amdhsa_group_segment_fixed_size 0
		.amdhsa_private_segment_fixed_size 0
		.amdhsa_kernarg_size 344
		.amdhsa_user_sgpr_count 6
		.amdhsa_user_sgpr_private_segment_buffer 1
		.amdhsa_user_sgpr_dispatch_ptr 0
		.amdhsa_user_sgpr_queue_ptr 0
		.amdhsa_user_sgpr_kernarg_segment_ptr 1
		.amdhsa_user_sgpr_dispatch_id 0
		.amdhsa_user_sgpr_flat_scratch_init 0
		.amdhsa_user_sgpr_private_segment_size 0
		.amdhsa_wavefront_size32 1
		.amdhsa_uses_dynamic_stack 0
		.amdhsa_system_sgpr_private_segment_wavefront_offset 0
		.amdhsa_system_sgpr_workgroup_id_x 1
		.amdhsa_system_sgpr_workgroup_id_y 0
		.amdhsa_system_sgpr_workgroup_id_z 1
		.amdhsa_system_sgpr_workgroup_info 0
		.amdhsa_system_vgpr_workitem_id 0
		.amdhsa_next_free_vgpr 8
		.amdhsa_next_free_sgpr 22
		.amdhsa_reserve_vcc 1
		.amdhsa_reserve_flat_scratch 0
		.amdhsa_float_round_mode_32 0
		.amdhsa_float_round_mode_16_64 0
		.amdhsa_float_denorm_mode_32 3
		.amdhsa_float_denorm_mode_16_64 3
		.amdhsa_dx10_clamp 1
		.amdhsa_ieee_mode 1
		.amdhsa_fp16_overflow 0
		.amdhsa_workgroup_processor_mode 1
		.amdhsa_memory_ordered 1
		.amdhsa_forward_progress 1
		.amdhsa_shared_vgpr_count 0
		.amdhsa_exception_fp_ieee_invalid_op 0
		.amdhsa_exception_fp_denorm_src 0
		.amdhsa_exception_fp_ieee_div_zero 0
		.amdhsa_exception_fp_ieee_overflow 0
		.amdhsa_exception_fp_ieee_underflow 0
		.amdhsa_exception_fp_ieee_inexact 0
		.amdhsa_exception_int_div_zero 0
	.end_amdhsa_kernel
	.section	.text._ZL36rocblas_hemvn_kernel_upper_block_sumILi64ElPK19rocblas_complex_numIfEPS1_S1_EviT1_lS5_lT2_lT0_lPT3_i,"axG",@progbits,_ZL36rocblas_hemvn_kernel_upper_block_sumILi64ElPK19rocblas_complex_numIfEPS1_S1_EviT1_lS5_lT2_lT0_lPT3_i,comdat
.Lfunc_end1:
	.size	_ZL36rocblas_hemvn_kernel_upper_block_sumILi64ElPK19rocblas_complex_numIfEPS1_S1_EviT1_lS5_lT2_lT0_lPT3_i, .Lfunc_end1-_ZL36rocblas_hemvn_kernel_upper_block_sumILi64ElPK19rocblas_complex_numIfEPS1_S1_EviT1_lS5_lT2_lT0_lPT3_i
                                        ; -- End function
	.set _ZL36rocblas_hemvn_kernel_upper_block_sumILi64ElPK19rocblas_complex_numIfEPS1_S1_EviT1_lS5_lT2_lT0_lPT3_i.num_vgpr, 8
	.set _ZL36rocblas_hemvn_kernel_upper_block_sumILi64ElPK19rocblas_complex_numIfEPS1_S1_EviT1_lS5_lT2_lT0_lPT3_i.num_agpr, 0
	.set _ZL36rocblas_hemvn_kernel_upper_block_sumILi64ElPK19rocblas_complex_numIfEPS1_S1_EviT1_lS5_lT2_lT0_lPT3_i.numbered_sgpr, 22
	.set _ZL36rocblas_hemvn_kernel_upper_block_sumILi64ElPK19rocblas_complex_numIfEPS1_S1_EviT1_lS5_lT2_lT0_lPT3_i.num_named_barrier, 0
	.set _ZL36rocblas_hemvn_kernel_upper_block_sumILi64ElPK19rocblas_complex_numIfEPS1_S1_EviT1_lS5_lT2_lT0_lPT3_i.private_seg_size, 0
	.set _ZL36rocblas_hemvn_kernel_upper_block_sumILi64ElPK19rocblas_complex_numIfEPS1_S1_EviT1_lS5_lT2_lT0_lPT3_i.uses_vcc, 1
	.set _ZL36rocblas_hemvn_kernel_upper_block_sumILi64ElPK19rocblas_complex_numIfEPS1_S1_EviT1_lS5_lT2_lT0_lPT3_i.uses_flat_scratch, 0
	.set _ZL36rocblas_hemvn_kernel_upper_block_sumILi64ElPK19rocblas_complex_numIfEPS1_S1_EviT1_lS5_lT2_lT0_lPT3_i.has_dyn_sized_stack, 0
	.set _ZL36rocblas_hemvn_kernel_upper_block_sumILi64ElPK19rocblas_complex_numIfEPS1_S1_EviT1_lS5_lT2_lT0_lPT3_i.has_recursion, 0
	.set _ZL36rocblas_hemvn_kernel_upper_block_sumILi64ElPK19rocblas_complex_numIfEPS1_S1_EviT1_lS5_lT2_lT0_lPT3_i.has_indirect_call, 0
	.section	.AMDGPU.csdata,"",@progbits
; Kernel info:
; codeLenInByte = 832
; TotalNumSgprs: 24
; NumVgprs: 8
; ScratchSize: 0
; MemoryBound: 0
; FloatMode: 240
; IeeeMode: 1
; LDSByteSize: 0 bytes/workgroup (compile time only)
; SGPRBlocks: 0
; VGPRBlocks: 0
; NumSGPRsForWavesPerEU: 24
; NumVGPRsForWavesPerEU: 8
; Occupancy: 16
; WaveLimiterHint : 0
; COMPUTE_PGM_RSRC2:SCRATCH_EN: 0
; COMPUTE_PGM_RSRC2:USER_SGPR: 6
; COMPUTE_PGM_RSRC2:TRAP_HANDLER: 0
; COMPUTE_PGM_RSRC2:TGID_X_EN: 1
; COMPUTE_PGM_RSRC2:TGID_Y_EN: 0
; COMPUTE_PGM_RSRC2:TGID_Z_EN: 1
; COMPUTE_PGM_RSRC2:TIDIG_COMP_CNT: 0
	.section	.text._ZL26rocblas_hemvn_kernel_upperILb1ELi64ELi4ELi33ELi32ELi16EiPK19rocblas_complex_numIfES3_PS1_EviT6_lT7_lT5_lS6_lS7_lS5_lT8_i,"axG",@progbits,_ZL26rocblas_hemvn_kernel_upperILb1ELi64ELi4ELi33ELi32ELi16EiPK19rocblas_complex_numIfES3_PS1_EviT6_lT7_lT5_lS6_lS7_lS5_lT8_i,comdat
	.globl	_ZL26rocblas_hemvn_kernel_upperILb1ELi64ELi4ELi33ELi32ELi16EiPK19rocblas_complex_numIfES3_PS1_EviT6_lT7_lT5_lS6_lS7_lS5_lT8_i ; -- Begin function _ZL26rocblas_hemvn_kernel_upperILb1ELi64ELi4ELi33ELi32ELi16EiPK19rocblas_complex_numIfES3_PS1_EviT6_lT7_lT5_lS6_lS7_lS5_lT8_i
	.p2align	8
	.type	_ZL26rocblas_hemvn_kernel_upperILb1ELi64ELi4ELi33ELi32ELi16EiPK19rocblas_complex_numIfES3_PS1_EviT6_lT7_lT5_lS6_lS7_lS5_lT8_i,@function
_ZL26rocblas_hemvn_kernel_upperILb1ELi64ELi4ELi33ELi32ELi16EiPK19rocblas_complex_numIfES3_PS1_EviT6_lT7_lT5_lS6_lS7_lS5_lT8_i: ; @_ZL26rocblas_hemvn_kernel_upperILb1ELi64ELi4ELi33ELi32ELi16EiPK19rocblas_complex_numIfES3_PS1_EviT6_lT7_lT5_lS6_lS7_lS5_lT8_i
; %bb.0:
	s_load_dwordx2 s[2:3], s[4:5], 0x84
	s_add_u32 s0, s4, 0x78
	s_addc_u32 s1, s5, 0
	s_waitcnt lgkmcnt(0)
	s_lshr_b32 s8, s2, 16
	s_and_b32 s2, s2, 0xffff
	s_and_b32 s3, s3, 0xffff
	s_mul_i32 s2, s8, s2
	s_mul_i32 s2, s2, s3
	s_cmpk_lg_i32 s2, 0x100
	s_cbranch_scc1 .LBB2_202
; %bb.1:
	s_load_dwordx8 s[12:19], s[4:5], 0x8
	s_waitcnt lgkmcnt(0)
	s_mul_i32 s2, s15, s7
	s_mul_hi_u32 s3, s14, s7
	s_add_i32 s3, s3, s2
	s_mul_i32 s2, s14, s7
	s_lshl_b64 s[2:3], s[2:3], 3
	s_add_u32 s2, s12, s2
	s_addc_u32 s3, s13, s3
	s_load_dwordx2 s[2:3], s[2:3], 0x0
	s_load_dwordx8 s[8:15], s[4:5], 0x50
	s_waitcnt lgkmcnt(0)
	s_or_b32 s2, s2, s3
	s_mov_b32 s3, -1
	s_bitset0_b32 s2, 31
	s_cmp_lg_u32 s2, 0
	s_cselect_b32 s2, -1, 0
	s_and_b32 vcc_lo, exec_lo, s2
	s_cbranch_vccnz .LBB2_3
; %bb.2:
	s_mul_i32 s3, s13, s7
	s_mul_hi_u32 s13, s12, s7
	s_mul_i32 s12, s12, s7
	s_add_i32 s13, s13, s3
	s_lshl_b64 s[12:13], s[12:13], 3
	s_add_u32 s10, s10, s12
	s_addc_u32 s11, s11, s13
	s_load_dwordx2 s[10:11], s[10:11], 0x0
	s_waitcnt lgkmcnt(0)
	v_cmp_neq_f32_e64 s3, s10, 1.0
	v_cmp_neq_f32_e64 s10, s11, 0
	s_or_b32 s3, s3, s10
.LBB2_3:
	s_andn2_b32 vcc_lo, exec_lo, s3
	s_cbranch_vccnz .LBB2_202
; %bb.4:
	s_andn2_b32 vcc_lo, exec_lo, s2
	s_cbranch_vccnz .LBB2_202
; %bb.5:
	s_clause 0x2
	s_load_dwordx4 s[20:23], s[4:5], 0x30
	s_load_dwordx2 s[2:3], s[4:5], 0x40
	s_load_dword s26, s[4:5], 0x48
	s_mul_i32 s9, s9, s7
	s_mul_hi_u32 s10, s8, s7
	s_mul_i32 s8, s8, s7
	s_add_i32 s9, s10, s9
	s_load_dword s24, s[0:1], 0x0
	s_lshl_b64 s[10:11], s[8:9], 3
	s_load_dword s9, s[4:5], 0x0
	s_waitcnt lgkmcnt(0)
	s_add_u32 s8, s22, s10
	s_addc_u32 s10, s23, s11
	s_lshl_b64 s[2:3], s[2:3], 3
	s_add_u32 s2, s8, s2
	s_addc_u32 s3, s10, s3
	s_lshl_b32 s22, s6, 6
	s_add_i32 s1, s24, -1
	v_add_nc_u32_e32 v58, s22, v0
	s_ashr_i32 s27, s9, 31
	s_lshr_b32 s0, s27, 26
	v_mul_lo_u32 v2, s26, v58
	s_add_i32 s0, s9, s0
	s_andn2_b32 s0, s0, 63
	s_sub_i32 s25, s9, s0
	v_cmp_eq_u32_e64 s0, 0, v1
	s_cmp_eq_u32 s6, s1
	v_ashrrev_i32_e32 v3, 31, v2
	s_cselect_b32 s10, s25, 0
	v_lshlrev_b64 v[2:3], 3, v[2:3]
	v_add_co_u32 v16, vcc_lo, s2, v2
	v_add_co_ci_u32_e64 v17, null, s3, v3, vcc_lo
	s_mov_b32 s3, -1
	s_and_saveexec_b32 s1, s0
	s_cbranch_execz .LBB2_10
; %bb.6:
	v_cmp_le_i32_e32 vcc_lo, s10, v0
	s_cmp_lg_u32 s10, 0
	v_lshl_add_u32 v2, v0, 3, 0x2380
	s_cselect_b32 s2, -1, 0
	s_and_b32 s2, s2, vcc_lo
	s_and_saveexec_b32 s8, s2
	s_xor_b32 s2, exec_lo, s8
; %bb.7:
	v_mov_b32_e32 v3, 0
	v_mov_b32_e32 v4, v3
	ds_write_b64 v2, v[3:4]
                                        ; implicit-def: $vgpr2
; %bb.8:
	s_andn2_saveexec_b32 s2, s2
	s_cbranch_execz .LBB2_10
; %bb.9:
	global_load_dwordx2 v[3:4], v[16:17], off
	s_waitcnt vmcnt(0)
	ds_write_b64 v2, v[3:4]
.LBB2_10:
	s_or_b32 exec_lo, exec_lo, s1
	s_load_dword s12, s[4:5], 0x28
	v_lshl_add_u32 v24, v1, 6, v0
	v_and_b32_e32 v2, 31, v0
	s_mul_i32 s1, s21, s7
	s_mul_hi_u32 s2, s20, s7
	s_mul_i32 s4, s20, s7
	v_lshrrev_b32_e32 v9, 5, v24
	s_add_i32 s5, s2, s1
	v_lshlrev_b32_e32 v10, 3, v2
	s_lshl_b64 s[4:5], s[4:5], 3
	s_add_u32 s1, s16, s4
	s_addc_u32 s2, s17, s5
	s_lshl_b64 s[4:5], s[18:19], 3
	v_mul_u32_u24_e32 v11, 0x108, v9
	s_add_u32 s1, s1, s4
	s_addc_u32 s2, s2, s5
	s_ashr_i32 s23, s22, 31
	s_lshl_b64 s[4:5], s[22:23], 3
	s_waitcnt lgkmcnt(0)
	v_mad_u64_u32 v[3:4], null, s12, v9, v[2:3]
	s_add_u32 s8, s1, s4
	s_mul_i32 s4, s12, s22
	s_addc_u32 s2, s2, s5
	s_ashr_i32 s5, s4, 31
	v_cmp_gt_i32_e64 s1, s10, v2
	s_lshl_b64 s[4:5], s[4:5], 3
	v_ashrrev_i32_e32 v4, 31, v3
	s_cmp_eq_u32 s10, 0
	s_cselect_b32 s23, -1, 0
	s_cmp_lg_u32 s10, 0
	v_lshlrev_b64 v[14:15], 3, v[3:4]
	s_cselect_b32 s28, -1, 0
	v_add_co_u32 v3, vcc_lo, s8, v14
	v_add_co_ci_u32_e64 v4, null, s2, v15, vcc_lo
	s_and_b32 vcc_lo, exec_lo, s28
	v_add_co_u32 v5, s2, v3, s4
	v_add_co_ci_u32_e64 v6, null, s5, v4, s2
                                        ; implicit-def: $vgpr3_vgpr4
	s_cbranch_vccz .LBB2_28
; %bb.11:
	v_sub_co_u32 v3, vcc_lo, v5, v10
	s_ashr_i32 s11, s10, 31
	v_subrev_co_ci_u32_e64 v4, null, 0, v6, vcc_lo
	s_lshl_b64 s[2:3], s[10:11], 3
	v_add_nc_u32_e32 v7, v10, v11
	v_add_co_u32 v3, vcc_lo, v3, s2
	v_add_co_ci_u32_e64 v4, null, s3, v4, vcc_lo
	s_mov_b32 s4, exec_lo
	v_add_co_u32 v3, vcc_lo, v3, -8
	v_add_co_ci_u32_e64 v4, null, -1, v4, vcc_lo
	v_cndmask_b32_e64 v3, v3, v5, s1
	v_cndmask_b32_e64 v4, v4, v6, s1
	v_cmpx_le_i32_e64 s10, v9
	s_xor_b32 s4, exec_lo, s4
; %bb.12:
	v_mov_b32_e32 v12, 0
	v_mov_b32_e32 v13, v12
	ds_write_b64 v7, v[12:13]
; %bb.13:
	s_andn2_saveexec_b32 s4, s4
	s_cbranch_execz .LBB2_15
; %bb.14:
	global_load_dwordx2 v[12:13], v[3:4], off
	s_waitcnt vmcnt(0)
	ds_write_b64 v7, v[12:13]
.LBB2_15:
	s_or_b32 exec_lo, exec_lo, s4
	v_add_nc_u32_e32 v8, 8, v9
	s_mov_b32 s4, exec_lo
	v_cmpx_le_i32_e64 s10, v8
	s_xor_b32 s4, exec_lo, s4
; %bb.16:
	v_mov_b32_e32 v12, 0
	v_mov_b32_e32 v13, v12
	ds_write_b64 v7, v[12:13] offset:2112
; %bb.17:
	s_andn2_saveexec_b32 s4, s4
	s_cbranch_execz .LBB2_19
; %bb.18:
	s_lshl_b32 s16, s12, 3
	s_ashr_i32 s17, s16, 31
	s_lshl_b64 s[16:17], s[16:17], 3
	v_add_co_u32 v12, vcc_lo, v3, s16
	v_add_co_ci_u32_e64 v13, null, s17, v4, vcc_lo
	global_load_dwordx2 v[12:13], v[12:13], off
	s_waitcnt vmcnt(0)
	ds_write_b64 v7, v[12:13] offset:2112
.LBB2_19:
	s_or_b32 exec_lo, exec_lo, s4
	v_add_nc_u32_e32 v8, 16, v9
	s_mov_b32 s4, exec_lo
	v_cmpx_le_i32_e64 s10, v8
	s_xor_b32 s4, exec_lo, s4
; %bb.20:
	v_mov_b32_e32 v12, 0
	v_mov_b32_e32 v13, v12
	ds_write_b64 v7, v[12:13] offset:4224
; %bb.21:
	s_andn2_saveexec_b32 s4, s4
	s_cbranch_execz .LBB2_23
; %bb.22:
	s_lshl_b32 s16, s12, 4
	s_ashr_i32 s17, s16, 31
	s_lshl_b64 s[16:17], s[16:17], 3
	v_add_co_u32 v12, vcc_lo, v3, s16
	v_add_co_ci_u32_e64 v13, null, s17, v4, vcc_lo
	global_load_dwordx2 v[12:13], v[12:13], off
	s_waitcnt vmcnt(0)
	ds_write_b64 v7, v[12:13] offset:4224
.LBB2_23:
	s_or_b32 exec_lo, exec_lo, s4
	v_add_nc_u32_e32 v8, 24, v9
	s_mov_b32 s4, exec_lo
	v_cmpx_le_i32_e64 s10, v8
	s_xor_b32 s4, exec_lo, s4
; %bb.24:
	v_mov_b32_e32 v12, 0
	v_mov_b32_e32 v13, v12
	ds_write_b64 v7, v[12:13] offset:6336
                                        ; implicit-def: $vgpr7
; %bb.25:
	s_andn2_saveexec_b32 s4, s4
	s_cbranch_execz .LBB2_27
; %bb.26:
	s_mul_i32 s16, s12, 24
	s_ashr_i32 s17, s16, 31
	s_lshl_b64 s[16:17], s[16:17], 3
	v_add_co_u32 v12, vcc_lo, v3, s16
	v_add_co_ci_u32_e64 v13, null, s17, v4, vcc_lo
	global_load_dwordx2 v[12:13], v[12:13], off
	s_waitcnt vmcnt(0)
	ds_write_b64 v7, v[12:13] offset:6336
.LBB2_27:
	s_or_b32 exec_lo, exec_lo, s4
	v_add_co_u32 v3, vcc_lo, v3, v10
	v_add_co_ci_u32_e64 v4, null, 0, v4, vcc_lo
	v_sub_co_u32 v3, vcc_lo, v3, s2
	v_subrev_co_ci_u32_e64 v4, null, s3, v4, vcc_lo
	s_mov_b32 s3, 0
	v_add_co_u32 v3, vcc_lo, v3, 8
	v_add_co_ci_u32_e64 v4, null, 0, v4, vcc_lo
	v_cndmask_b32_e64 v3, v3, v5, s1
	v_cndmask_b32_e64 v4, v4, v6, s1
.LBB2_28:
	s_and_b32 vcc_lo, exec_lo, s3
	s_cbranch_vccz .LBB2_30
; %bb.29:
	s_lshl_b32 s2, s12, 3
	s_ashr_i32 s13, s12, 31
	s_ashr_i32 s3, s2, 31
	v_lshl_add_u32 v22, v2, 3, v11
	s_lshl_b64 s[2:3], s[2:3], 3
	v_add_co_u32 v3, vcc_lo, v5, s2
	v_add_co_ci_u32_e64 v4, null, s3, v6, vcc_lo
	s_lshl_b64 s[2:3], s[12:13], 6
	v_add_co_u32 v7, vcc_lo, v3, s2
	v_add_co_ci_u32_e64 v8, null, s3, v4, vcc_lo
	v_add_co_u32 v12, vcc_lo, v7, s2
	v_add_co_ci_u32_e64 v13, null, s3, v8, vcc_lo
	s_clause 0x3
	global_load_dwordx2 v[18:19], v[5:6], off
	global_load_dwordx2 v[20:21], v[3:4], off
	global_load_dwordx2 v[7:8], v[7:8], off
	global_load_dwordx2 v[12:13], v[12:13], off
	v_mov_b32_e32 v3, v5
	v_mov_b32_e32 v4, v6
	s_waitcnt vmcnt(3)
	ds_write_b64 v22, v[18:19]
	s_waitcnt vmcnt(2)
	ds_write_b64 v22, v[20:21] offset:2112
	s_waitcnt vmcnt(1)
	ds_write_b64 v22, v[7:8] offset:4224
	;; [unrolled: 2-line block ×3, first 2 shown]
.LBB2_30:
	v_lshlrev_b32_e32 v13, 2, v9
	v_mul_u32_u24_e32 v12, 0x108, v2
	s_mov_b32 s1, 0
	s_waitcnt lgkmcnt(0)
	s_barrier
	v_cmp_le_u32_e64 s2, v13, v2
	buffer_gl0_inv
                                        ; implicit-def: $vgpr6
	s_and_saveexec_b32 s3, s2
	s_xor_b32 s3, exec_lo, s3
	s_cbranch_execz .LBB2_34
; %bb.31:
	s_mov_b32 s4, exec_lo
                                        ; implicit-def: $vgpr6
	v_cmpx_eq_u32_e64 v13, v2
	s_xor_b32 s4, exec_lo, s4
; %bb.32:
	s_mov_b32 s1, exec_lo
	v_add_nc_u32_e32 v6, v10, v12
; %bb.33:
	s_or_b32 exec_lo, exec_lo, s4
	s_and_b32 s1, s1, exec_lo
.LBB2_34:
	s_or_saveexec_b32 s3, s3
	v_lshl_or_b32 v7, v2, 8, v10
	v_mov_b32_e32 v8, 0
	v_mad_u32_u24 v5, 0x420, v9, v10
	v_lshl_add_u32 v7, v13, 3, v7
	s_xor_b32 exec_lo, exec_lo, s3
	s_cbranch_execz .LBB2_36
; %bb.35:
	ds_read_b64 v[18:19], v5
	v_mov_b32_e32 v6, v7
	s_or_b32 s1, s1, exec_lo
	s_waitcnt lgkmcnt(0)
	v_xor_b32_e32 v8, 0x80000000, v19
	ds_write_b32 v7, v18
.LBB2_36:
	s_or_b32 exec_lo, exec_lo, s3
	s_and_saveexec_b32 s3, s1
; %bb.37:
	ds_write_b32 v6, v8 offset:4
; %bb.38:
	s_or_b32 exec_lo, exec_lo, s3
	v_or_b32_e32 v18, 1, v13
	v_cmp_ge_u32_e64 s3, v13, v2
	s_mov_b32 s1, 0
                                        ; implicit-def: $vgpr19
                                        ; implicit-def: $vgpr8
	v_mad_u32_u24 v6, 0x108, v18, v10
	s_and_saveexec_b32 s4, s3
	s_xor_b32 s4, exec_lo, s4
	s_cbranch_execnz .LBB2_70
; %bb.39:
	s_andn2_saveexec_b32 s4, s4
	s_cbranch_execnz .LBB2_71
.LBB2_40:
	s_or_b32 exec_lo, exec_lo, s4
	s_and_saveexec_b32 s4, s1
.LBB2_41:
	ds_write_b32 v8, v19 offset:4
.LBB2_42:
	s_or_b32 exec_lo, exec_lo, s4
	v_or_b32_e32 v19, 2, v13
	s_mov_b32 s1, 0
                                        ; implicit-def: $vgpr8
	v_cmp_le_u32_e64 s4, v19, v2
	s_and_saveexec_b32 s5, s4
	s_xor_b32 s5, exec_lo, s5
	s_cbranch_execnz .LBB2_74
; %bb.43:
	s_or_saveexec_b32 s5, s5
	v_mov_b32_e32 v20, 0
	s_xor_b32 exec_lo, exec_lo, s5
	s_cbranch_execnz .LBB2_77
.LBB2_44:
	s_or_b32 exec_lo, exec_lo, s5
	s_and_saveexec_b32 s5, s1
.LBB2_45:
	ds_write_b32 v8, v20 offset:4
.LBB2_46:
	s_or_b32 exec_lo, exec_lo, s5
	v_or_b32_e32 v21, 3, v13
	s_mov_b32 s1, 0
                                        ; implicit-def: $vgpr8
	v_cmp_le_u32_e64 s5, v21, v2
	s_and_saveexec_b32 s8, s5
	s_xor_b32 s8, exec_lo, s8
	s_cbranch_execnz .LBB2_78
; %bb.47:
	s_or_saveexec_b32 s8, s8
	v_mov_b32_e32 v20, 0
	s_xor_b32 exec_lo, exec_lo, s8
	s_cbranch_execnz .LBB2_81
.LBB2_48:
	s_or_b32 exec_lo, exec_lo, s8
	s_and_saveexec_b32 s8, s1
.LBB2_49:
	ds_write_b32 v8, v20 offset:4
.LBB2_50:
	s_or_b32 exec_lo, exec_lo, s8
	v_lshlrev_b32_e32 v23, 3, v13
	s_waitcnt lgkmcnt(0)
	s_barrier
	buffer_gl0_inv
	ds_read_b64 v[7:8], v5
	ds_read_b128 v[25:28], v23 offset:9088
	ds_read2_b64 v[29:32], v6 offset1:33
	ds_read_b128 v[33:36], v23 offset:9104
	ds_read_b64 v[5:6], v6 offset:528
	v_mul_u32_u24_e32 v20, 33, v2
	v_mov_b32_e32 v59, 0
	v_cmp_gt_u32_e64 s1, 32, v24
	v_mov_b32_e32 v60, 0
	s_waitcnt lgkmcnt(0)
	s_barrier
	buffer_gl0_inv
	v_mul_f32_e32 v22, v26, v8
	v_mul_f32_e32 v8, v25, v8
	;; [unrolled: 1-line block ×5, first 2 shown]
	v_fma_f32 v22, v25, v7, -v22
	v_fmac_f32_e32 v8, v26, v7
	v_mul_f32_e32 v32, v33, v32
	v_fma_f32 v25, v27, v29, -v37
	v_fmac_f32_e32 v30, v28, v29
	v_add_f32_e32 v22, 0, v22
	v_add_f32_e32 v8, 0, v8
	v_mul_f32_e32 v7, v36, v6
	v_mul_f32_e32 v6, v35, v6
	v_fma_f32 v26, v33, v31, -v38
	v_fmac_f32_e32 v32, v34, v31
	v_add_f32_e32 v22, v22, v25
	v_add_f32_e32 v8, v8, v30
	v_lshlrev_b32_e32 v25, 3, v20
	v_fma_f32 v7, v35, v5, -v7
	v_fmac_f32_e32 v6, v36, v5
	v_add_f32_e32 v5, v22, v26
	v_add_f32_e32 v8, v8, v32
	v_lshl_add_u32 v26, v9, 3, v25
	v_add_f32_e32 v5, v5, v7
	v_add_f32_e32 v6, v8, v6
	ds_write_b64 v26, v[5:6]
	s_waitcnt lgkmcnt(0)
	s_barrier
	buffer_gl0_inv
	s_and_saveexec_b32 s8, s1
	s_cbranch_execz .LBB2_52
; %bb.51:
	ds_read2_b64 v[5:8], v25 offset1:7
	ds_read2_b64 v[27:30], v25 offset0:1 offset1:2
	ds_read2_b64 v[31:34], v25 offset0:3 offset1:4
	;; [unrolled: 1-line block ×3, first 2 shown]
	s_waitcnt lgkmcnt(2)
	v_add_f32_e32 v5, v27, v5
	v_add_f32_e32 v6, v28, v6
	v_add_f32_e32 v5, v29, v5
	v_add_f32_e32 v6, v30, v6
	s_waitcnt lgkmcnt(1)
	v_add_f32_e32 v5, v5, v31
	v_add_f32_e32 v6, v6, v32
	v_add_f32_e32 v5, v5, v33
	v_add_f32_e32 v6, v6, v34
	s_waitcnt lgkmcnt(0)
	v_add_f32_e32 v5, v5, v35
	v_add_f32_e32 v6, v6, v36
	v_add_f32_e32 v5, v5, v37
	v_add_f32_e32 v6, v6, v38
	v_add_f32_e32 v59, v5, v7
	v_add_f32_e32 v60, v6, v8
.LBB2_52:
	s_or_b32 exec_lo, exec_lo, s8
	s_lshl_b32 s18, s12, 5
	s_ashr_i32 s19, s18, 31
	s_barrier
	s_lshl_b64 s[16:17], s[18:19], 3
	buffer_gl0_inv
	v_add_co_u32 v7, vcc_lo, v3, s16
	v_add_co_ci_u32_e64 v8, null, s17, v4, vcc_lo
	v_add_co_u32 v5, vcc_lo, 0x100, v7
	v_add_co_ci_u32_e64 v6, null, 0, v8, vcc_lo
	s_and_b32 vcc_lo, exec_lo, s28
	s_cbranch_vccz .LBB2_82
; %bb.53:
	v_sub_co_u32 v3, vcc_lo, v7, v10
	s_ashr_i32 s11, s10, 31
	v_subrev_co_ci_u32_e64 v4, null, 0, v8, vcc_lo
	s_lshl_b64 s[20:21], s[10:11], 3
	v_or_b32_e32 v20, 32, v2
	v_add_co_u32 v3, vcc_lo, v3, s20
	v_add_co_ci_u32_e64 v4, null, s21, v4, vcc_lo
	s_sub_i32 s11, s10, 32
	v_add_co_u32 v3, vcc_lo, v3, -8
	v_add_co_ci_u32_e64 v4, null, -1, v4, vcc_lo
	v_cmp_gt_i32_e32 vcc_lo, s10, v20
	v_cmp_le_i32_e64 s8, s11, v9
	v_add_nc_u32_e32 v20, v10, v11
	v_cndmask_b32_e32 v4, v4, v6, vcc_lo
	v_cndmask_b32_e32 v3, v3, v5, vcc_lo
	s_and_saveexec_b32 s13, s8
	s_xor_b32 s8, exec_lo, s13
; %bb.54:
	v_mov_b32_e32 v27, 0
	v_mov_b32_e32 v28, v27
	ds_write_b64 v20, v[27:28]
; %bb.55:
	s_andn2_saveexec_b32 s8, s8
	s_cbranch_execz .LBB2_57
; %bb.56:
	global_load_dwordx2 v[27:28], v[3:4], off
	s_waitcnt vmcnt(0)
	ds_write_b64 v20, v[27:28]
.LBB2_57:
	s_or_b32 exec_lo, exec_lo, s8
	v_add_nc_u32_e32 v22, 8, v9
	v_cmp_le_i32_e64 s8, s11, v22
	s_and_saveexec_b32 s13, s8
	s_xor_b32 s8, exec_lo, s13
; %bb.58:
	v_mov_b32_e32 v27, 0
	v_mov_b32_e32 v28, v27
	ds_write_b64 v20, v[27:28] offset:2112
; %bb.59:
	s_andn2_saveexec_b32 s13, s8
	s_cbranch_execz .LBB2_61
; %bb.60:
	s_lshl_b32 s30, s12, 3
	s_ashr_i32 s31, s30, 31
	s_lshl_b64 s[30:31], s[30:31], 3
	v_add_co_u32 v27, s8, v3, s30
	v_add_co_ci_u32_e64 v28, null, s31, v4, s8
	global_load_dwordx2 v[27:28], v[27:28], off
	s_waitcnt vmcnt(0)
	ds_write_b64 v20, v[27:28] offset:2112
.LBB2_61:
	s_or_b32 exec_lo, exec_lo, s13
	v_add_nc_u32_e32 v22, 16, v9
	v_cmp_le_i32_e64 s8, s11, v22
	s_and_saveexec_b32 s13, s8
	s_xor_b32 s8, exec_lo, s13
; %bb.62:
	v_mov_b32_e32 v27, 0
	v_mov_b32_e32 v28, v27
	ds_write_b64 v20, v[27:28] offset:4224
; %bb.63:
	s_andn2_saveexec_b32 s13, s8
	s_cbranch_execz .LBB2_65
; %bb.64:
	s_lshl_b32 s30, s12, 4
	s_ashr_i32 s31, s30, 31
	s_lshl_b64 s[30:31], s[30:31], 3
	v_add_co_u32 v27, s8, v3, s30
	v_add_co_ci_u32_e64 v28, null, s31, v4, s8
	global_load_dwordx2 v[27:28], v[27:28], off
	s_waitcnt vmcnt(0)
	ds_write_b64 v20, v[27:28] offset:4224
.LBB2_65:
	s_or_b32 exec_lo, exec_lo, s13
	v_add_nc_u32_e32 v22, 24, v9
	v_cmp_le_i32_e64 s8, s11, v22
	s_and_saveexec_b32 s11, s8
	s_xor_b32 s8, exec_lo, s11
; %bb.66:
	v_mov_b32_e32 v27, 0
	v_mov_b32_e32 v28, v27
	ds_write_b64 v20, v[27:28] offset:6336
                                        ; implicit-def: $vgpr20
; %bb.67:
	s_andn2_saveexec_b32 s11, s8
	s_cbranch_execz .LBB2_69
; %bb.68:
	s_mul_i32 s30, s12, 24
	s_ashr_i32 s31, s30, 31
	s_lshl_b64 s[30:31], s[30:31], 3
	v_add_co_u32 v27, s8, v3, s30
	v_add_co_ci_u32_e64 v28, null, s31, v4, s8
	global_load_dwordx2 v[27:28], v[27:28], off
	s_waitcnt vmcnt(0)
	ds_write_b64 v20, v[27:28] offset:6336
.LBB2_69:
	s_or_b32 exec_lo, exec_lo, s11
	v_add_co_u32 v3, s8, v3, v10
	v_add_co_ci_u32_e64 v4, null, 0, v4, s8
	v_sub_co_u32 v3, s8, v3, s20
	v_subrev_co_ci_u32_e64 v4, null, s21, v4, s8
	v_add_co_u32 v3, s8, 0x108, v3
	v_add_co_ci_u32_e64 v4, null, 0, v4, s8
	v_cndmask_b32_e32 v3, v3, v5, vcc_lo
	v_cndmask_b32_e32 v4, v4, v6, vcc_lo
	v_mad_u32_u24 v20, 0x108, v9, v10
	s_branch .LBB2_84
.LBB2_70:
	ds_read_b64 v[20:21], v6
	s_mov_b32 s1, exec_lo
	v_add_nc_u32_e32 v8, 8, v7
	s_waitcnt lgkmcnt(0)
	v_xor_b32_e32 v19, 0x80000000, v21
	ds_write_b32 v7, v20 offset:8
	s_andn2_saveexec_b32 s4, s4
	s_cbranch_execz .LBB2_40
.LBB2_71:
	s_mov_b32 s5, s1
	s_mov_b32 s8, exec_lo
                                        ; implicit-def: $vgpr8
	v_cmpx_eq_u32_e64 v18, v2
; %bb.72:
	v_add_nc_u32_e32 v8, v10, v12
	s_or_b32 s5, s1, exec_lo
; %bb.73:
	s_or_b32 exec_lo, exec_lo, s8
	v_mov_b32_e32 v19, 0
	s_andn2_b32 s1, s1, exec_lo
	s_and_b32 s5, s5, exec_lo
	s_or_b32 s1, s1, s5
	s_or_b32 exec_lo, exec_lo, s4
	s_and_saveexec_b32 s4, s1
	s_cbranch_execnz .LBB2_41
	s_branch .LBB2_42
.LBB2_74:
	s_mov_b32 s8, exec_lo
                                        ; implicit-def: $vgpr8
	v_cmpx_eq_u32_e64 v19, v2
; %bb.75:
	v_add_nc_u32_e32 v8, v10, v12
	s_mov_b32 s1, exec_lo
; %bb.76:
	s_or_b32 exec_lo, exec_lo, s8
	s_and_b32 s1, s1, exec_lo
	s_or_saveexec_b32 s5, s5
	v_mov_b32_e32 v20, 0
	s_xor_b32 exec_lo, exec_lo, s5
	s_cbranch_execz .LBB2_44
.LBB2_77:
	v_mad_u32_u24 v8, 0x108, v19, v10
	s_or_b32 s1, s1, exec_lo
	ds_read_b64 v[21:22], v8
	v_add_nc_u32_e32 v8, 16, v7
	s_waitcnt lgkmcnt(0)
	v_xor_b32_e32 v20, 0x80000000, v22
	ds_write_b32 v7, v21 offset:16
	s_or_b32 exec_lo, exec_lo, s5
	s_and_saveexec_b32 s5, s1
	s_cbranch_execnz .LBB2_45
	s_branch .LBB2_46
.LBB2_78:
	s_mov_b32 s11, exec_lo
                                        ; implicit-def: $vgpr8
	v_cmpx_eq_u32_e64 v21, v2
; %bb.79:
	v_add_nc_u32_e32 v8, v10, v12
	s_mov_b32 s1, exec_lo
; %bb.80:
	s_or_b32 exec_lo, exec_lo, s11
	s_and_b32 s1, s1, exec_lo
                                        ; implicit-def: $vgpr7
	s_or_saveexec_b32 s8, s8
	v_mov_b32_e32 v20, 0
	s_xor_b32 exec_lo, exec_lo, s8
	s_cbranch_execz .LBB2_48
.LBB2_81:
	v_mad_u32_u24 v8, 0x108, v21, v10
	s_or_b32 s1, s1, exec_lo
	ds_read_b64 v[22:23], v8
	v_add_nc_u32_e32 v8, 24, v7
	s_waitcnt lgkmcnt(0)
	v_xor_b32_e32 v20, 0x80000000, v23
	ds_write_b32 v7, v22 offset:24
	s_or_b32 exec_lo, exec_lo, s8
	s_and_saveexec_b32 s8, s1
	s_cbranch_execnz .LBB2_49
	s_branch .LBB2_50
.LBB2_82:
                                        ; implicit-def: $vgpr3_vgpr4
	v_mad_u32_u24 v20, 0x108, v9, v10
	s_cbranch_execz .LBB2_84
; %bb.83:
	s_lshl_b32 s20, s12, 3
	s_ashr_i32 s13, s12, 31
	s_ashr_i32 s21, s20, 31
	s_lshl_b64 s[20:21], s[20:21], 3
	v_add_co_u32 v3, vcc_lo, v7, s20
	v_add_co_ci_u32_e64 v4, null, s21, v8, vcc_lo
	s_lshl_b64 s[20:21], s[12:13], 6
	v_add_co_u32 v27, vcc_lo, v3, s20
	v_add_co_ci_u32_e64 v28, null, s21, v4, vcc_lo
	v_add_co_u32 v29, vcc_lo, v27, s20
	v_add_co_ci_u32_e64 v30, null, s21, v28, vcc_lo
	s_clause 0x3
	global_load_dwordx2 v[7:8], v[7:8], off offset:256
	global_load_dwordx2 v[31:32], v[3:4], off offset:256
	global_load_dwordx2 v[27:28], v[27:28], off offset:256
	global_load_dwordx2 v[29:30], v[29:30], off offset:256
	v_mov_b32_e32 v3, v5
	v_mov_b32_e32 v4, v6
	s_waitcnt vmcnt(3)
	ds_write_b64 v20, v[7:8]
	s_waitcnt vmcnt(2)
	ds_write_b64 v20, v[31:32] offset:2112
	s_waitcnt vmcnt(1)
	ds_write_b64 v20, v[27:28] offset:4224
	;; [unrolled: 2-line block ×3, first 2 shown]
.LBB2_84:
	v_mul_u32_u24_e32 v5, 0x420, v9
	s_mov_b32 s8, 0
	s_waitcnt lgkmcnt(0)
	s_barrier
	buffer_gl0_inv
                                        ; implicit-def: $vgpr6
	s_and_saveexec_b32 s11, s2
	s_xor_b32 s2, exec_lo, s11
	s_cbranch_execz .LBB2_88
; %bb.85:
	s_mov_b32 s11, exec_lo
                                        ; implicit-def: $vgpr6
	v_cmpx_eq_u32_e64 v13, v2
	s_xor_b32 s11, exec_lo, s11
; %bb.86:
	v_add_nc_u32_e32 v6, v10, v12
	s_mov_b32 s8, exec_lo
; %bb.87:
	s_or_b32 exec_lo, exec_lo, s11
	s_and_b32 s8, s8, exec_lo
.LBB2_88:
	s_or_saveexec_b32 s2, s2
	v_mov_b32_e32 v7, 0
	v_add_nc_u32_e32 v22, v10, v5
	v_lshl_add_u32 v5, v13, 3, v25
	s_xor_b32 exec_lo, exec_lo, s2
	s_cbranch_execz .LBB2_90
; %bb.89:
	ds_read_b64 v[27:28], v22
	v_mov_b32_e32 v6, v5
	s_or_b32 s8, s8, exec_lo
	s_waitcnt lgkmcnt(0)
	v_xor_b32_e32 v7, 0x80000000, v28
	ds_write_b32 v5, v27
.LBB2_90:
	s_or_b32 exec_lo, exec_lo, s2
	v_mul_u32_u24_e32 v8, 0x108, v18
	s_and_saveexec_b32 s2, s8
; %bb.91:
	ds_write_b32 v6, v7 offset:4
; %bb.92:
	s_or_b32 exec_lo, exec_lo, s2
	v_add_nc_u32_e32 v27, v10, v8
	s_mov_b32 s2, 0
                                        ; implicit-def: $vgpr7
                                        ; implicit-def: $vgpr6
	s_and_saveexec_b32 s8, s3
	s_xor_b32 s3, exec_lo, s8
	s_cbranch_execnz .LBB2_124
; %bb.93:
	s_andn2_saveexec_b32 s3, s3
	s_cbranch_execnz .LBB2_125
.LBB2_94:
	s_or_b32 exec_lo, exec_lo, s3
	s_and_saveexec_b32 s3, s2
.LBB2_95:
	ds_write_b32 v6, v7 offset:4
.LBB2_96:
	s_or_b32 exec_lo, exec_lo, s3
	s_mov_b32 s2, 0
                                        ; implicit-def: $vgpr6
	s_and_saveexec_b32 s3, s4
	s_xor_b32 s3, exec_lo, s3
	s_cbranch_execnz .LBB2_128
; %bb.97:
	s_or_saveexec_b32 s3, s3
	v_mov_b32_e32 v7, 0
	s_xor_b32 exec_lo, exec_lo, s3
	s_cbranch_execnz .LBB2_131
.LBB2_98:
	s_or_b32 exec_lo, exec_lo, s3
	s_and_saveexec_b32 s3, s2
.LBB2_99:
	ds_write_b32 v6, v7 offset:4
.LBB2_100:
	s_or_b32 exec_lo, exec_lo, s3
	s_mov_b32 s2, 0
                                        ; implicit-def: $vgpr6
	s_and_saveexec_b32 s3, s5
	s_xor_b32 s3, exec_lo, s3
	s_cbranch_execnz .LBB2_132
; %bb.101:
	s_or_saveexec_b32 s3, s3
	v_mov_b32_e32 v7, 0
	s_xor_b32 exec_lo, exec_lo, s3
	s_cbranch_execnz .LBB2_135
.LBB2_102:
	s_or_b32 exec_lo, exec_lo, s3
	v_add_nc_u32_e32 v21, 0x2380, v23
	s_and_saveexec_b32 s3, s2
.LBB2_103:
	ds_write_b32 v6, v7 offset:4
.LBB2_104:
	s_or_b32 exec_lo, exec_lo, s3
	s_waitcnt lgkmcnt(0)
	s_barrier
	buffer_gl0_inv
	ds_read_b64 v[12:13], v22
	ds_read_b128 v[5:8], v21 offset:256
	ds_read2_b64 v[28:31], v27 offset1:33
	ds_read_b128 v[32:35], v21 offset:272
	ds_read_b64 v[18:19], v27 offset:528
	v_cmp_eq_u32_e64 s2, 1, v9
	s_waitcnt lgkmcnt(0)
	s_barrier
	buffer_gl0_inv
	v_mul_f32_e32 v23, v6, v13
	v_mul_f32_e32 v13, v5, v13
	v_mul_f32_e32 v36, v8, v29
	v_mul_f32_e32 v29, v7, v29
	v_mul_f32_e32 v37, v33, v31
	v_fma_f32 v5, v5, v12, -v23
	v_fmac_f32_e32 v13, v6, v12
	v_mul_f32_e32 v31, v32, v31
	v_fma_f32 v7, v7, v28, -v36
	v_fmac_f32_e32 v29, v8, v28
	v_add_f32_e32 v5, 0, v5
	v_add_f32_e32 v8, 0, v13
	v_mul_f32_e32 v6, v35, v19
	v_mul_f32_e32 v12, v34, v19
	v_fma_f32 v13, v32, v30, -v37
	v_fmac_f32_e32 v31, v33, v30
	v_add_f32_e32 v5, v5, v7
	v_add_f32_e32 v7, v8, v29
	v_fma_f32 v6, v34, v18, -v6
	v_fmac_f32_e32 v12, v35, v18
	v_add_f32_e32 v5, v5, v13
	v_add_f32_e32 v7, v7, v31
	;; [unrolled: 1-line block ×4, first 2 shown]
	ds_write_b64 v26, v[5:6]
	s_waitcnt lgkmcnt(0)
	s_barrier
	buffer_gl0_inv
	s_and_saveexec_b32 s3, s2
	s_cbranch_execz .LBB2_106
; %bb.105:
	ds_read2_b64 v[5:8], v25 offset1:7
	ds_read2_b64 v[28:31], v25 offset0:1 offset1:2
	ds_read2_b64 v[32:35], v25 offset0:3 offset1:4
	;; [unrolled: 1-line block ×3, first 2 shown]
	s_waitcnt lgkmcnt(2)
	v_add_f32_e32 v5, v28, v5
	v_add_f32_e32 v6, v29, v6
	v_add_f32_e32 v5, v30, v5
	v_add_f32_e32 v6, v31, v6
	s_waitcnt lgkmcnt(1)
	v_add_f32_e32 v5, v5, v32
	v_add_f32_e32 v6, v6, v33
	v_add_f32_e32 v5, v5, v34
	v_add_f32_e32 v6, v6, v35
	;; [unrolled: 5-line block ×3, first 2 shown]
	v_add_f32_e32 v59, v5, v7
	v_add_f32_e32 v60, v6, v8
.LBB2_106:
	s_or_b32 exec_lo, exec_lo, s3
	v_add_co_u32 v5, vcc_lo, 0xffffff00, v3
	v_add_co_ci_u32_e64 v6, null, -1, v4, vcc_lo
	s_and_b32 vcc_lo, exec_lo, s28
	s_barrier
	buffer_gl0_inv
	s_cbranch_vccz .LBB2_136
; %bb.107:
	v_sub_co_u32 v7, vcc_lo, v3, v10
	s_ashr_i32 s11, s10, 31
	v_subrev_co_ci_u32_e64 v8, null, 0, v4, vcc_lo
	s_lshl_b64 s[4:5], s[10:11], 3
	s_sub_i32 s8, s10, 32
	v_add_co_u32 v7, vcc_lo, v7, s4
	v_add_co_ci_u32_e64 v8, null, s5, v8, vcc_lo
	v_cmp_le_i32_e64 s3, s8, v9
	v_add_co_u32 v7, vcc_lo, 0xfffffef8, v7
	v_add_co_ci_u32_e64 v8, null, -1, v8, vcc_lo
	v_cmp_gt_i32_e32 vcc_lo, s10, v2
	v_add_nc_u32_e32 v12, v10, v11
	v_cndmask_b32_e32 v8, v8, v6, vcc_lo
	v_cndmask_b32_e32 v7, v7, v5, vcc_lo
	s_and_saveexec_b32 s11, s3
	s_xor_b32 s3, exec_lo, s11
; %bb.108:
	v_mov_b32_e32 v18, 0
	v_mov_b32_e32 v19, v18
	ds_write_b64 v12, v[18:19]
; %bb.109:
	s_andn2_saveexec_b32 s3, s3
	s_cbranch_execz .LBB2_111
; %bb.110:
	global_load_dwordx2 v[18:19], v[7:8], off
	s_waitcnt vmcnt(0)
	ds_write_b64 v12, v[18:19]
.LBB2_111:
	s_or_b32 exec_lo, exec_lo, s3
	v_add_nc_u32_e32 v2, 8, v9
	v_cmp_le_i32_e64 s3, s8, v2
	s_and_saveexec_b32 s11, s3
	s_xor_b32 s3, exec_lo, s11
; %bb.112:
	v_mov_b32_e32 v18, 0
	v_mov_b32_e32 v19, v18
	ds_write_b64 v12, v[18:19] offset:2112
; %bb.113:
	s_andn2_saveexec_b32 s11, s3
	s_cbranch_execz .LBB2_115
; %bb.114:
	s_lshl_b32 s20, s12, 3
	s_ashr_i32 s21, s20, 31
	s_lshl_b64 s[20:21], s[20:21], 3
	v_add_co_u32 v18, s3, v7, s20
	v_add_co_ci_u32_e64 v19, null, s21, v8, s3
	global_load_dwordx2 v[18:19], v[18:19], off
	s_waitcnt vmcnt(0)
	ds_write_b64 v12, v[18:19] offset:2112
.LBB2_115:
	s_or_b32 exec_lo, exec_lo, s11
	v_add_nc_u32_e32 v11, 16, v9
	v_cmp_le_i32_e64 s3, s8, v11
	s_and_saveexec_b32 s11, s3
	s_xor_b32 s3, exec_lo, s11
; %bb.116:
	v_mov_b32_e32 v18, 0
	v_mov_b32_e32 v19, v18
	ds_write_b64 v12, v[18:19] offset:4224
; %bb.117:
	s_andn2_saveexec_b32 s11, s3
	s_cbranch_execz .LBB2_119
; %bb.118:
	s_lshl_b32 s20, s12, 4
	s_ashr_i32 s21, s20, 31
	s_lshl_b64 s[20:21], s[20:21], 3
	v_add_co_u32 v18, s3, v7, s20
	v_add_co_ci_u32_e64 v19, null, s21, v8, s3
	global_load_dwordx2 v[18:19], v[18:19], off
	s_waitcnt vmcnt(0)
	ds_write_b64 v12, v[18:19] offset:4224
.LBB2_119:
	s_or_b32 exec_lo, exec_lo, s11
	v_add_nc_u32_e32 v13, 24, v9
	v_cmp_le_i32_e64 s3, s8, v13
	s_and_saveexec_b32 s8, s3
	s_xor_b32 s3, exec_lo, s8
; %bb.120:
	v_mov_b32_e32 v18, 0
	v_mov_b32_e32 v19, v18
	ds_write_b64 v12, v[18:19] offset:6336
                                        ; implicit-def: $vgpr12
; %bb.121:
	s_andn2_saveexec_b32 s8, s3
	s_cbranch_execz .LBB2_123
; %bb.122:
	s_mul_i32 s20, s12, 24
	s_ashr_i32 s21, s20, 31
	s_lshl_b64 s[20:21], s[20:21], 3
	v_add_co_u32 v18, s3, v7, s20
	v_add_co_ci_u32_e64 v19, null, s21, v8, s3
	global_load_dwordx2 v[18:19], v[18:19], off
	s_waitcnt vmcnt(0)
	ds_write_b64 v12, v[18:19] offset:6336
.LBB2_123:
	s_or_b32 exec_lo, exec_lo, s8
	v_add_co_u32 v7, s3, v7, v10
	v_add_co_ci_u32_e64 v8, null, 0, v8, s3
	v_sub_co_u32 v7, s3, v7, s4
	v_subrev_co_ci_u32_e64 v8, null, s5, v8, s3
	v_add_co_u32 v7, s3, v7, 8
	v_add_co_ci_u32_e64 v8, null, 0, v8, s3
	v_cndmask_b32_e32 v18, v7, v5, vcc_lo
	v_cndmask_b32_e32 v19, v8, v6, vcc_lo
	s_branch .LBB2_138
.LBB2_124:
	ds_read_b64 v[28:29], v27
	s_mov_b32 s2, exec_lo
	v_add_nc_u32_e32 v6, 8, v5
                                        ; implicit-def: $vgpr18
	s_waitcnt lgkmcnt(0)
	v_xor_b32_e32 v7, 0x80000000, v29
	ds_write_b32 v5, v28 offset:8
	s_andn2_saveexec_b32 s3, s3
	s_cbranch_execz .LBB2_94
.LBB2_125:
	s_mov_b32 s8, s2
	s_mov_b32 s11, exec_lo
                                        ; implicit-def: $vgpr6
	v_cmpx_eq_u32_e64 v18, v2
; %bb.126:
	v_add_nc_u32_e32 v6, v10, v12
	s_or_b32 s8, s2, exec_lo
; %bb.127:
	s_or_b32 exec_lo, exec_lo, s11
	v_mov_b32_e32 v7, 0
	s_andn2_b32 s2, s2, exec_lo
	s_and_b32 s8, s8, exec_lo
	s_or_b32 s2, s2, s8
	s_or_b32 exec_lo, exec_lo, s3
	s_and_saveexec_b32 s3, s2
	s_cbranch_execnz .LBB2_95
	s_branch .LBB2_96
.LBB2_128:
	s_mov_b32 s4, exec_lo
                                        ; implicit-def: $vgpr6
	v_cmpx_eq_u32_e64 v19, v2
; %bb.129:
	v_add_nc_u32_e32 v6, v10, v12
	s_mov_b32 s2, exec_lo
; %bb.130:
	s_or_b32 exec_lo, exec_lo, s4
	s_and_b32 s2, s2, exec_lo
	s_or_saveexec_b32 s3, s3
	v_mov_b32_e32 v7, 0
	s_xor_b32 exec_lo, exec_lo, s3
	s_cbranch_execz .LBB2_98
.LBB2_131:
	ds_read_b64 v[18:19], v27 offset:264
	v_add_nc_u32_e32 v6, 16, v5
	s_or_b32 s2, s2, exec_lo
	s_waitcnt lgkmcnt(0)
	v_xor_b32_e32 v7, 0x80000000, v19
	ds_write_b32 v5, v18 offset:16
	s_or_b32 exec_lo, exec_lo, s3
	s_and_saveexec_b32 s3, s2
	s_cbranch_execnz .LBB2_99
	s_branch .LBB2_100
.LBB2_132:
	s_mov_b32 s4, exec_lo
                                        ; implicit-def: $vgpr6
	v_cmpx_eq_u32_e64 v21, v2
; %bb.133:
	v_add_nc_u32_e32 v6, v10, v12
	s_mov_b32 s2, exec_lo
; %bb.134:
	s_or_b32 exec_lo, exec_lo, s4
	s_and_b32 s2, s2, exec_lo
                                        ; implicit-def: $vgpr5
	s_or_saveexec_b32 s3, s3
	v_mov_b32_e32 v7, 0
	s_xor_b32 exec_lo, exec_lo, s3
	s_cbranch_execz .LBB2_102
.LBB2_135:
	ds_read_b64 v[12:13], v27 offset:528
	v_add_nc_u32_e32 v6, 24, v5
	s_or_b32 s2, s2, exec_lo
	s_waitcnt lgkmcnt(0)
	v_xor_b32_e32 v7, 0x80000000, v13
	ds_write_b32 v5, v12 offset:24
	s_or_b32 exec_lo, exec_lo, s3
	v_add_nc_u32_e32 v21, 0x2380, v23
	s_and_saveexec_b32 s3, s2
	s_cbranch_execnz .LBB2_103
	s_branch .LBB2_104
.LBB2_136:
                                        ; implicit-def: $vgpr18_vgpr19
                                        ; implicit-def: $vgpr2
                                        ; implicit-def: $vgpr11
                                        ; implicit-def: $vgpr13
	s_cbranch_execz .LBB2_138
; %bb.137:
	s_lshl_b32 s4, s12, 3
	s_ashr_i32 s13, s12, 31
	s_ashr_i32 s5, s4, 31
	v_mov_b32_e32 v19, v6
	s_lshl_b64 s[4:5], s[4:5], 3
	v_add_nc_u32_e32 v2, 8, v9
	v_add_co_u32 v7, vcc_lo, v3, s4
	v_add_co_ci_u32_e64 v8, null, s5, v4, vcc_lo
	s_lshl_b64 s[4:5], s[12:13], 6
	v_mov_b32_e32 v18, v5
	v_add_co_u32 v10, vcc_lo, v7, s4
	v_add_co_ci_u32_e64 v11, null, s5, v8, vcc_lo
	v_add_co_u32 v12, vcc_lo, v10, s4
	v_add_co_ci_u32_e64 v13, null, s5, v11, vcc_lo
	s_clause 0x3
	global_load_dwordx2 v[3:4], v[3:4], off offset:-256
	global_load_dwordx2 v[7:8], v[7:8], off offset:-256
	;; [unrolled: 1-line block ×4, first 2 shown]
	v_add_nc_u32_e32 v11, 16, v9
	v_add_nc_u32_e32 v13, 24, v9
	s_waitcnt vmcnt(3)
	ds_write_b64 v20, v[3:4]
	s_waitcnt vmcnt(2)
	ds_write_b64 v20, v[7:8] offset:2112
	s_waitcnt vmcnt(1)
	ds_write_b64 v20, v[28:29] offset:4224
	;; [unrolled: 2-line block ×3, first 2 shown]
.LBB2_138:
	v_lshlrev_b32_e32 v3, 3, v9
	v_lshlrev_b32_e32 v2, 3, v2
	s_waitcnt lgkmcnt(0)
	s_barrier
	buffer_gl0_inv
	v_add_nc_u32_e32 v5, v25, v3
	v_add_nc_u32_e32 v6, v25, v2
	v_lshlrev_b32_e32 v4, 3, v11
	v_lshlrev_b32_e32 v7, 3, v13
	ds_read_b64 v[28:29], v5
	ds_read_b64 v[30:31], v6
	ds_read_b64 v[32:33], v2 offset:9088
	ds_read_b64 v[34:35], v3 offset:9088
	v_add_nc_u32_e32 v8, v25, v4
	v_add_nc_u32_e32 v2, v25, v7
	ds_read_b64 v[36:37], v8
	ds_read_b64 v[38:39], v7 offset:9088
	ds_read_b64 v[40:41], v4 offset:9088
	ds_read_b64 v[42:43], v2
	ds_read_b128 v[10:13], v21 offset:256
	ds_read_b128 v[2:5], v21 offset:272
	ds_read2_b64 v[6:9], v27 offset1:33
	ds_read_b64 v[22:23], v22
	ds_read_b64 v[20:21], v27 offset:528
	s_waitcnt lgkmcnt(0)
	s_barrier
	buffer_gl0_inv
	v_mul_f32_e32 v44, v31, v33
	v_mul_f32_e32 v27, v29, v35
	v_mul_f32_e32 v29, v29, v34
	v_mul_f32_e32 v31, v31, v32
	v_mul_f32_e32 v45, v37, v41
	v_mul_f32_e32 v37, v37, v40
	v_fmac_f32_e32 v27, v28, v34
	v_fma_f32 v28, v28, v35, -v29
	v_fmac_f32_e32 v44, v30, v32
	v_fma_f32 v30, v30, v33, -v31
	v_mul_f32_e32 v29, v43, v39
	v_add_f32_e32 v27, 0, v27
	v_add_f32_e32 v28, 0, v28
	v_mul_f32_e32 v31, v43, v38
	v_fmac_f32_e32 v45, v36, v40
	v_fma_f32 v32, v36, v41, -v37
	v_add_f32_e32 v27, v27, v44
	v_add_f32_e32 v28, v28, v30
	v_fmac_f32_e32 v29, v42, v38
	v_fma_f32 v30, v42, v39, -v31
	v_add_f32_e32 v27, v27, v45
	v_add_f32_e32 v28, v28, v32
	v_add_f32_e32 v27, v27, v29
	v_add_f32_e32 v28, v28, v30
	ds_write_b64 v26, v[27:28]
	s_waitcnt lgkmcnt(0)
	s_barrier
	buffer_gl0_inv
	s_and_saveexec_b32 s3, s2
	s_cbranch_execz .LBB2_140
; %bb.139:
	ds_read2_b64 v[27:30], v25 offset1:1
	ds_read2_b64 v[31:34], v25 offset0:2 offset1:3
	ds_read2_b64 v[35:38], v25 offset0:4 offset1:5
	s_waitcnt lgkmcnt(2)
	v_add_f32_e32 v27, v59, v27
	v_add_f32_e32 v28, v60, v28
	;; [unrolled: 1-line block ×4, first 2 shown]
	ds_read2_b64 v[27:30], v25 offset0:6 offset1:7
	s_waitcnt lgkmcnt(2)
	v_add_f32_e32 v31, v39, v31
	v_add_f32_e32 v32, v40, v32
	v_add_f32_e32 v31, v31, v33
	v_add_f32_e32 v32, v32, v34
	s_waitcnt lgkmcnt(1)
	v_add_f32_e32 v31, v31, v35
	v_add_f32_e32 v32, v32, v36
	v_add_f32_e32 v31, v31, v37
	v_add_f32_e32 v32, v32, v38
	;; [unrolled: 5-line block ×3, first 2 shown]
.LBB2_140:
	s_or_b32 exec_lo, exec_lo, s3
	v_mul_f32_e32 v27, v11, v23
	v_mul_f32_e32 v23, v10, v23
	v_mul_f32_e32 v28, v13, v7
	v_mul_f32_e32 v7, v12, v7
	v_mul_f32_e32 v29, v3, v9
	v_fma_f32 v10, v10, v22, -v27
	v_fmac_f32_e32 v23, v11, v22
	v_mul_f32_e32 v9, v2, v9
	v_fma_f32 v12, v12, v6, -v28
	v_fmac_f32_e32 v7, v13, v6
	v_add_f32_e32 v10, 0, v10
	v_add_f32_e32 v6, 0, v23
	v_mul_f32_e32 v11, v5, v21
	v_mul_f32_e32 v13, v4, v21
	v_fma_f32 v2, v2, v8, -v29
	v_add_f32_e32 v10, v10, v12
	v_fmac_f32_e32 v9, v3, v8
	v_add_f32_e32 v3, v6, v7
	v_fma_f32 v4, v4, v20, -v11
	v_fmac_f32_e32 v13, v5, v20
	v_add_f32_e32 v2, v10, v2
	v_add_f32_e32 v3, v3, v9
	s_barrier
	buffer_gl0_inv
	v_add_f32_e32 v2, v2, v4
	v_add_f32_e32 v3, v3, v13
	ds_write_b64 v26, v[2:3]
	s_waitcnt lgkmcnt(0)
	s_barrier
	buffer_gl0_inv
	s_and_saveexec_b32 s2, s1
	s_cbranch_execz .LBB2_142
; %bb.141:
	ds_read2_b64 v[2:5], v25 offset1:1
	ds_read2_b64 v[6:9], v25 offset0:2 offset1:3
	ds_read2_b64 v[10:13], v25 offset0:4 offset1:5
	s_waitcnt lgkmcnt(2)
	v_add_f32_e32 v2, v59, v2
	v_add_f32_e32 v3, v60, v3
	;; [unrolled: 1-line block ×4, first 2 shown]
	ds_read2_b64 v[2:5], v25 offset0:6 offset1:7
	s_waitcnt lgkmcnt(2)
	v_add_f32_e32 v6, v20, v6
	v_add_f32_e32 v7, v21, v7
	v_add_f32_e32 v6, v6, v8
	v_add_f32_e32 v7, v7, v9
	s_waitcnt lgkmcnt(1)
	v_add_f32_e32 v6, v6, v10
	v_add_f32_e32 v7, v7, v11
	v_add_f32_e32 v6, v6, v12
	v_add_f32_e32 v7, v7, v13
	;; [unrolled: 5-line block ×3, first 2 shown]
.LBB2_142:
	s_or_b32 exec_lo, exec_lo, s2
	s_mul_hi_u32 s1, s9, s7
	s_mul_i32 s27, s27, s7
	s_mul_i32 s2, s9, s7
	s_add_i32 s1, s1, s27
	s_mul_hi_u32 s3, s2, s24
	s_mul_i32 s1, s1, s24
	s_mul_i32 s2, s2, s24
	s_add_i32 s3, s3, s1
	s_mul_hi_i32 s5, s9, s6
	s_lshl_b64 s[2:3], s[2:3], 3
	s_mul_i32 s4, s9, s6
	s_add_u32 s1, s14, s2
	s_addc_u32 s8, s15, s3
	s_lshl_b64 s[2:3], s[4:5], 3
	v_lshlrev_b32_e32 v96, 3, v0
	s_add_u32 s7, s1, s2
	s_addc_u32 s11, s8, s3
	s_add_i32 s4, s6, 1
	s_cmp_ge_u32 s4, s24
	s_barrier
	buffer_gl0_inv
	s_cbranch_scc1 .LBB2_200
; %bb.143:
	v_lshlrev_b32_e32 v97, 2, v1
	s_mul_i32 s2, s26, s22
	s_ashr_i32 s13, s12, 31
	s_ashr_i32 s3, s2, 31
	s_lshl_b32 s21, s26, 6
	v_mad_u64_u32 v[2:3], null, s12, v97, v[0:1]
	s_lshl_b64 s[2:3], s[2:3], 3
	s_lshl_b32 s28, s12, 1
	v_sub_co_u32 v98, vcc_lo, v16, s2
	v_subrev_co_ci_u32_e64 v99, null, s3, v17, vcc_lo
	v_ashrrev_i32_e32 v3, 31, v2
	v_add_co_u32 v4, vcc_lo, s18, v2
	s_lshl_b32 s2, s12, 4
	s_mul_i32 s18, s12, 3
	v_add_co_ci_u32_e64 v5, null, s19, v3, vcc_lo
	v_lshlrev_b64 v[2:3], 3, v[2:3]
	s_ashr_i32 s19, s18, 31
	s_ashr_i32 s3, s2, 31
	v_lshlrev_b64 v[4:5], 3, v[4:5]
	s_mul_i32 s26, s26, s4
	s_lshl_b64 s[14:15], s[12:13], 3
	v_add_co_u32 v11, vcc_lo, s16, v2
	s_mul_i32 s5, s12, 0x180
	v_mad_i64_i32 v[6:7], null, s2, 24, v[4:5]
	s_lshl_b64 s[18:19], s[18:19], 3
	s_lshl_b64 s[12:13], s[12:13], 4
	s_add_i32 s20, s24, -2
	s_ashr_i32 s29, s28, 31
	s_lshl_b32 s4, s26, 6
	s_lshl_b64 s[8:9], s[2:3], 5
	v_add_co_ci_u32_e64 v12, null, s17, v3, vcc_lo
	v_add_co_u32 v13, vcc_lo, v6, s18
	s_add_u32 s30, s12, s16
	s_mul_hi_i32 s22, s2, 24
	s_addc_u32 s31, s13, s17
	v_add_co_ci_u32_e64 v16, null, s19, v7, vcc_lo
	v_add_co_u32 v17, vcc_lo, s30, v2
	s_add_u32 s5, s5, s12
	s_addc_u32 s12, s22, s13
	v_add_co_ci_u32_e64 v20, null, s31, v3, vcc_lo
	v_add_co_u32 v4, vcc_lo, s5, v4
	s_add_u32 s5, s14, s16
	v_add_co_ci_u32_e64 v5, null, s12, v5, vcc_lo
	s_addc_u32 s22, s15, s17
	v_add_co_u32 v21, vcc_lo, s5, v2
	s_lshl_b64 s[12:13], s[28:29], 3
	v_add_co_ci_u32_e64 v22, null, s22, v3, vcc_lo
	v_add_co_u32 v23, vcc_lo, v6, s12
	s_add_u32 s26, s16, s12
	v_lshrrev_b32_e32 v8, 4, v24
	v_cmp_gt_u32_e64 s1, 64, v24
	v_add_co_ci_u32_e64 v24, null, s13, v7, vcc_lo
	s_addc_u32 s27, s17, s13
	v_add_co_u32 v25, vcc_lo, s26, v2
	v_add_co_ci_u32_e64 v26, null, s27, v3, vcc_lo
	v_add_co_u32 v27, vcc_lo, v6, s14
	s_add_u32 s26, s16, s18
	v_add_co_ci_u32_e64 v28, null, s15, v7, vcc_lo
	s_addc_u32 s27, s17, s19
	v_add_co_u32 v29, vcc_lo, s26, v2
	v_add_co_ci_u32_e64 v30, null, s27, v3, vcc_lo
	s_lshl_b64 s[26:27], s[2:3], 3
	v_add_co_u32 v103, vcc_lo, v18, v6
	s_add_u32 s28, s16, s26
	s_addc_u32 s29, s17, s27
	s_lshl_b64 s[2:3], s[2:3], 4
	v_add_co_ci_u32_e64 v104, null, v19, v7, vcc_lo
	s_add_u32 s16, s2, s16
	s_addc_u32 s17, s3, s17
	v_add_co_u32 v6, vcc_lo, s28, v2
	s_add_u32 s33, s16, s18
	s_addc_u32 s34, s17, s19
	v_add_co_ci_u32_e64 v7, null, s29, v3, vcc_lo
	v_add_co_u32 v31, vcc_lo, s33, v2
	s_add_u32 s5, s5, s26
	s_addc_u32 s22, s22, s27
	v_add_co_ci_u32_e64 v32, null, s34, v3, vcc_lo
	v_add_co_u32 v33, vcc_lo, s5, v2
	s_add_u32 s2, s30, s2
	s_addc_u32 s3, s31, s3
	v_add_co_ci_u32_e64 v34, null, s22, v3, vcc_lo
	v_add_co_u32 v35, vcc_lo, s2, v2
	s_add_u32 s2, s28, s12
	v_add_co_ci_u32_e64 v36, null, s3, v3, vcc_lo
	s_addc_u32 s3, s29, s13
	v_add_co_u32 v37, vcc_lo, s2, v2
	s_add_u32 s2, s16, s12
	v_add_co_ci_u32_e64 v38, null, s3, v3, vcc_lo
	s_addc_u32 s3, s17, s13
	;; [unrolled: 4-line block ×5, first 2 shown]
	v_add_co_u32 v45, vcc_lo, s2, v2
	v_add_co_ci_u32_e64 v46, null, s3, v3, vcc_lo
	v_add_co_u32 v2, vcc_lo, s16, v2
	v_add_co_ci_u32_e64 v3, null, s17, v3, vcc_lo
	;; [unrolled: 2-line block ×21, first 2 shown]
	v_sub_co_u32 v125, vcc_lo, 0, v14
	v_sub_co_ci_u32_e64 v126, null, 0, v15, vcc_lo
	v_add_co_u32 v127, vcc_lo, v11, 4
	v_add_co_ci_u32_e64 v128, null, 0, v12, vcc_lo
	v_add_co_u32 v129, vcc_lo, v4, 4
	v_add_co_ci_u32_e64 v130, null, 0, v5, vcc_lo
	;; [unrolled: 2-line block ×5, first 2 shown]
	v_add_co_u32 v137, vcc_lo, v6, 4
	v_and_b32_e32 v9, 15, v0
	v_and_b32_e32 v10, 48, v0
	v_lshlrev_b32_e32 v47, 5, v8
	v_add_co_ci_u32_e64 v138, null, 0, v7, vcc_lo
	v_add_co_u32 v139, vcc_lo, v23, 4
	v_add_co_ci_u32_e64 v140, null, 0, v24, vcc_lo
	v_add_co_u32 v141, vcc_lo, v25, 4
	;; [unrolled: 2-line block ×3, first 2 shown]
	v_lshlrev_b32_e32 v10, 3, v10
	v_or_b32_e32 v18, 0x78, v96
	v_mad_u32_u24 v122, 0x218, v9, v47
	v_mul_i32_i24_e32 v8, 0xffffffe8, v8
	v_add_co_ci_u32_e64 v144, null, 0, v28, vcc_lo
	v_add_co_u32 v145, vcc_lo, v29, 4
	v_add_co_ci_u32_e64 v146, null, 0, v30, vcc_lo
	v_add_co_u32 v147, vcc_lo, v2, 4
	v_add_nc_u32_e32 v100, 0x2180, v96
	v_lshl_add_u32 v101, v1, 5, 0x2180
	v_add_nc_u32_e32 v102, 0x2380, v96
	v_mad_u32_u24 v121, 0x860, v1, v96
	v_mad_u32_u24 v123, 0x218, v9, v10
	;; [unrolled: 1-line block ×3, first 2 shown]
	v_add_co_ci_u32_e64 v148, null, 0, v3, vcc_lo
	v_add_nc_u32_e32 v149, v122, v8
	v_add_nc_u32_e32 v150, 49, v97
	v_add_nc_u32_e32 v151, 50, v97
	v_add_nc_u32_e32 v152, 51, v97
	v_add_nc_u32_e32 v61, 64, v58
	v_mov_b32_e32 v63, 0
	s_cmp_eq_u32 s20, s6
	s_cselect_b32 s3, s25, 0
	s_and_saveexec_b32 s2, s0
	s_cbranch_execz .LBB2_148
.LBB2_144:
	v_cmp_le_i32_e32 vcc_lo, s3, v0
	s_cmp_lg_u32 s3, 0
	s_cselect_b32 s5, -1, 0
	s_and_b32 s5, s5, vcc_lo
	s_and_saveexec_b32 s12, s5
	s_xor_b32 s5, exec_lo, s12
; %bb.145:
	v_mov_b32_e32 v64, v63
	ds_write_b64 v100, v[63:64]
; %bb.146:
	s_andn2_saveexec_b32 s5, s5
	s_cbranch_execz .LBB2_148
; %bb.147:
	s_ashr_i32 s5, s4, 31
	s_lshl_b64 s[12:13], s[4:5], 3
	v_add_co_u32 v2, vcc_lo, v98, s12
	v_add_co_ci_u32_e64 v3, null, s13, v99, vcc_lo
	global_load_dwordx2 v[2:3], v[2:3], off
	s_waitcnt vmcnt(0)
	ds_write_b64 v100, v[2:3]
.LBB2_148:                              ; =>This Inner Loop Header: Depth=1
	s_or_b32 exec_lo, exec_lo, s2
	s_cmp_eq_u32 s3, 0
	v_add_co_u32 v2, vcc_lo, v127, v125
	s_cselect_b32 s5, -1, 0
	s_cmp_lg_u32 s3, 0
	v_add_co_ci_u32_e64 v3, null, v128, v126, vcc_lo
	s_cselect_b32 s2, -1, 0
	s_waitcnt lgkmcnt(0)
	s_and_b32 vcc_lo, exec_lo, s2
	s_barrier
	buffer_gl0_inv
	s_cbranch_vccz .LBB2_156
; %bb.149:                              ;   in Loop: Header=BB2_148 Depth=1
	v_mov_b32_e32 v66, 0
	v_mov_b32_e32 v64, 0
	;; [unrolled: 1-line block ×3, first 2 shown]
	s_mov_b32 s12, exec_lo
	v_cmpx_gt_i32_e64 s3, v97
	s_cbranch_execz .LBB2_151
; %bb.150:                              ;   in Loop: Header=BB2_148 Depth=1
	global_load_dwordx2 v[64:65], v[2:3], off offset:-4
.LBB2_151:                              ;   in Loop: Header=BB2_148 Depth=1
	s_or_b32 exec_lo, exec_lo, s12
	v_or_b32_e32 v4, 1, v97
	v_mov_b32_e32 v67, 0
	s_mov_b32 s12, exec_lo
	v_cmpx_gt_i32_e64 s3, v4
	s_cbranch_execz .LBB2_153
; %bb.152:                              ;   in Loop: Header=BB2_148 Depth=1
	v_add_co_u32 v4, vcc_lo, v131, v125
	v_add_co_ci_u32_e64 v5, null, v132, v126, vcc_lo
	global_load_dwordx2 v[66:67], v[4:5], off offset:-4
.LBB2_153:                              ;   in Loop: Header=BB2_148 Depth=1
	s_or_b32 exec_lo, exec_lo, s12
	v_or_b32_e32 v4, 2, v97
	v_mov_b32_e32 v68, 0
	v_mov_b32_e32 v69, 0
	s_mov_b32 s12, exec_lo
	v_cmpx_gt_i32_e64 s3, v4
	s_cbranch_execz .LBB2_155
; %bb.154:                              ;   in Loop: Header=BB2_148 Depth=1
	v_add_co_u32 v4, vcc_lo, v133, v125
	v_add_co_ci_u32_e64 v5, null, v134, v126, vcc_lo
	global_load_dwordx2 v[68:69], v[4:5], off offset:-4
.LBB2_155:                              ;   in Loop: Header=BB2_148 Depth=1
	s_or_b32 exec_lo, exec_lo, s12
	v_or_b32_e32 v4, 3, v97
	v_cmp_gt_i32_e64 s12, s3, v4
	s_branch .LBB2_158
.LBB2_156:                              ;   in Loop: Header=BB2_148 Depth=1
	s_mov_b32 s12, 0
                                        ; implicit-def: $vgpr65
                                        ; implicit-def: $vgpr67
                                        ; implicit-def: $vgpr69
	s_cbranch_execz .LBB2_158
; %bb.157:                              ;   in Loop: Header=BB2_148 Depth=1
	v_add_co_u32 v4, vcc_lo, v131, v125
	v_add_co_ci_u32_e64 v5, null, v132, v126, vcc_lo
	v_add_co_u32 v6, vcc_lo, v107, v125
	v_add_co_ci_u32_e64 v7, null, v108, v126, vcc_lo
	global_load_dwordx2 v[64:65], v[2:3], off offset:-4
	global_load_dwordx2 v[66:67], v[4:5], off offset:-4
	global_load_dwordx2 v[68:69], v[6:7], off
	s_or_b32 s12, s12, exec_lo
.LBB2_158:                              ;   in Loop: Header=BB2_148 Depth=1
	v_mov_b32_e32 v70, 0
	v_mov_b32_e32 v71, 0
	s_and_saveexec_b32 s13, s12
	s_cbranch_execz .LBB2_160
; %bb.159:                              ;   in Loop: Header=BB2_148 Depth=1
	v_add_co_u32 v2, vcc_lo, v135, v125
	v_add_co_ci_u32_e64 v3, null, v136, v126, vcc_lo
	global_load_dwordx2 v[70:71], v[2:3], off offset:-4
.LBB2_160:                              ;   in Loop: Header=BB2_148 Depth=1
	s_or_b32 exec_lo, exec_lo, s13
	ds_read_b64 v[2:3], v102
	v_add_co_u32 v18, vcc_lo, v137, v125
	v_cndmask_b32_e64 v42, 0, 1, s2
	v_add_co_ci_u32_e64 v19, null, v138, v126, vcc_lo
	s_andn2_b32 vcc_lo, exec_lo, s2
	s_waitcnt vmcnt(0) lgkmcnt(0)
	v_mul_f32_e32 v10, v65, v3
	v_mul_f32_e32 v4, v65, v2
	;; [unrolled: 1-line block ×8, first 2 shown]
	v_fmac_f32_e32 v10, v64, v2
	v_fma_f32 v11, v64, v3, -v4
	v_fmac_f32_e32 v12, v66, v2
	v_fma_f32 v13, v66, v3, -v5
	;; [unrolled: 2-line block ×4, first 2 shown]
	ds_read_b128 v[6:9], v101
	ds_read_b128 v[2:5], v101 offset:16
	ds_write2_b64 v121, v[10:11], v[12:13] offset1:67
	ds_write2_b64 v121, v[14:15], v[16:17] offset0:134 offset1:201
	s_waitcnt lgkmcnt(0)
	s_barrier
	buffer_gl0_inv
	ds_read2_b64 v[14:17], v122 offset1:1
	ds_read2_b64 v[10:13], v122 offset0:2 offset1:3
	s_waitcnt lgkmcnt(0)
	s_barrier
	buffer_gl0_inv
	s_cbranch_vccnz .LBB2_168
; %bb.161:                              ;   in Loop: Header=BB2_148 Depth=1
	v_add_nc_u32_e32 v20, 16, v97
	v_mov_b32_e32 v72, 0
	v_mov_b32_e32 v74, 0
	;; [unrolled: 1-line block ×3, first 2 shown]
	s_mov_b32 s2, exec_lo
	v_cmpx_gt_i32_e64 s3, v20
	s_cbranch_execz .LBB2_163
; %bb.162:                              ;   in Loop: Header=BB2_148 Depth=1
	global_load_dwordx2 v[74:75], v[18:19], off offset:-4
.LBB2_163:                              ;   in Loop: Header=BB2_148 Depth=1
	s_or_b32 exec_lo, exec_lo, s2
	v_add_nc_u32_e32 v20, 17, v97
	v_mov_b32_e32 v73, 0
	s_mov_b32 s2, exec_lo
	v_cmpx_gt_i32_e64 s3, v20
	s_cbranch_execz .LBB2_165
; %bb.164:                              ;   in Loop: Header=BB2_148 Depth=1
	v_add_co_u32 v20, vcc_lo, v139, v125
	v_add_co_ci_u32_e64 v21, null, v140, v126, vcc_lo
	global_load_dwordx2 v[72:73], v[20:21], off offset:-4
.LBB2_165:                              ;   in Loop: Header=BB2_148 Depth=1
	s_or_b32 exec_lo, exec_lo, s2
	v_add_nc_u32_e32 v20, 18, v97
	v_mov_b32_e32 v76, 0
	v_mov_b32_e32 v77, 0
	s_mov_b32 s2, exec_lo
	v_cmpx_gt_i32_e64 s3, v20
	s_cbranch_execz .LBB2_167
; %bb.166:                              ;   in Loop: Header=BB2_148 Depth=1
	v_add_co_u32 v20, vcc_lo, v143, v125
	v_add_co_ci_u32_e64 v21, null, v144, v126, vcc_lo
	global_load_dwordx2 v[76:77], v[20:21], off offset:-4
.LBB2_167:                              ;   in Loop: Header=BB2_148 Depth=1
	s_or_b32 exec_lo, exec_lo, s2
	v_add_nc_u32_e32 v20, 19, v97
	v_cmp_gt_i32_e64 s2, s3, v20
	s_branch .LBB2_170
.LBB2_168:                              ;   in Loop: Header=BB2_148 Depth=1
	s_mov_b32 s2, 0
                                        ; implicit-def: $vgpr75
                                        ; implicit-def: $vgpr73
                                        ; implicit-def: $vgpr77
	s_cbranch_execz .LBB2_170
; %bb.169:                              ;   in Loop: Header=BB2_148 Depth=1
	v_add_co_u32 v20, vcc_lo, v139, v125
	v_add_co_ci_u32_e64 v21, null, v140, v126, vcc_lo
	v_add_co_u32 v22, vcc_lo, v117, v125
	v_add_co_ci_u32_e64 v23, null, v118, v126, vcc_lo
	global_load_dwordx2 v[74:75], v[18:19], off offset:-4
	global_load_dwordx2 v[72:73], v[20:21], off offset:-4
	global_load_dwordx2 v[76:77], v[22:23], off
	s_or_b32 s2, s2, exec_lo
.LBB2_170:                              ;   in Loop: Header=BB2_148 Depth=1
	v_mov_b32_e32 v78, 0
	v_mov_b32_e32 v79, 0
	s_and_saveexec_b32 s12, s2
	s_cbranch_execz .LBB2_172
; %bb.171:                              ;   in Loop: Header=BB2_148 Depth=1
	v_add_co_u32 v18, vcc_lo, v145, v125
	v_add_co_ci_u32_e64 v19, null, v146, v126, vcc_lo
	global_load_dwordx2 v[78:79], v[18:19], off offset:-4
.LBB2_172:                              ;   in Loop: Header=BB2_148 Depth=1
	s_or_b32 exec_lo, exec_lo, s12
	ds_read_b64 v[18:19], v102
	v_cmp_ne_u32_e32 vcc_lo, 1, v42
	s_and_b32 vcc_lo, exec_lo, vcc_lo
	s_waitcnt vmcnt(0) lgkmcnt(0)
	v_mul_f32_e32 v26, v75, v19
	v_mul_f32_e32 v20, v75, v18
	;; [unrolled: 1-line block ×8, first 2 shown]
	v_fmac_f32_e32 v26, v74, v18
	v_fma_f32 v27, v74, v19, -v20
	v_fmac_f32_e32 v28, v72, v18
	v_fma_f32 v29, v72, v19, -v21
	;; [unrolled: 2-line block ×4, first 2 shown]
	ds_read_b128 v[22:25], v101 offset:128
	ds_read_b128 v[18:21], v101 offset:144
	ds_write2_b64 v121, v[26:27], v[28:29] offset1:67
	ds_write2_b64 v121, v[30:31], v[32:33] offset0:134 offset1:201
	s_waitcnt lgkmcnt(0)
	s_barrier
	buffer_gl0_inv
	ds_read2_b64 v[38:41], v122 offset1:1
	ds_read2_b64 v[30:33], v122 offset0:2 offset1:3
	v_add_co_u32 v26, s2, v147, v125
	v_add_co_ci_u32_e64 v27, null, v148, v126, s2
	s_waitcnt lgkmcnt(0)
	s_barrier
	buffer_gl0_inv
	s_cbranch_vccnz .LBB2_180
; %bb.173:                              ;   in Loop: Header=BB2_148 Depth=1
	v_add_nc_u32_e32 v28, 32, v97
	v_mov_b32_e32 v80, 0
	v_mov_b32_e32 v82, 0
	;; [unrolled: 1-line block ×3, first 2 shown]
	s_mov_b32 s2, exec_lo
	v_cmpx_gt_i32_e64 s3, v28
	s_cbranch_execz .LBB2_175
; %bb.174:                              ;   in Loop: Header=BB2_148 Depth=1
	global_load_dwordx2 v[82:83], v[26:27], off offset:-4
.LBB2_175:                              ;   in Loop: Header=BB2_148 Depth=1
	s_or_b32 exec_lo, exec_lo, s2
	v_add_nc_u32_e32 v28, 33, v97
	v_mov_b32_e32 v81, 0
	s_mov_b32 s2, exec_lo
	v_cmpx_gt_i32_e64 s3, v28
	s_cbranch_execz .LBB2_177
; %bb.176:                              ;   in Loop: Header=BB2_148 Depth=1
	v_add_co_u32 v28, vcc_lo, v119, v125
	v_add_co_ci_u32_e64 v29, null, v120, v126, vcc_lo
	global_load_dwordx2 v[80:81], v[28:29], off
.LBB2_177:                              ;   in Loop: Header=BB2_148 Depth=1
	s_or_b32 exec_lo, exec_lo, s2
	v_add_nc_u32_e32 v28, 34, v97
	v_mov_b32_e32 v84, 0
	v_mov_b32_e32 v85, 0
	s_mov_b32 s2, exec_lo
	v_cmpx_gt_i32_e64 s3, v28
	s_cbranch_execz .LBB2_179
; %bb.178:                              ;   in Loop: Header=BB2_148 Depth=1
	v_add_co_u32 v28, vcc_lo, v115, v125
	v_add_co_ci_u32_e64 v29, null, v116, v126, vcc_lo
	global_load_dwordx2 v[84:85], v[28:29], off
.LBB2_179:                              ;   in Loop: Header=BB2_148 Depth=1
	s_or_b32 exec_lo, exec_lo, s2
	v_add_nc_u32_e32 v28, 35, v97
	v_cmp_gt_i32_e64 s2, s3, v28
	s_branch .LBB2_182
.LBB2_180:                              ;   in Loop: Header=BB2_148 Depth=1
	s_mov_b32 s2, 0
                                        ; implicit-def: $vgpr83
                                        ; implicit-def: $vgpr81
                                        ; implicit-def: $vgpr85
	s_cbranch_execz .LBB2_182
; %bb.181:                              ;   in Loop: Header=BB2_148 Depth=1
	v_add_co_u32 v28, vcc_lo, v119, v125
	v_add_co_ci_u32_e64 v29, null, v120, v126, vcc_lo
	v_add_co_u32 v34, vcc_lo, v141, v125
	v_add_co_ci_u32_e64 v35, null, v142, v126, vcc_lo
	global_load_dwordx2 v[82:83], v[26:27], off offset:-4
	global_load_dwordx2 v[80:81], v[28:29], off
	global_load_dwordx2 v[84:85], v[34:35], off offset:-4
	s_or_b32 s2, s2, exec_lo
.LBB2_182:                              ;   in Loop: Header=BB2_148 Depth=1
	v_mov_b32_e32 v86, 0
	v_mov_b32_e32 v87, 0
	s_and_saveexec_b32 s12, s2
	s_cbranch_execz .LBB2_184
; %bb.183:                              ;   in Loop: Header=BB2_148 Depth=1
	v_add_co_u32 v26, vcc_lo, v113, v125
	v_add_co_ci_u32_e64 v27, null, v114, v126, vcc_lo
	global_load_dwordx2 v[86:87], v[26:27], off
.LBB2_184:                              ;   in Loop: Header=BB2_148 Depth=1
	s_or_b32 exec_lo, exec_lo, s12
	ds_read_b64 v[26:27], v102
	v_cmp_ne_u32_e32 vcc_lo, 1, v42
	v_add_co_u32 v42, s2, v103, v125
	s_and_b32 vcc_lo, exec_lo, vcc_lo
	s_waitcnt vmcnt(0) lgkmcnt(0)
	v_mul_f32_e32 v43, v83, v27
	v_mul_f32_e32 v28, v83, v26
	;; [unrolled: 1-line block ×8, first 2 shown]
	v_fmac_f32_e32 v43, v82, v26
	v_fma_f32 v44, v82, v27, -v28
	v_fmac_f32_e32 v45, v80, v26
	v_fma_f32 v46, v80, v27, -v29
	v_fmac_f32_e32 v47, v84, v26
	v_fma_f32 v48, v84, v27, -v34
	v_fmac_f32_e32 v49, v86, v26
	v_fma_f32 v50, v86, v27, -v35
	ds_read_b128 v[34:37], v101 offset:256
	ds_read_b128 v[26:29], v101 offset:272
	ds_write2_b64 v121, v[43:44], v[45:46] offset1:67
	ds_write2_b64 v121, v[47:48], v[49:50] offset0:134 offset1:201
	s_waitcnt lgkmcnt(0)
	s_barrier
	buffer_gl0_inv
	ds_read2_b64 v[54:57], v122 offset1:1
	ds_read2_b64 v[50:53], v122 offset0:2 offset1:3
	v_add_co_ci_u32_e64 v43, null, v104, v126, s2
	s_waitcnt lgkmcnt(0)
	s_barrier
	buffer_gl0_inv
	s_cbranch_vccnz .LBB2_192
; %bb.185:                              ;   in Loop: Header=BB2_148 Depth=1
	v_add_nc_u32_e32 v44, 48, v97
	v_mov_b32_e32 v90, 0
	v_mov_b32_e32 v88, 0
	;; [unrolled: 1-line block ×3, first 2 shown]
	s_mov_b32 s2, exec_lo
	v_cmpx_gt_i32_e64 s3, v44
	s_cbranch_execz .LBB2_187
; %bb.186:                              ;   in Loop: Header=BB2_148 Depth=1
	global_load_dwordx2 v[88:89], v[42:43], off
.LBB2_187:                              ;   in Loop: Header=BB2_148 Depth=1
	s_or_b32 exec_lo, exec_lo, s2
	v_mov_b32_e32 v91, 0
	s_mov_b32 s2, exec_lo
	v_cmpx_gt_i32_e64 s3, v150
	s_cbranch_execz .LBB2_189
; %bb.188:                              ;   in Loop: Header=BB2_148 Depth=1
	v_add_co_u32 v44, vcc_lo, v111, v125
	v_add_co_ci_u32_e64 v45, null, v112, v126, vcc_lo
	global_load_dwordx2 v[90:91], v[44:45], off
.LBB2_189:                              ;   in Loop: Header=BB2_148 Depth=1
	s_or_b32 exec_lo, exec_lo, s2
	v_mov_b32_e32 v92, 0
	v_mov_b32_e32 v93, 0
	s_mov_b32 s2, exec_lo
	v_cmpx_gt_i32_e64 s3, v151
	s_cbranch_execz .LBB2_191
; %bb.190:                              ;   in Loop: Header=BB2_148 Depth=1
	v_add_co_u32 v44, vcc_lo, v109, v125
	v_add_co_ci_u32_e64 v45, null, v110, v126, vcc_lo
	global_load_dwordx2 v[92:93], v[44:45], off
.LBB2_191:                              ;   in Loop: Header=BB2_148 Depth=1
	s_or_b32 exec_lo, exec_lo, s2
	v_cmp_gt_i32_e64 s2, s3, v152
	s_branch .LBB2_194
.LBB2_192:                              ;   in Loop: Header=BB2_148 Depth=1
	s_mov_b32 s2, 0
                                        ; implicit-def: $vgpr89
                                        ; implicit-def: $vgpr91
                                        ; implicit-def: $vgpr93
	s_cbranch_execz .LBB2_194
; %bb.193:                              ;   in Loop: Header=BB2_148 Depth=1
	v_add_co_u32 v44, vcc_lo, v111, v125
	v_add_co_ci_u32_e64 v45, null, v112, v126, vcc_lo
	v_add_co_u32 v46, vcc_lo, v129, v125
	v_add_co_ci_u32_e64 v47, null, v130, v126, vcc_lo
	global_load_dwordx2 v[88:89], v[42:43], off
	global_load_dwordx2 v[90:91], v[44:45], off
	global_load_dwordx2 v[92:93], v[46:47], off offset:-4
	s_or_b32 s2, s2, exec_lo
.LBB2_194:                              ;   in Loop: Header=BB2_148 Depth=1
	v_mov_b32_e32 v94, 0
	v_mov_b32_e32 v95, 0
	s_and_saveexec_b32 s12, s2
	s_cbranch_execz .LBB2_196
; %bb.195:                              ;   in Loop: Header=BB2_148 Depth=1
	v_add_co_u32 v42, vcc_lo, v105, v125
	v_add_co_ci_u32_e64 v43, null, v106, v126, vcc_lo
	global_load_dwordx2 v[94:95], v[42:43], off
.LBB2_196:                              ;   in Loop: Header=BB2_148 Depth=1
	s_or_b32 exec_lo, exec_lo, s12
	ds_read_b64 v[42:43], v102
	v_add_f32_e32 v54, 0, v54
	v_add_f32_e32 v55, 0, v55
	;; [unrolled: 1-line block ×10, first 2 shown]
	v_cmp_gt_i32_e32 vcc_lo, s3, v0
	v_add_f32_e32 v14, v14, v16
	v_add_f32_e32 v30, v38, v30
	;; [unrolled: 1-line block ×8, first 2 shown]
	s_waitcnt vmcnt(0) lgkmcnt(0)
	v_mul_f32_e32 v153, v89, v43
	v_mul_f32_e32 v44, v89, v42
	v_mul_f32_e32 v155, v91, v43
	v_mul_f32_e32 v45, v91, v42
	v_mul_f32_e32 v157, v93, v43
	v_mul_f32_e32 v46, v93, v42
	v_mul_f32_e32 v159, v95, v43
	v_mul_f32_e32 v47, v95, v42
	v_fmac_f32_e32 v153, v88, v42
	v_fma_f32 v154, v88, v43, -v44
	v_fmac_f32_e32 v155, v90, v42
	v_fma_f32 v156, v90, v43, -v45
	;; [unrolled: 2-line block ×4, first 2 shown]
	ds_read_b128 v[46:49], v101 offset:384
	ds_read_b128 v[42:45], v101 offset:400
	ds_write2_b64 v121, v[153:154], v[155:156] offset1:67
	ds_write2_b64 v121, v[157:158], v[159:160] offset0:134 offset1:201
	s_waitcnt lgkmcnt(0)
	s_barrier
	buffer_gl0_inv
	ds_read2_b64 v[153:156], v122 offset1:1
	v_add_f32_e32 v157, v55, v57
	ds_read2_b64 v[54:57], v122 offset0:2 offset1:3
	v_add_f32_e32 v12, v39, v12
	v_add_f32_e32 v13, v41, v13
	s_or_b32 s2, s5, vcc_lo
	v_add_f32_e32 v17, v157, v51
	s_and_b32 s3, s1, s2
	s_waitcnt lgkmcnt(0)
	s_barrier
	buffer_gl0_inv
	v_add_f32_e32 v11, v17, v53
	v_add_f32_e32 v38, 0, v153
	;; [unrolled: 1-line block ×10, first 2 shown]
	ds_write2_b64 v149, v[12:13], v[14:15] offset1:16
	ds_write2_b64 v149, v[10:11], v[16:17] offset0:32 offset1:48
	s_waitcnt lgkmcnt(0)
	s_barrier
	buffer_gl0_inv
	s_and_saveexec_b32 s2, s3
	s_cbranch_execz .LBB2_198
; %bb.197:                              ;   in Loop: Header=BB2_148 Depth=1
	ds_read_b64 v[38:39], v123
	ds_read2_b64 v[10:13], v123 offset0:1 offset1:2
	ds_read2_b64 v[14:17], v123 offset0:3 offset1:4
	;; [unrolled: 1-line block ×3, first 2 shown]
	v_ashrrev_i32_e32 v62, 31, v61
	s_waitcnt lgkmcnt(2)
	v_add_f32_e32 v10, v10, v38
	v_add_f32_e32 v11, v11, v39
	v_add_f32_e32 v38, v12, v10
	v_add_f32_e32 v39, v13, v11
	ds_read2_b64 v[10:13], v123 offset0:7 offset1:8
	s_waitcnt lgkmcnt(2)
	v_add_f32_e32 v14, v38, v14
	v_add_f32_e32 v15, v39, v15
	v_add_f32_e32 v38, v14, v16
	v_add_f32_e32 v39, v15, v17
	ds_read2_b64 v[14:17], v123 offset0:9 offset1:10
	;; [unrolled: 6-line block ×4, first 2 shown]
	s_waitcnt lgkmcnt(2)
	v_add_f32_e32 v14, v38, v14
	v_add_f32_e32 v15, v39, v15
	;; [unrolled: 1-line block ×4, first 2 shown]
	ds_read_b64 v[14:15], v124
	s_waitcnt lgkmcnt(2)
	v_add_f32_e32 v16, v16, v30
	v_add_f32_e32 v17, v17, v31
	;; [unrolled: 1-line block ×4, first 2 shown]
	s_waitcnt lgkmcnt(1)
	v_add_f32_e32 v10, v16, v10
	v_add_f32_e32 v11, v17, v11
	;; [unrolled: 1-line block ×4, first 2 shown]
	v_lshlrev_b64 v[10:11], 3, v[61:62]
	s_waitcnt lgkmcnt(0)
	v_add_f32_e32 v12, v12, v14
	v_add_f32_e32 v13, v13, v15
	v_add_co_u32 v10, vcc_lo, s7, v10
	v_add_co_ci_u32_e64 v11, null, s11, v11, vcc_lo
	global_store_dwordx2 v[10:11], v[12:13], off
.LBB2_198:                              ;   in Loop: Header=BB2_148 Depth=1
	s_or_b32 exec_lo, exec_lo, s2
	v_mul_f32_e32 v10, v65, v7
	v_mul_f32_e32 v7, v64, v7
	;; [unrolled: 1-line block ×5, first 2 shown]
	v_fma_f32 v10, v64, v6, -v10
	v_fmac_f32_e32 v7, v65, v6
	v_fma_f32 v11, v66, v8, -v11
	v_mul_f32_e32 v3, v68, v3
	v_mul_f32_e32 v13, v71, v5
	v_add_f32_e32 v10, v59, v10
	v_fma_f32 v6, v68, v2, -v12
	v_fmac_f32_e32 v9, v67, v8
	v_add_f32_e32 v7, v60, v7
	v_mul_f32_e32 v5, v70, v5
	v_add_f32_e32 v10, v10, v11
	v_mul_f32_e32 v14, v75, v23
	v_fma_f32 v8, v70, v4, -v13
	v_fmac_f32_e32 v3, v69, v2
	v_add_f32_e32 v2, v7, v9
	v_add_f32_e32 v6, v10, v6
	v_mul_f32_e32 v15, v74, v23
	v_mul_f32_e32 v11, v73, v25
	v_fma_f32 v7, v74, v22, -v14
	v_fmac_f32_e32 v5, v71, v4
	v_add_f32_e32 v6, v6, v8
	v_add_f32_e32 v2, v2, v3
	v_mul_f32_e32 v10, v72, v25
	v_mul_f32_e32 v8, v77, v19
	v_fma_f32 v3, v72, v24, -v11
	v_add_f32_e32 v4, v6, v7
	v_fmac_f32_e32 v15, v75, v22
	v_add_f32_e32 v2, v2, v5
	v_mul_f32_e32 v6, v79, v21
	v_fma_f32 v5, v76, v18, -v8
	v_add_f32_e32 v3, v4, v3
	v_mul_f32_e32 v4, v76, v19
	v_fmac_f32_e32 v10, v73, v24
	v_add_f32_e32 v2, v2, v15
	v_fma_f32 v6, v78, v20, -v6
	v_add_f32_e32 v3, v3, v5
	v_mul_f32_e32 v5, v83, v35
	v_fmac_f32_e32 v4, v77, v18
	v_add_f32_e32 v2, v2, v10
	v_mul_f32_e32 v7, v78, v21
	v_add_f32_e32 v3, v3, v6
	v_fma_f32 v5, v82, v34, -v5
	v_mul_f32_e32 v6, v81, v37
	v_add_f32_e32 v2, v2, v4
	v_fmac_f32_e32 v7, v79, v20
	v_mul_f32_e32 v4, v82, v35
	v_add_f32_e32 v3, v3, v5
	v_fma_f32 v5, v80, v36, -v6
	v_mul_f32_e32 v6, v85, v27
	v_add_f32_e32 v2, v2, v7
	v_fmac_f32_e32 v4, v83, v34
	v_mul_f32_e32 v7, v80, v37
	v_add_co_u32 v127, vcc_lo, v127, s8
	v_add_co_ci_u32_e64 v128, null, s9, v128, vcc_lo
	v_add_co_u32 v105, vcc_lo, v105, s8
	v_add_co_ci_u32_e64 v106, null, s9, v106, vcc_lo
	v_add_co_u32 v107, vcc_lo, v107, s8
	v_add_f32_e32 v3, v3, v5
	v_fma_f32 v5, v84, v26, -v6
	v_mul_f32_e32 v6, v87, v29
	v_add_f32_e32 v2, v2, v4
	v_fmac_f32_e32 v7, v81, v36
	v_mul_f32_e32 v4, v84, v27
	v_add_co_ci_u32_e64 v108, null, s9, v108, vcc_lo
	v_add_co_u32 v129, vcc_lo, v129, s8
	v_add_co_ci_u32_e64 v130, null, s9, v130, vcc_lo
	v_add_co_u32 v131, vcc_lo, v131, s8
	v_add_f32_e32 v3, v3, v5
	v_fma_f32 v5, v86, v28, -v6
	v_add_f32_e32 v2, v2, v7
	v_fmac_f32_e32 v4, v85, v26
	v_mul_f32_e32 v6, v89, v47
	v_mul_f32_e32 v7, v86, v29
	v_add_co_ci_u32_e64 v132, null, s9, v132, vcc_lo
	v_add_co_u32 v109, vcc_lo, v109, s8
	v_add_co_ci_u32_e64 v110, null, s9, v110, vcc_lo
	v_add_co_u32 v133, vcc_lo, v133, s8
	;; [unrolled: 2-line block ×3, first 2 shown]
	v_add_f32_e32 v3, v3, v5
	v_add_f32_e32 v2, v2, v4
	v_fma_f32 v4, v88, v46, -v6
	v_mul_f32_e32 v5, v91, v49
	v_fmac_f32_e32 v7, v87, v28
	v_mul_f32_e32 v6, v88, v47
	v_add_co_ci_u32_e64 v112, null, s9, v112, vcc_lo
	v_add_co_u32 v135, vcc_lo, v135, s8
	v_add_co_ci_u32_e64 v136, null, s9, v136, vcc_lo
	v_add_co_u32 v103, vcc_lo, v103, s8
	v_add_f32_e32 v3, v3, v4
	v_fma_f32 v4, v90, v48, -v5
	v_add_f32_e32 v2, v2, v7
	v_mul_f32_e32 v5, v90, v49
	v_fmac_f32_e32 v6, v89, v46
	v_add_co_ci_u32_e64 v104, null, s9, v104, vcc_lo
	v_add_co_u32 v137, vcc_lo, v137, s8
	v_add_co_ci_u32_e64 v138, null, s9, v138, vcc_lo
	v_add_co_u32 v113, vcc_lo, v113, s8
	;; [unrolled: 2-line block ×3, first 2 shown]
	v_mul_f32_e32 v7, v93, v43
	v_add_f32_e32 v3, v3, v4
	v_mul_f32_e32 v4, v92, v43
	v_fmac_f32_e32 v5, v91, v48
	v_add_f32_e32 v2, v2, v6
	v_add_co_ci_u32_e64 v140, null, s9, v140, vcc_lo
	v_add_co_u32 v141, vcc_lo, v141, s8
	v_add_co_ci_u32_e64 v142, null, s9, v142, vcc_lo
	v_add_co_u32 v143, vcc_lo, v143, s8
	v_fma_f32 v6, v92, v42, -v7
	v_mul_f32_e32 v7, v95, v45
	v_mul_f32_e32 v8, v94, v45
	v_fmac_f32_e32 v4, v93, v42
	v_add_f32_e32 v2, v2, v5
	v_add_co_ci_u32_e64 v144, null, s9, v144, vcc_lo
	v_add_co_u32 v115, vcc_lo, v115, s8
	v_add_co_ci_u32_e64 v116, null, s9, v116, vcc_lo
	v_add_co_u32 v117, vcc_lo, v117, s8
	;; [unrolled: 2-line block ×3, first 2 shown]
	v_add_f32_e32 v3, v3, v6
	v_fma_f32 v5, v94, v44, -v7
	v_fmac_f32_e32 v8, v95, v44
	v_add_f32_e32 v2, v2, v4
	v_add_co_ci_u32_e64 v120, null, s9, v120, vcc_lo
	v_add_co_u32 v145, vcc_lo, v145, s8
	v_add_co_ci_u32_e64 v146, null, s9, v146, vcc_lo
	v_add_co_u32 v147, vcc_lo, v147, s8
	v_add_f32_e32 v59, v3, v5
	v_add_f32_e32 v60, v2, v8
	v_add_nc_u32_e32 v61, 64, v61
	v_add_co_ci_u32_e64 v148, null, s9, v148, vcc_lo
	s_add_i32 s3, s6, 2
	s_add_i32 s2, s6, 1
	;; [unrolled: 1-line block ×3, first 2 shown]
	s_cmp_ge_u32 s3, s24
	s_waitcnt_vscnt null, 0x0
	s_barrier
	buffer_gl0_inv
	s_cbranch_scc1 .LBB2_200
; %bb.199:                              ;   in Loop: Header=BB2_148 Depth=1
	s_mov_b32 s6, s2
	s_cmp_eq_u32 s20, s6
	s_cselect_b32 s3, s25, 0
	s_and_saveexec_b32 s2, s0
	s_cbranch_execnz .LBB2_144
	s_branch .LBB2_148
.LBB2_200:
	v_cmp_gt_i32_e32 vcc_lo, s10, v0
	v_mad_u32_u24 v1, 0x218, v1, v96
	s_or_b32 s1, s23, vcc_lo
	ds_write_b64 v1, v[59:60]
	s_and_b32 s0, s0, s1
	s_waitcnt lgkmcnt(0)
	s_barrier
	buffer_gl0_inv
	s_and_saveexec_b32 s1, s0
	s_cbranch_execz .LBB2_202
; %bb.201:
	ds_read2_b64 v[0:3], v96 offset1:67
	ds_read2_b64 v[4:7], v96 offset0:134 offset1:201
	v_ashrrev_i32_e32 v59, 31, v58
	s_waitcnt lgkmcnt(1)
	v_add_f32_e32 v0, v2, v0
	v_add_f32_e32 v1, v3, v1
	s_waitcnt lgkmcnt(0)
	v_add_f32_e32 v2, v4, v0
	v_add_f32_e32 v3, v5, v1
	v_lshlrev_b64 v[0:1], 3, v[58:59]
	v_add_f32_e32 v2, v2, v6
	v_add_f32_e32 v3, v3, v7
	v_add_co_u32 v0, vcc_lo, s7, v0
	v_add_co_ci_u32_e64 v1, null, s11, v1, vcc_lo
	global_store_dwordx2 v[0:1], v[2:3], off
.LBB2_202:
	s_endpgm
	.section	.rodata,"a",@progbits
	.p2align	6, 0x0
	.amdhsa_kernel _ZL26rocblas_hemvn_kernel_upperILb1ELi64ELi4ELi33ELi32ELi16EiPK19rocblas_complex_numIfES3_PS1_EviT6_lT7_lT5_lS6_lS7_lS5_lT8_i
		.amdhsa_group_segment_fixed_size 9600
		.amdhsa_private_segment_fixed_size 0
		.amdhsa_kernarg_size 376
		.amdhsa_user_sgpr_count 6
		.amdhsa_user_sgpr_private_segment_buffer 1
		.amdhsa_user_sgpr_dispatch_ptr 0
		.amdhsa_user_sgpr_queue_ptr 0
		.amdhsa_user_sgpr_kernarg_segment_ptr 1
		.amdhsa_user_sgpr_dispatch_id 0
		.amdhsa_user_sgpr_flat_scratch_init 0
		.amdhsa_user_sgpr_private_segment_size 0
		.amdhsa_wavefront_size32 1
		.amdhsa_uses_dynamic_stack 0
		.amdhsa_system_sgpr_private_segment_wavefront_offset 0
		.amdhsa_system_sgpr_workgroup_id_x 1
		.amdhsa_system_sgpr_workgroup_id_y 0
		.amdhsa_system_sgpr_workgroup_id_z 1
		.amdhsa_system_sgpr_workgroup_info 0
		.amdhsa_system_vgpr_workitem_id 1
		.amdhsa_next_free_vgpr 161
		.amdhsa_next_free_sgpr 35
		.amdhsa_reserve_vcc 1
		.amdhsa_reserve_flat_scratch 0
		.amdhsa_float_round_mode_32 0
		.amdhsa_float_round_mode_16_64 0
		.amdhsa_float_denorm_mode_32 3
		.amdhsa_float_denorm_mode_16_64 3
		.amdhsa_dx10_clamp 1
		.amdhsa_ieee_mode 1
		.amdhsa_fp16_overflow 0
		.amdhsa_workgroup_processor_mode 1
		.amdhsa_memory_ordered 1
		.amdhsa_forward_progress 1
		.amdhsa_shared_vgpr_count 0
		.amdhsa_exception_fp_ieee_invalid_op 0
		.amdhsa_exception_fp_denorm_src 0
		.amdhsa_exception_fp_ieee_div_zero 0
		.amdhsa_exception_fp_ieee_overflow 0
		.amdhsa_exception_fp_ieee_underflow 0
		.amdhsa_exception_fp_ieee_inexact 0
		.amdhsa_exception_int_div_zero 0
	.end_amdhsa_kernel
	.section	.text._ZL26rocblas_hemvn_kernel_upperILb1ELi64ELi4ELi33ELi32ELi16EiPK19rocblas_complex_numIfES3_PS1_EviT6_lT7_lT5_lS6_lS7_lS5_lT8_i,"axG",@progbits,_ZL26rocblas_hemvn_kernel_upperILb1ELi64ELi4ELi33ELi32ELi16EiPK19rocblas_complex_numIfES3_PS1_EviT6_lT7_lT5_lS6_lS7_lS5_lT8_i,comdat
.Lfunc_end2:
	.size	_ZL26rocblas_hemvn_kernel_upperILb1ELi64ELi4ELi33ELi32ELi16EiPK19rocblas_complex_numIfES3_PS1_EviT6_lT7_lT5_lS6_lS7_lS5_lT8_i, .Lfunc_end2-_ZL26rocblas_hemvn_kernel_upperILb1ELi64ELi4ELi33ELi32ELi16EiPK19rocblas_complex_numIfES3_PS1_EviT6_lT7_lT5_lS6_lS7_lS5_lT8_i
                                        ; -- End function
	.set _ZL26rocblas_hemvn_kernel_upperILb1ELi64ELi4ELi33ELi32ELi16EiPK19rocblas_complex_numIfES3_PS1_EviT6_lT7_lT5_lS6_lS7_lS5_lT8_i.num_vgpr, 161
	.set _ZL26rocblas_hemvn_kernel_upperILb1ELi64ELi4ELi33ELi32ELi16EiPK19rocblas_complex_numIfES3_PS1_EviT6_lT7_lT5_lS6_lS7_lS5_lT8_i.num_agpr, 0
	.set _ZL26rocblas_hemvn_kernel_upperILb1ELi64ELi4ELi33ELi32ELi16EiPK19rocblas_complex_numIfES3_PS1_EviT6_lT7_lT5_lS6_lS7_lS5_lT8_i.numbered_sgpr, 35
	.set _ZL26rocblas_hemvn_kernel_upperILb1ELi64ELi4ELi33ELi32ELi16EiPK19rocblas_complex_numIfES3_PS1_EviT6_lT7_lT5_lS6_lS7_lS5_lT8_i.num_named_barrier, 0
	.set _ZL26rocblas_hemvn_kernel_upperILb1ELi64ELi4ELi33ELi32ELi16EiPK19rocblas_complex_numIfES3_PS1_EviT6_lT7_lT5_lS6_lS7_lS5_lT8_i.private_seg_size, 0
	.set _ZL26rocblas_hemvn_kernel_upperILb1ELi64ELi4ELi33ELi32ELi16EiPK19rocblas_complex_numIfES3_PS1_EviT6_lT7_lT5_lS6_lS7_lS5_lT8_i.uses_vcc, 1
	.set _ZL26rocblas_hemvn_kernel_upperILb1ELi64ELi4ELi33ELi32ELi16EiPK19rocblas_complex_numIfES3_PS1_EviT6_lT7_lT5_lS6_lS7_lS5_lT8_i.uses_flat_scratch, 0
	.set _ZL26rocblas_hemvn_kernel_upperILb1ELi64ELi4ELi33ELi32ELi16EiPK19rocblas_complex_numIfES3_PS1_EviT6_lT7_lT5_lS6_lS7_lS5_lT8_i.has_dyn_sized_stack, 0
	.set _ZL26rocblas_hemvn_kernel_upperILb1ELi64ELi4ELi33ELi32ELi16EiPK19rocblas_complex_numIfES3_PS1_EviT6_lT7_lT5_lS6_lS7_lS5_lT8_i.has_recursion, 0
	.set _ZL26rocblas_hemvn_kernel_upperILb1ELi64ELi4ELi33ELi32ELi16EiPK19rocblas_complex_numIfES3_PS1_EviT6_lT7_lT5_lS6_lS7_lS5_lT8_i.has_indirect_call, 0
	.section	.AMDGPU.csdata,"",@progbits
; Kernel info:
; codeLenInByte = 10332
; TotalNumSgprs: 37
; NumVgprs: 161
; ScratchSize: 0
; MemoryBound: 1
; FloatMode: 240
; IeeeMode: 1
; LDSByteSize: 9600 bytes/workgroup (compile time only)
; SGPRBlocks: 0
; VGPRBlocks: 20
; NumSGPRsForWavesPerEU: 37
; NumVGPRsForWavesPerEU: 161
; Occupancy: 5
; WaveLimiterHint : 1
; COMPUTE_PGM_RSRC2:SCRATCH_EN: 0
; COMPUTE_PGM_RSRC2:USER_SGPR: 6
; COMPUTE_PGM_RSRC2:TRAP_HANDLER: 0
; COMPUTE_PGM_RSRC2:TGID_X_EN: 1
; COMPUTE_PGM_RSRC2:TGID_Y_EN: 0
; COMPUTE_PGM_RSRC2:TGID_Z_EN: 1
; COMPUTE_PGM_RSRC2:TIDIG_COMP_CNT: 1
	.section	.text._ZL36rocblas_hemvn_kernel_upper_block_sumILi64EiPK19rocblas_complex_numIfEPS1_S1_EviT1_lS5_lT2_lT0_lPT3_i,"axG",@progbits,_ZL36rocblas_hemvn_kernel_upper_block_sumILi64EiPK19rocblas_complex_numIfEPS1_S1_EviT1_lS5_lT2_lT0_lPT3_i,comdat
	.globl	_ZL36rocblas_hemvn_kernel_upper_block_sumILi64EiPK19rocblas_complex_numIfEPS1_S1_EviT1_lS5_lT2_lT0_lPT3_i ; -- Begin function _ZL36rocblas_hemvn_kernel_upper_block_sumILi64EiPK19rocblas_complex_numIfEPS1_S1_EviT1_lS5_lT2_lT0_lPT3_i
	.p2align	8
	.type	_ZL36rocblas_hemvn_kernel_upper_block_sumILi64EiPK19rocblas_complex_numIfEPS1_S1_EviT1_lS5_lT2_lT0_lPT3_i,@function
_ZL36rocblas_hemvn_kernel_upper_block_sumILi64EiPK19rocblas_complex_numIfEPS1_S1_EviT1_lS5_lT2_lT0_lPT3_i: ; @_ZL36rocblas_hemvn_kernel_upper_block_sumILi64EiPK19rocblas_complex_numIfEPS1_S1_EviT1_lS5_lT2_lT0_lPT3_i
; %bb.0:
	s_load_dwordx8 s[8:15], s[4:5], 0x8
	s_waitcnt lgkmcnt(0)
	s_mul_i32 s1, s11, s7
	s_mul_hi_u32 s2, s10, s7
	s_mul_i32 s0, s10, s7
	s_add_i32 s1, s2, s1
	s_mul_i32 s2, s15, s7
	s_lshl_b64 s[0:1], s[0:1], 3
	s_add_u32 s0, s8, s0
	s_addc_u32 s1, s9, s1
	s_load_dwordx2 s[10:11], s[0:1], 0x0
	s_mul_hi_u32 s1, s14, s7
	s_mul_i32 s0, s14, s7
	s_add_i32 s1, s1, s2
	s_lshl_b64 s[0:1], s[0:1], 3
	s_add_u32 s0, s12, s0
	s_addc_u32 s1, s13, s1
	s_load_dwordx2 s[8:9], s[0:1], 0x0
	s_waitcnt lgkmcnt(0)
	s_or_b32 s0, s10, s11
	s_bitset0_b32 s0, 31
	s_cmp_eq_u32 s0, 0
	s_cselect_b32 s13, -1, 0
	s_cmp_lg_u32 s0, 0
	s_mov_b32 s0, -1
	s_cbranch_scc1 .LBB3_2
; %bb.1:
	v_cmp_neq_f32_e64 s0, s8, 1.0
	v_cmp_neq_f32_e64 s1, s9, 0
	s_or_b32 s0, s0, s1
.LBB3_2:
	s_andn2_b32 vcc_lo, exec_lo, s0
	s_cbranch_vccnz .LBB3_19
; %bb.3:
	s_clause 0x3
	s_load_dwordx4 s[0:3], s[4:5], 0x40
	s_load_dwordx4 s[20:23], s[4:5], 0x28
	s_load_dword s16, s[4:5], 0x38
	s_load_dword s12, s[4:5], 0x0
	v_lshl_or_b32 v0, s6, 6, v0
	s_waitcnt lgkmcnt(0)
	s_mul_i32 s1, s1, s7
	s_mul_hi_u32 s14, s0, s7
	s_mul_i32 s0, s0, s7
	s_add_i32 s1, s14, s1
	s_lshl_b64 s[0:1], s[0:1], 3
	s_add_u32 s17, s20, s0
	s_addc_u32 s1, s21, s1
	s_lshl_b64 s[14:15], s[22:23], 3
	v_cmp_gt_i32_e64 s0, s12, v0
	s_add_u32 s14, s17, s14
	s_addc_u32 s15, s1, s15
	s_andn2_b32 vcc_lo, exec_lo, s13
	s_mov_b32 s1, -1
	s_cbranch_vccnz .LBB3_9
; %bb.4:
	s_and_saveexec_b32 s1, s0
	s_cbranch_execz .LBB3_8
; %bb.5:
	v_mul_lo_u32 v1, s16, v0
	v_cmp_neq_f32_e64 s0, s8, 0
	v_cmp_neq_f32_e64 s13, s9, 0
	v_mov_b32_e32 v3, 0
	v_mov_b32_e32 v4, 0
	s_or_b32 s0, s0, s13
	v_ashrrev_i32_e32 v2, 31, v1
	s_andn2_b32 vcc_lo, exec_lo, s0
	v_lshlrev_b64 v[1:2], 3, v[1:2]
	s_cbranch_vccnz .LBB3_7
; %bb.6:
	v_add_co_u32 v3, vcc_lo, s14, v1
	v_add_co_ci_u32_e64 v4, null, s15, v2, vcc_lo
	global_load_dwordx2 v[5:6], v[3:4], off
	s_waitcnt vmcnt(0)
	v_mul_f32_e32 v3, s9, v6
	v_mul_f32_e32 v4, s8, v6
	v_fma_f32 v3, v5, s8, -v3
	v_fmac_f32_e32 v4, s9, v5
.LBB3_7:
	v_add_co_u32 v1, vcc_lo, s14, v1
	v_add_co_ci_u32_e64 v2, null, s15, v2, vcc_lo
	global_store_dwordx2 v[1:2], v[3:4], off
.LBB3_8:
	s_or_b32 exec_lo, exec_lo, s1
	s_mov_b32 s1, 0
.LBB3_9:
	s_andn2_b32 vcc_lo, exec_lo, s1
	s_cbranch_vccnz .LBB3_19
; %bb.10:
	s_mov_b32 s0, exec_lo
	v_cmpx_gt_i32_e64 s12, v0
	s_cbranch_execz .LBB3_19
; %bb.11:
	v_mov_b32_e32 v1, 0
	v_mov_b32_e32 v4, 0
	s_cmp_lt_i32 s6, 0
	s_cbranch_scc1 .LBB3_14
; %bb.12:
	s_load_dword s0, s[4:5], 0x58
	s_ashr_i32 s13, s12, 31
	s_mul_hi_u32 s1, s12, s7
	s_mul_i32 s4, s13, s7
	v_mov_b32_e32 v1, 0
	s_add_i32 s1, s1, s4
	s_mul_i32 s4, s12, s7
	v_lshlrev_b64 v[2:3], 3, v[0:1]
	v_mov_b32_e32 v4, v1
	s_waitcnt lgkmcnt(0)
	s_mul_i32 s1, s1, s0
	s_mul_hi_u32 s5, s4, s0
	s_mul_i32 s0, s4, s0
	s_add_i32 s1, s5, s1
	s_add_i32 s4, s6, 1
	s_lshl_b64 s[0:1], s[0:1], 3
	s_add_u32 s0, s2, s0
	s_addc_u32 s1, s3, s1
	v_add_co_u32 v2, vcc_lo, s0, v2
	v_add_co_ci_u32_e64 v3, null, s1, v3, vcc_lo
	s_lshl_b64 s[0:1], s[12:13], 3
	v_add_co_u32 v2, vcc_lo, v2, 4
	v_add_co_ci_u32_e64 v3, null, 0, v3, vcc_lo
.LBB3_13:                               ; =>This Inner Loop Header: Depth=1
	global_load_dwordx2 v[5:6], v[2:3], off offset:-4
	v_add_co_u32 v2, vcc_lo, v2, s0
	v_add_co_ci_u32_e64 v3, null, s1, v3, vcc_lo
	s_add_i32 s4, s4, -1
	s_cmp_eq_u32 s4, 0
	s_waitcnt vmcnt(0)
	v_add_f32_e32 v4, v4, v5
	v_add_f32_e32 v1, v1, v6
	s_cbranch_scc0 .LBB3_13
.LBB3_14:
	v_mul_lo_u32 v2, s16, v0
	v_mul_f32_e32 v0, s11, v1
	v_mul_f32_e32 v1, s10, v1
	v_cmp_neq_f32_e64 s0, s8, 0
	v_cmp_neq_f32_e64 s1, s9, 0
	v_fma_f32 v0, v4, s10, -v0
	v_fmac_f32_e32 v1, s11, v4
	v_ashrrev_i32_e32 v3, 31, v2
	s_or_b32 s0, s0, s1
	s_andn2_b32 vcc_lo, exec_lo, s0
	s_mov_b32 s0, 0
	s_cbranch_vccnz .LBB3_16
; %bb.15:
	s_mov_b32 s0, -1
.LBB3_16:
	s_andn2_b32 vcc_lo, exec_lo, s0
	s_cbranch_vccnz .LBB3_18
; %bb.17:
	v_lshlrev_b64 v[4:5], 3, v[2:3]
	v_add_co_u32 v4, vcc_lo, s14, v4
	v_add_co_ci_u32_e64 v5, null, s15, v5, vcc_lo
	global_load_dwordx2 v[4:5], v[4:5], off
	s_waitcnt vmcnt(0)
	v_mul_f32_e32 v6, s9, v5
	v_mul_f32_e32 v5, s8, v5
	v_fma_f32 v6, v4, s8, -v6
	v_fmac_f32_e32 v5, s9, v4
	v_add_f32_e32 v0, v0, v6
	v_add_f32_e32 v1, v1, v5
.LBB3_18:
	v_lshlrev_b64 v[2:3], 3, v[2:3]
	v_add_co_u32 v2, vcc_lo, s14, v2
	v_add_co_ci_u32_e64 v3, null, s15, v3, vcc_lo
	global_store_dwordx2 v[2:3], v[0:1], off
.LBB3_19:
	s_endpgm
	.section	.rodata,"a",@progbits
	.p2align	6, 0x0
	.amdhsa_kernel _ZL36rocblas_hemvn_kernel_upper_block_sumILi64EiPK19rocblas_complex_numIfEPS1_S1_EviT1_lS5_lT2_lT0_lPT3_i
		.amdhsa_group_segment_fixed_size 0
		.amdhsa_private_segment_fixed_size 0
		.amdhsa_kernarg_size 344
		.amdhsa_user_sgpr_count 6
		.amdhsa_user_sgpr_private_segment_buffer 1
		.amdhsa_user_sgpr_dispatch_ptr 0
		.amdhsa_user_sgpr_queue_ptr 0
		.amdhsa_user_sgpr_kernarg_segment_ptr 1
		.amdhsa_user_sgpr_dispatch_id 0
		.amdhsa_user_sgpr_flat_scratch_init 0
		.amdhsa_user_sgpr_private_segment_size 0
		.amdhsa_wavefront_size32 1
		.amdhsa_uses_dynamic_stack 0
		.amdhsa_system_sgpr_private_segment_wavefront_offset 0
		.amdhsa_system_sgpr_workgroup_id_x 1
		.amdhsa_system_sgpr_workgroup_id_y 0
		.amdhsa_system_sgpr_workgroup_id_z 1
		.amdhsa_system_sgpr_workgroup_info 0
		.amdhsa_system_vgpr_workitem_id 0
		.amdhsa_next_free_vgpr 7
		.amdhsa_next_free_sgpr 24
		.amdhsa_reserve_vcc 1
		.amdhsa_reserve_flat_scratch 0
		.amdhsa_float_round_mode_32 0
		.amdhsa_float_round_mode_16_64 0
		.amdhsa_float_denorm_mode_32 3
		.amdhsa_float_denorm_mode_16_64 3
		.amdhsa_dx10_clamp 1
		.amdhsa_ieee_mode 1
		.amdhsa_fp16_overflow 0
		.amdhsa_workgroup_processor_mode 1
		.amdhsa_memory_ordered 1
		.amdhsa_forward_progress 1
		.amdhsa_shared_vgpr_count 0
		.amdhsa_exception_fp_ieee_invalid_op 0
		.amdhsa_exception_fp_denorm_src 0
		.amdhsa_exception_fp_ieee_div_zero 0
		.amdhsa_exception_fp_ieee_overflow 0
		.amdhsa_exception_fp_ieee_underflow 0
		.amdhsa_exception_fp_ieee_inexact 0
		.amdhsa_exception_int_div_zero 0
	.end_amdhsa_kernel
	.section	.text._ZL36rocblas_hemvn_kernel_upper_block_sumILi64EiPK19rocblas_complex_numIfEPS1_S1_EviT1_lS5_lT2_lT0_lPT3_i,"axG",@progbits,_ZL36rocblas_hemvn_kernel_upper_block_sumILi64EiPK19rocblas_complex_numIfEPS1_S1_EviT1_lS5_lT2_lT0_lPT3_i,comdat
.Lfunc_end3:
	.size	_ZL36rocblas_hemvn_kernel_upper_block_sumILi64EiPK19rocblas_complex_numIfEPS1_S1_EviT1_lS5_lT2_lT0_lPT3_i, .Lfunc_end3-_ZL36rocblas_hemvn_kernel_upper_block_sumILi64EiPK19rocblas_complex_numIfEPS1_S1_EviT1_lS5_lT2_lT0_lPT3_i
                                        ; -- End function
	.set _ZL36rocblas_hemvn_kernel_upper_block_sumILi64EiPK19rocblas_complex_numIfEPS1_S1_EviT1_lS5_lT2_lT0_lPT3_i.num_vgpr, 7
	.set _ZL36rocblas_hemvn_kernel_upper_block_sumILi64EiPK19rocblas_complex_numIfEPS1_S1_EviT1_lS5_lT2_lT0_lPT3_i.num_agpr, 0
	.set _ZL36rocblas_hemvn_kernel_upper_block_sumILi64EiPK19rocblas_complex_numIfEPS1_S1_EviT1_lS5_lT2_lT0_lPT3_i.numbered_sgpr, 24
	.set _ZL36rocblas_hemvn_kernel_upper_block_sumILi64EiPK19rocblas_complex_numIfEPS1_S1_EviT1_lS5_lT2_lT0_lPT3_i.num_named_barrier, 0
	.set _ZL36rocblas_hemvn_kernel_upper_block_sumILi64EiPK19rocblas_complex_numIfEPS1_S1_EviT1_lS5_lT2_lT0_lPT3_i.private_seg_size, 0
	.set _ZL36rocblas_hemvn_kernel_upper_block_sumILi64EiPK19rocblas_complex_numIfEPS1_S1_EviT1_lS5_lT2_lT0_lPT3_i.uses_vcc, 1
	.set _ZL36rocblas_hemvn_kernel_upper_block_sumILi64EiPK19rocblas_complex_numIfEPS1_S1_EviT1_lS5_lT2_lT0_lPT3_i.uses_flat_scratch, 0
	.set _ZL36rocblas_hemvn_kernel_upper_block_sumILi64EiPK19rocblas_complex_numIfEPS1_S1_EviT1_lS5_lT2_lT0_lPT3_i.has_dyn_sized_stack, 0
	.set _ZL36rocblas_hemvn_kernel_upper_block_sumILi64EiPK19rocblas_complex_numIfEPS1_S1_EviT1_lS5_lT2_lT0_lPT3_i.has_recursion, 0
	.set _ZL36rocblas_hemvn_kernel_upper_block_sumILi64EiPK19rocblas_complex_numIfEPS1_S1_EviT1_lS5_lT2_lT0_lPT3_i.has_indirect_call, 0
	.section	.AMDGPU.csdata,"",@progbits
; Kernel info:
; codeLenInByte = 776
; TotalNumSgprs: 26
; NumVgprs: 7
; ScratchSize: 0
; MemoryBound: 0
; FloatMode: 240
; IeeeMode: 1
; LDSByteSize: 0 bytes/workgroup (compile time only)
; SGPRBlocks: 0
; VGPRBlocks: 0
; NumSGPRsForWavesPerEU: 26
; NumVGPRsForWavesPerEU: 7
; Occupancy: 16
; WaveLimiterHint : 0
; COMPUTE_PGM_RSRC2:SCRATCH_EN: 0
; COMPUTE_PGM_RSRC2:USER_SGPR: 6
; COMPUTE_PGM_RSRC2:TRAP_HANDLER: 0
; COMPUTE_PGM_RSRC2:TGID_X_EN: 1
; COMPUTE_PGM_RSRC2:TGID_Y_EN: 0
; COMPUTE_PGM_RSRC2:TGID_Z_EN: 1
; COMPUTE_PGM_RSRC2:TIDIG_COMP_CNT: 0
	.section	.text._ZL26rocblas_hemvn_kernel_upperILb1ELi64ELi4ELi33ELi32ELi16El19rocblas_complex_numIfEPKS1_PS1_EviT6_lT7_lT5_lS6_lS7_lS5_lT8_i,"axG",@progbits,_ZL26rocblas_hemvn_kernel_upperILb1ELi64ELi4ELi33ELi32ELi16El19rocblas_complex_numIfEPKS1_PS1_EviT6_lT7_lT5_lS6_lS7_lS5_lT8_i,comdat
	.globl	_ZL26rocblas_hemvn_kernel_upperILb1ELi64ELi4ELi33ELi32ELi16El19rocblas_complex_numIfEPKS1_PS1_EviT6_lT7_lT5_lS6_lS7_lS5_lT8_i ; -- Begin function _ZL26rocblas_hemvn_kernel_upperILb1ELi64ELi4ELi33ELi32ELi16El19rocblas_complex_numIfEPKS1_PS1_EviT6_lT7_lT5_lS6_lS7_lS5_lT8_i
	.p2align	8
	.type	_ZL26rocblas_hemvn_kernel_upperILb1ELi64ELi4ELi33ELi32ELi16El19rocblas_complex_numIfEPKS1_PS1_EviT6_lT7_lT5_lS6_lS7_lS5_lT8_i,@function
_ZL26rocblas_hemvn_kernel_upperILb1ELi64ELi4ELi33ELi32ELi16El19rocblas_complex_numIfEPKS1_PS1_EviT6_lT7_lT5_lS6_lS7_lS5_lT8_i: ; @_ZL26rocblas_hemvn_kernel_upperILb1ELi64ELi4ELi33ELi32ELi16El19rocblas_complex_numIfEPKS1_PS1_EviT6_lT7_lT5_lS6_lS7_lS5_lT8_i
; %bb.0:
	s_load_dwordx2 s[2:3], s[4:5], 0x84
	s_add_u32 s0, s4, 0x78
	s_addc_u32 s1, s5, 0
	s_waitcnt lgkmcnt(0)
	s_lshr_b32 s8, s2, 16
	s_and_b32 s2, s2, 0xffff
	s_and_b32 s3, s3, 0xffff
	s_mul_i32 s2, s8, s2
	s_mul_i32 s2, s2, s3
	s_cmpk_lg_i32 s2, 0x100
	s_cbranch_scc1 .LBB4_202
; %bb.1:
	s_load_dwordx2 s[2:3], s[4:5], 0x4
	s_waitcnt lgkmcnt(0)
	s_or_b32 s2, s2, s3
	s_mov_b32 s3, -1
	s_bitset0_b32 s2, 31
	s_cmp_lg_u32 s2, 0
	s_cselect_b32 s2, -1, 0
	s_and_b32 vcc_lo, exec_lo, s2
	s_cbranch_vccnz .LBB4_3
; %bb.2:
	s_load_dwordx2 s[8:9], s[4:5], 0x58
	s_waitcnt lgkmcnt(0)
	v_cmp_neq_f32_e64 s3, s8, 1.0
	v_cmp_neq_f32_e64 s8, s9, 0
	s_or_b32 s3, s3, s8
.LBB4_3:
	s_andn2_b32 vcc_lo, exec_lo, s3
	s_cbranch_vccnz .LBB4_202
; %bb.4:
	s_andn2_b32 vcc_lo, exec_lo, s2
	s_cbranch_vccnz .LBB4_202
; %bb.5:
	s_clause 0x1
	s_load_dwordx16 s[8:23], s[4:5], 0x18
	s_load_dword s24, s[4:5], 0x0
	s_waitcnt lgkmcnt(0)
	s_mul_i32 s3, s23, s7
	s_mul_hi_u32 s23, s22, s7
	s_mul_i32 s2, s22, s7
	s_add_i32 s3, s23, s3
	s_load_dword s22, s[0:1], 0x0
	s_lshl_b64 s[2:3], s[2:3], 3
	s_add_u32 s16, s16, s2
	s_addc_u32 s17, s17, s3
	s_lshl_b64 s[2:3], s[18:19], 3
	s_add_u32 s2, s16, s2
	s_addc_u32 s3, s17, s3
	s_lshl_b32 s18, s6, 6
	s_ashr_i32 s25, s24, 31
	v_add_nc_u32_e32 v58, s18, v0
	s_lshr_b32 s0, s25, 26
	s_add_i32 s0, s24, s0
	v_ashrrev_i32_e32 v59, 31, v58
	v_mul_lo_u32 v4, s21, v58
	v_mad_u64_u32 v[2:3], null, s20, v58, 0
	s_andn2_b32 s0, s0, 63
	v_mul_lo_u32 v5, s20, v59
	s_waitcnt lgkmcnt(0)
	s_add_i32 s1, s22, -1
	s_sub_i32 s23, s24, s0
	v_cmp_eq_u32_e64 s0, 0, v1
	s_cmp_eq_u32 s6, s1
	s_cselect_b32 s16, s23, 0
	v_add3_u32 v3, v3, v5, v4
	v_lshlrev_b64 v[2:3], 3, v[2:3]
	v_add_co_u32 v16, vcc_lo, s2, v2
	v_add_co_ci_u32_e64 v17, null, s3, v3, vcc_lo
	s_mov_b32 s3, -1
	s_and_saveexec_b32 s1, s0
	s_cbranch_execz .LBB4_10
; %bb.6:
	v_cmp_le_i32_e32 vcc_lo, s16, v0
	s_cmp_lg_u32 s16, 0
	v_lshl_add_u32 v2, v0, 3, 0x2380
	s_cselect_b32 s2, -1, 0
	s_and_b32 s2, s2, vcc_lo
	s_and_saveexec_b32 s17, s2
	s_xor_b32 s2, exec_lo, s17
; %bb.7:
	v_mov_b32_e32 v3, 0
	v_mov_b32_e32 v4, v3
	ds_write_b64 v2, v[3:4]
                                        ; implicit-def: $vgpr2
; %bb.8:
	s_andn2_saveexec_b32 s2, s2
	s_cbranch_execz .LBB4_10
; %bb.9:
	global_load_dwordx2 v[3:4], v[16:17], off
	s_waitcnt vmcnt(0)
	ds_write_b64 v2, v[3:4]
.LBB4_10:
	s_or_b32 exec_lo, exec_lo, s1
	v_lshl_add_u32 v24, v1, 6, v0
	v_and_b32_e32 v2, 31, v0
	v_mov_b32_e32 v3, 0
	s_mul_i32 s1, s15, s7
	s_mul_hi_u32 s2, s14, s7
	v_lshrrev_b32_e32 v9, 5, v24
	s_mul_i32 s14, s14, s7
	s_add_i32 s15, s2, s1
	s_mul_hi_u32 s2, s12, s18
	s_lshl_b64 s[14:15], s[14:15], 3
	v_mad_u64_u32 v[3:4], null, s12, v9, v[2:3]
	s_add_u32 s1, s8, s14
	s_addc_u32 s14, s9, s15
	s_lshl_b64 s[8:9], s[10:11], 3
	s_mul_i32 s17, s13, s18
	s_add_u32 s11, s1, s8
	s_addc_u32 s14, s14, s9
	v_mad_u64_u32 v[4:5], null, s13, v9, v[4:5]
	s_ashr_i32 s19, s18, 31
	s_mul_i32 s10, s12, s18
	s_lshl_b64 s[8:9], s[18:19], 3
	s_mul_i32 s15, s12, s19
	s_add_u32 s27, s11, s8
	s_addc_u32 s14, s14, s9
	v_lshlrev_b64 v[14:15], 3, v[3:4]
	s_add_i32 s2, s2, s15
	v_cmp_gt_i32_e64 s1, s16, v2
	s_add_i32 s11, s2, s17
	v_lshlrev_b32_e32 v10, 3, v2
	s_lshl_b64 s[8:9], s[10:11], 3
	v_add_co_u32 v3, vcc_lo, s27, v14
	v_add_co_ci_u32_e64 v4, null, s14, v15, vcc_lo
	s_cmp_eq_u32 s16, 0
	v_add_co_u32 v5, s2, v3, s8
	s_cselect_b32 s11, -1, 0
	s_cmp_lg_u32 s16, 0
	v_lshlrev_b32_e32 v11, 3, v2
	v_add_co_ci_u32_e64 v6, null, s9, v4, s2
	v_mul_u32_u24_e32 v12, 0x108, v9
	s_cselect_b32 s26, -1, 0
                                        ; implicit-def: $vgpr3_vgpr4
	s_and_b32 vcc_lo, exec_lo, s26
	s_cbranch_vccz .LBB4_28
; %bb.11:
	v_sub_co_u32 v3, vcc_lo, v5, v10
	s_ashr_i32 s17, s16, 31
	v_subrev_co_ci_u32_e64 v4, null, 0, v6, vcc_lo
	s_lshl_b64 s[2:3], s[16:17], 3
	v_add_nc_u32_e32 v7, v11, v12
	v_add_co_u32 v3, vcc_lo, v3, s2
	v_add_co_ci_u32_e64 v4, null, s3, v4, vcc_lo
	s_mov_b32 s8, exec_lo
	v_add_co_u32 v3, vcc_lo, v3, -8
	v_add_co_ci_u32_e64 v4, null, -1, v4, vcc_lo
	v_cndmask_b32_e64 v3, v3, v5, s1
	v_cndmask_b32_e64 v4, v4, v6, s1
	v_cmpx_le_i32_e64 s16, v9
	s_xor_b32 s8, exec_lo, s8
; %bb.12:
	v_mov_b32_e32 v18, 0
	v_mov_b32_e32 v19, v18
	ds_write_b64 v7, v[18:19]
; %bb.13:
	s_andn2_saveexec_b32 s8, s8
	s_cbranch_execz .LBB4_15
; %bb.14:
	global_load_dwordx2 v[18:19], v[3:4], off
	s_waitcnt vmcnt(0)
	ds_write_b64 v7, v[18:19]
.LBB4_15:
	s_or_b32 exec_lo, exec_lo, s8
	v_add_nc_u32_e32 v8, 8, v9
	s_mov_b32 s8, exec_lo
	v_cmpx_le_i32_e64 s16, v8
	s_xor_b32 s8, exec_lo, s8
; %bb.16:
	v_mov_b32_e32 v18, 0
	v_mov_b32_e32 v19, v18
	ds_write_b64 v7, v[18:19] offset:2112
; %bb.17:
	s_andn2_saveexec_b32 s8, s8
	s_cbranch_execz .LBB4_19
; %bb.18:
	s_lshl_b64 s[14:15], s[12:13], 6
	v_add_co_u32 v18, vcc_lo, v3, s14
	v_add_co_ci_u32_e64 v19, null, s15, v4, vcc_lo
	global_load_dwordx2 v[18:19], v[18:19], off
	s_waitcnt vmcnt(0)
	ds_write_b64 v7, v[18:19] offset:2112
.LBB4_19:
	s_or_b32 exec_lo, exec_lo, s8
	v_add_nc_u32_e32 v8, 16, v9
	s_mov_b32 s8, exec_lo
	v_cmpx_le_i32_e64 s16, v8
	s_xor_b32 s8, exec_lo, s8
; %bb.20:
	v_mov_b32_e32 v18, 0
	v_mov_b32_e32 v19, v18
	ds_write_b64 v7, v[18:19] offset:4224
; %bb.21:
	s_andn2_saveexec_b32 s8, s8
	s_cbranch_execz .LBB4_23
; %bb.22:
	s_lshl_b64 s[14:15], s[12:13], 7
	v_add_co_u32 v18, vcc_lo, v3, s14
	v_add_co_ci_u32_e64 v19, null, s15, v4, vcc_lo
	global_load_dwordx2 v[18:19], v[18:19], off
	s_waitcnt vmcnt(0)
	ds_write_b64 v7, v[18:19] offset:4224
.LBB4_23:
	s_or_b32 exec_lo, exec_lo, s8
	v_add_nc_u32_e32 v8, 24, v9
	s_mov_b32 s8, exec_lo
	v_cmpx_le_i32_e64 s16, v8
	s_xor_b32 s8, exec_lo, s8
; %bb.24:
	v_mov_b32_e32 v18, 0
	v_mov_b32_e32 v19, v18
	ds_write_b64 v7, v[18:19] offset:6336
                                        ; implicit-def: $vgpr7
; %bb.25:
	s_andn2_saveexec_b32 s8, s8
	s_cbranch_execz .LBB4_27
; %bb.26:
	v_mad_u64_u32 v[18:19], null, 0xc0, s12, v[3:4]
	v_mov_b32_e32 v8, v19
	v_mad_u64_u32 v[19:20], null, 0xc0, s13, v[8:9]
	global_load_dwordx2 v[18:19], v[18:19], off
	s_waitcnt vmcnt(0)
	ds_write_b64 v7, v[18:19] offset:6336
.LBB4_27:
	s_or_b32 exec_lo, exec_lo, s8
	v_add_co_u32 v3, vcc_lo, v3, v10
	v_add_co_ci_u32_e64 v4, null, 0, v4, vcc_lo
	v_sub_co_u32 v3, vcc_lo, v3, s2
	v_subrev_co_ci_u32_e64 v4, null, s3, v4, vcc_lo
	s_mov_b32 s3, 0
	v_add_co_u32 v3, vcc_lo, v3, 8
	v_add_co_ci_u32_e64 v4, null, 0, v4, vcc_lo
	v_cndmask_b32_e64 v3, v3, v5, s1
	v_cndmask_b32_e64 v4, v4, v6, s1
.LBB4_28:
	s_and_b32 vcc_lo, exec_lo, s3
	s_cbranch_vccz .LBB4_30
; %bb.29:
	s_lshl_b64 s[2:3], s[12:13], 6
	v_lshl_add_u32 v13, v2, 3, v12
	v_add_co_u32 v3, vcc_lo, v5, s2
	v_add_co_ci_u32_e64 v4, null, s3, v6, vcc_lo
	v_add_co_u32 v7, vcc_lo, v3, s2
	v_add_co_ci_u32_e64 v8, null, s3, v4, vcc_lo
	;; [unrolled: 2-line block ×3, first 2 shown]
	s_clause 0x3
	global_load_dwordx2 v[20:21], v[5:6], off
	global_load_dwordx2 v[22:23], v[3:4], off
	;; [unrolled: 1-line block ×4, first 2 shown]
	v_mov_b32_e32 v3, v5
	v_mov_b32_e32 v4, v6
	s_waitcnt vmcnt(3)
	ds_write_b64 v13, v[20:21]
	s_waitcnt vmcnt(2)
	ds_write_b64 v13, v[22:23] offset:2112
	s_waitcnt vmcnt(1)
	ds_write_b64 v13, v[7:8] offset:4224
	;; [unrolled: 2-line block ×3, first 2 shown]
.LBB4_30:
	v_lshlrev_b32_e32 v18, 2, v9
	v_mul_u32_u24_e32 v13, 0x108, v2
	s_mov_b32 s1, 0
	s_waitcnt lgkmcnt(0)
	s_barrier
	v_cmp_le_u32_e64 s2, v18, v2
	buffer_gl0_inv
                                        ; implicit-def: $vgpr6
	s_and_saveexec_b32 s3, s2
	s_xor_b32 s3, exec_lo, s3
	s_cbranch_execz .LBB4_34
; %bb.31:
	s_mov_b32 s8, exec_lo
                                        ; implicit-def: $vgpr6
	v_cmpx_eq_u32_e64 v18, v2
	s_xor_b32 s8, exec_lo, s8
; %bb.32:
	s_mov_b32 s1, exec_lo
	v_add_nc_u32_e32 v6, v11, v13
; %bb.33:
	s_or_b32 exec_lo, exec_lo, s8
	s_and_b32 s1, s1, exec_lo
.LBB4_34:
	s_or_saveexec_b32 s3, s3
	v_lshl_or_b32 v7, v2, 8, v11
	v_mov_b32_e32 v8, 0
	v_mad_u32_u24 v5, 0x420, v9, v11
	v_lshl_add_u32 v7, v18, 3, v7
	s_xor_b32 exec_lo, exec_lo, s3
	s_cbranch_execz .LBB4_36
; %bb.35:
	ds_read_b64 v[19:20], v5
	v_mov_b32_e32 v6, v7
	s_or_b32 s1, s1, exec_lo
	s_waitcnt lgkmcnt(0)
	v_xor_b32_e32 v8, 0x80000000, v20
	ds_write_b32 v7, v19
.LBB4_36:
	s_or_b32 exec_lo, exec_lo, s3
	s_and_saveexec_b32 s3, s1
; %bb.37:
	ds_write_b32 v6, v8 offset:4
; %bb.38:
	s_or_b32 exec_lo, exec_lo, s3
	v_or_b32_e32 v19, 1, v18
	v_cmp_ge_u32_e64 s3, v18, v2
	s_mov_b32 s1, 0
                                        ; implicit-def: $vgpr20
                                        ; implicit-def: $vgpr8
	v_mad_u32_u24 v6, 0x108, v19, v11
	s_and_saveexec_b32 s8, s3
	s_xor_b32 s8, exec_lo, s8
	s_cbranch_execnz .LBB4_70
; %bb.39:
	s_andn2_saveexec_b32 s8, s8
	s_cbranch_execnz .LBB4_71
.LBB4_40:
	s_or_b32 exec_lo, exec_lo, s8
	s_and_saveexec_b32 s8, s1
.LBB4_41:
	ds_write_b32 v8, v20 offset:4
.LBB4_42:
	s_or_b32 exec_lo, exec_lo, s8
	v_or_b32_e32 v21, 2, v18
	s_mov_b32 s1, 0
                                        ; implicit-def: $vgpr8
	v_cmp_le_u32_e64 s8, v21, v2
	s_and_saveexec_b32 s9, s8
	s_xor_b32 s9, exec_lo, s9
	s_cbranch_execnz .LBB4_74
; %bb.43:
	s_or_saveexec_b32 s9, s9
	v_mov_b32_e32 v20, 0
	s_xor_b32 exec_lo, exec_lo, s9
	s_cbranch_execnz .LBB4_77
.LBB4_44:
	s_or_b32 exec_lo, exec_lo, s9
	s_and_saveexec_b32 s9, s1
.LBB4_45:
	ds_write_b32 v8, v20 offset:4
.LBB4_46:
	s_or_b32 exec_lo, exec_lo, s9
	v_or_b32_e32 v22, 3, v18
	s_mov_b32 s1, 0
                                        ; implicit-def: $vgpr8
	v_cmp_le_u32_e64 s9, v22, v2
	s_and_saveexec_b32 s10, s9
	s_xor_b32 s10, exec_lo, s10
	s_cbranch_execnz .LBB4_78
; %bb.47:
	s_or_saveexec_b32 s10, s10
	v_mov_b32_e32 v20, 0
	s_xor_b32 exec_lo, exec_lo, s10
	s_cbranch_execnz .LBB4_81
.LBB4_48:
	s_or_b32 exec_lo, exec_lo, s10
	s_and_saveexec_b32 s10, s1
.LBB4_49:
	ds_write_b32 v8, v20 offset:4
.LBB4_50:
	s_or_b32 exec_lo, exec_lo, s10
	v_lshlrev_b32_e32 v27, 3, v18
	s_waitcnt lgkmcnt(0)
	s_barrier
	buffer_gl0_inv
	ds_read_b64 v[7:8], v5
	ds_read_b128 v[28:31], v27 offset:9088
	ds_read2_b64 v[32:35], v6 offset1:33
	ds_read_b128 v[36:39], v27 offset:9104
	ds_read_b64 v[5:6], v6 offset:528
	v_mul_u32_u24_e32 v20, 33, v2
	v_mov_b32_e32 v60, 0
	v_cmp_gt_u32_e64 s1, 32, v24
	v_mov_b32_e32 v61, 0
	s_waitcnt lgkmcnt(0)
	s_barrier
	buffer_gl0_inv
	v_mul_f32_e32 v23, v29, v8
	v_mul_f32_e32 v8, v28, v8
	;; [unrolled: 1-line block ×5, first 2 shown]
	v_fma_f32 v23, v28, v7, -v23
	v_fmac_f32_e32 v8, v29, v7
	v_mul_f32_e32 v35, v36, v35
	v_fma_f32 v25, v30, v32, -v25
	v_fmac_f32_e32 v26, v31, v32
	v_add_f32_e32 v23, 0, v23
	v_add_f32_e32 v8, 0, v8
	v_mul_f32_e32 v7, v39, v6
	v_mul_f32_e32 v6, v38, v6
	v_fma_f32 v28, v36, v34, -v33
	v_fmac_f32_e32 v35, v37, v34
	v_add_f32_e32 v23, v23, v25
	v_add_f32_e32 v8, v8, v26
	v_lshlrev_b32_e32 v25, 3, v20
	v_fma_f32 v7, v38, v5, -v7
	v_fmac_f32_e32 v6, v39, v5
	v_add_f32_e32 v5, v23, v28
	v_add_f32_e32 v8, v8, v35
	v_lshl_add_u32 v26, v9, 3, v25
	v_add_f32_e32 v5, v5, v7
	v_add_f32_e32 v6, v8, v6
	ds_write_b64 v26, v[5:6]
	s_waitcnt lgkmcnt(0)
	s_barrier
	buffer_gl0_inv
	s_and_saveexec_b32 s10, s1
	s_cbranch_execz .LBB4_52
; %bb.51:
	ds_read2_b64 v[5:8], v25 offset1:7
	ds_read2_b64 v[28:31], v25 offset0:1 offset1:2
	ds_read2_b64 v[32:35], v25 offset0:3 offset1:4
	;; [unrolled: 1-line block ×3, first 2 shown]
	s_waitcnt lgkmcnt(2)
	v_add_f32_e32 v5, v28, v5
	v_add_f32_e32 v6, v29, v6
	v_add_f32_e32 v5, v30, v5
	v_add_f32_e32 v6, v31, v6
	s_waitcnt lgkmcnt(1)
	v_add_f32_e32 v5, v5, v32
	v_add_f32_e32 v6, v6, v33
	v_add_f32_e32 v5, v5, v34
	v_add_f32_e32 v6, v6, v35
	;; [unrolled: 5-line block ×3, first 2 shown]
	v_add_f32_e32 v60, v5, v7
	v_add_f32_e32 v61, v6, v8
.LBB4_52:
	s_or_b32 exec_lo, exec_lo, s10
	s_lshl_b64 s[14:15], s[12:13], 8
	v_add_co_u32 v7, vcc_lo, v3, s14
	v_add_co_ci_u32_e64 v8, null, s15, v4, vcc_lo
	s_barrier
	v_add_co_u32 v5, vcc_lo, 0x100, v7
	v_add_co_ci_u32_e64 v6, null, 0, v8, vcc_lo
	s_and_b32 vcc_lo, exec_lo, s26
	buffer_gl0_inv
	s_cbranch_vccz .LBB4_82
; %bb.53:
	v_sub_co_u32 v3, vcc_lo, v7, v10
	s_ashr_i32 s17, s16, 31
	v_subrev_co_ci_u32_e64 v4, null, 0, v8, vcc_lo
	s_lshl_b64 s[14:15], s[16:17], 3
	v_or_b32_e32 v20, 32, v2
	v_add_co_u32 v3, vcc_lo, v3, s14
	v_add_co_ci_u32_e64 v4, null, s15, v4, vcc_lo
	s_sub_i32 s17, s16, 32
	v_add_co_u32 v3, vcc_lo, v3, -8
	v_add_co_ci_u32_e64 v4, null, -1, v4, vcc_lo
	v_cmp_gt_i32_e32 vcc_lo, s16, v20
	v_cmp_le_i32_e64 s10, s17, v9
	v_add_nc_u32_e32 v20, v11, v12
	v_cndmask_b32_e32 v4, v4, v6, vcc_lo
	v_cndmask_b32_e32 v3, v3, v5, vcc_lo
	s_and_saveexec_b32 s27, s10
	s_xor_b32 s10, exec_lo, s27
; %bb.54:
	v_mov_b32_e32 v28, 0
	v_mov_b32_e32 v29, v28
	ds_write_b64 v20, v[28:29]
; %bb.55:
	s_andn2_saveexec_b32 s10, s10
	s_cbranch_execz .LBB4_57
; %bb.56:
	global_load_dwordx2 v[28:29], v[3:4], off
	s_waitcnt vmcnt(0)
	ds_write_b64 v20, v[28:29]
.LBB4_57:
	s_or_b32 exec_lo, exec_lo, s10
	v_add_nc_u32_e32 v23, 8, v9
	v_cmp_le_i32_e64 s10, s17, v23
	s_and_saveexec_b32 s27, s10
	s_xor_b32 s10, exec_lo, s27
; %bb.58:
	v_mov_b32_e32 v28, 0
	v_mov_b32_e32 v29, v28
	ds_write_b64 v20, v[28:29] offset:2112
; %bb.59:
	s_andn2_saveexec_b32 s27, s10
	s_cbranch_execz .LBB4_61
; %bb.60:
	s_lshl_b64 s[28:29], s[12:13], 6
	v_add_co_u32 v28, s10, v3, s28
	v_add_co_ci_u32_e64 v29, null, s29, v4, s10
	global_load_dwordx2 v[28:29], v[28:29], off
	s_waitcnt vmcnt(0)
	ds_write_b64 v20, v[28:29] offset:2112
.LBB4_61:
	s_or_b32 exec_lo, exec_lo, s27
	v_add_nc_u32_e32 v23, 16, v9
	v_cmp_le_i32_e64 s10, s17, v23
	s_and_saveexec_b32 s27, s10
	s_xor_b32 s10, exec_lo, s27
; %bb.62:
	v_mov_b32_e32 v28, 0
	v_mov_b32_e32 v29, v28
	ds_write_b64 v20, v[28:29] offset:4224
; %bb.63:
	s_andn2_saveexec_b32 s27, s10
	s_cbranch_execz .LBB4_65
; %bb.64:
	s_lshl_b64 s[28:29], s[12:13], 7
	v_add_co_u32 v28, s10, v3, s28
	v_add_co_ci_u32_e64 v29, null, s29, v4, s10
	global_load_dwordx2 v[28:29], v[28:29], off
	s_waitcnt vmcnt(0)
	ds_write_b64 v20, v[28:29] offset:4224
.LBB4_65:
	s_or_b32 exec_lo, exec_lo, s27
	v_add_nc_u32_e32 v23, 24, v9
	v_cmp_le_i32_e64 s10, s17, v23
	s_and_saveexec_b32 s17, s10
	s_xor_b32 s10, exec_lo, s17
; %bb.66:
	v_mov_b32_e32 v28, 0
	v_mov_b32_e32 v29, v28
	ds_write_b64 v20, v[28:29] offset:6336
                                        ; implicit-def: $vgpr20
; %bb.67:
	s_andn2_saveexec_b32 s10, s10
	s_cbranch_execz .LBB4_69
; %bb.68:
	v_mad_u64_u32 v[28:29], null, 0xc0, s12, v[3:4]
	v_mov_b32_e32 v23, v29
	v_mad_u64_u32 v[29:30], null, 0xc0, s13, v[23:24]
	global_load_dwordx2 v[28:29], v[28:29], off
	s_waitcnt vmcnt(0)
	ds_write_b64 v20, v[28:29] offset:6336
.LBB4_69:
	s_or_b32 exec_lo, exec_lo, s10
	v_add_co_u32 v3, s10, v3, v10
	v_add_co_ci_u32_e64 v4, null, 0, v4, s10
	v_sub_co_u32 v3, s10, v3, s14
	v_subrev_co_ci_u32_e64 v4, null, s15, v4, s10
	v_add_co_u32 v3, s10, 0x108, v3
	v_add_co_ci_u32_e64 v4, null, 0, v4, s10
	v_cndmask_b32_e32 v3, v3, v5, vcc_lo
	v_cndmask_b32_e32 v4, v4, v6, vcc_lo
	v_mad_u32_u24 v20, 0x108, v9, v11
	s_branch .LBB4_84
.LBB4_70:
	ds_read_b64 v[21:22], v6
	s_mov_b32 s1, exec_lo
	v_add_nc_u32_e32 v8, 8, v7
	s_waitcnt lgkmcnt(0)
	v_xor_b32_e32 v20, 0x80000000, v22
	ds_write_b32 v7, v21 offset:8
	s_andn2_saveexec_b32 s8, s8
	s_cbranch_execz .LBB4_40
.LBB4_71:
	s_mov_b32 s9, s1
	s_mov_b32 s10, exec_lo
                                        ; implicit-def: $vgpr8
	v_cmpx_eq_u32_e64 v19, v2
; %bb.72:
	v_add_nc_u32_e32 v8, v11, v13
	s_or_b32 s9, s1, exec_lo
; %bb.73:
	s_or_b32 exec_lo, exec_lo, s10
	v_mov_b32_e32 v20, 0
	s_andn2_b32 s1, s1, exec_lo
	s_and_b32 s9, s9, exec_lo
	s_or_b32 s1, s1, s9
	s_or_b32 exec_lo, exec_lo, s8
	s_and_saveexec_b32 s8, s1
	s_cbranch_execnz .LBB4_41
	s_branch .LBB4_42
.LBB4_74:
	s_mov_b32 s10, exec_lo
                                        ; implicit-def: $vgpr8
	v_cmpx_eq_u32_e64 v21, v2
; %bb.75:
	v_add_nc_u32_e32 v8, v11, v13
	s_mov_b32 s1, exec_lo
; %bb.76:
	s_or_b32 exec_lo, exec_lo, s10
	s_and_b32 s1, s1, exec_lo
	s_or_saveexec_b32 s9, s9
	v_mov_b32_e32 v20, 0
	s_xor_b32 exec_lo, exec_lo, s9
	s_cbranch_execz .LBB4_44
.LBB4_77:
	v_mad_u32_u24 v8, 0x108, v21, v11
	s_or_b32 s1, s1, exec_lo
	ds_read_b64 v[22:23], v8
	v_add_nc_u32_e32 v8, 16, v7
	s_waitcnt lgkmcnt(0)
	v_xor_b32_e32 v20, 0x80000000, v23
	ds_write_b32 v7, v22 offset:16
	s_or_b32 exec_lo, exec_lo, s9
	s_and_saveexec_b32 s9, s1
	s_cbranch_execnz .LBB4_45
	s_branch .LBB4_46
.LBB4_78:
	s_mov_b32 s14, exec_lo
                                        ; implicit-def: $vgpr8
	v_cmpx_eq_u32_e64 v22, v2
; %bb.79:
	v_add_nc_u32_e32 v8, v11, v13
	s_mov_b32 s1, exec_lo
; %bb.80:
	s_or_b32 exec_lo, exec_lo, s14
	s_and_b32 s1, s1, exec_lo
                                        ; implicit-def: $vgpr7
	s_or_saveexec_b32 s10, s10
	v_mov_b32_e32 v20, 0
	s_xor_b32 exec_lo, exec_lo, s10
	s_cbranch_execz .LBB4_48
.LBB4_81:
	v_mad_u32_u24 v8, 0x108, v22, v11
	s_or_b32 s1, s1, exec_lo
	ds_read_b64 v[25:26], v8
	v_add_nc_u32_e32 v8, 24, v7
	s_waitcnt lgkmcnt(0)
	v_xor_b32_e32 v20, 0x80000000, v26
	ds_write_b32 v7, v25 offset:24
	s_or_b32 exec_lo, exec_lo, s10
	s_and_saveexec_b32 s10, s1
	s_cbranch_execnz .LBB4_49
	s_branch .LBB4_50
.LBB4_82:
                                        ; implicit-def: $vgpr3_vgpr4
	v_mad_u32_u24 v20, 0x108, v9, v11
	s_cbranch_execz .LBB4_84
; %bb.83:
	s_lshl_b64 s[14:15], s[12:13], 6
	v_add_co_u32 v3, vcc_lo, v7, s14
	v_add_co_ci_u32_e64 v4, null, s15, v8, vcc_lo
	v_add_co_u32 v28, vcc_lo, v3, s14
	v_add_co_ci_u32_e64 v29, null, s15, v4, vcc_lo
	v_add_co_u32 v30, vcc_lo, v28, s14
	v_add_co_ci_u32_e64 v31, null, s15, v29, vcc_lo
	s_clause 0x3
	global_load_dwordx2 v[7:8], v[7:8], off offset:256
	global_load_dwordx2 v[32:33], v[3:4], off offset:256
	;; [unrolled: 1-line block ×4, first 2 shown]
	v_mov_b32_e32 v3, v5
	v_mov_b32_e32 v4, v6
	s_waitcnt vmcnt(3)
	ds_write_b64 v20, v[7:8]
	s_waitcnt vmcnt(2)
	ds_write_b64 v20, v[32:33] offset:2112
	s_waitcnt vmcnt(1)
	ds_write_b64 v20, v[28:29] offset:4224
	;; [unrolled: 2-line block ×3, first 2 shown]
.LBB4_84:
	v_mul_u32_u24_e32 v5, 0x420, v9
	s_mov_b32 s10, 0
	s_waitcnt lgkmcnt(0)
	s_barrier
	buffer_gl0_inv
                                        ; implicit-def: $vgpr6
	s_and_saveexec_b32 s14, s2
	s_xor_b32 s2, exec_lo, s14
	s_cbranch_execz .LBB4_88
; %bb.85:
	s_mov_b32 s14, exec_lo
                                        ; implicit-def: $vgpr6
	v_cmpx_eq_u32_e64 v18, v2
	s_xor_b32 s14, exec_lo, s14
; %bb.86:
	v_add_nc_u32_e32 v6, v11, v13
	s_mov_b32 s10, exec_lo
; %bb.87:
	s_or_b32 exec_lo, exec_lo, s14
	s_and_b32 s10, s10, exec_lo
.LBB4_88:
	s_or_saveexec_b32 s2, s2
	v_mov_b32_e32 v7, 0
	v_add_nc_u32_e32 v23, v11, v5
	v_lshl_add_u32 v5, v18, 3, v25
	s_xor_b32 exec_lo, exec_lo, s2
	s_cbranch_execz .LBB4_90
; %bb.89:
	ds_read_b64 v[28:29], v23
	v_mov_b32_e32 v6, v5
	s_or_b32 s10, s10, exec_lo
	s_waitcnt lgkmcnt(0)
	v_xor_b32_e32 v7, 0x80000000, v29
	ds_write_b32 v5, v28
.LBB4_90:
	s_or_b32 exec_lo, exec_lo, s2
	v_mul_u32_u24_e32 v8, 0x108, v19
	s_and_saveexec_b32 s2, s10
; %bb.91:
	ds_write_b32 v6, v7 offset:4
; %bb.92:
	s_or_b32 exec_lo, exec_lo, s2
	v_add_nc_u32_e32 v28, v11, v8
	s_mov_b32 s2, 0
                                        ; implicit-def: $vgpr7
                                        ; implicit-def: $vgpr6
	s_and_saveexec_b32 s10, s3
	s_xor_b32 s3, exec_lo, s10
	s_cbranch_execnz .LBB4_124
; %bb.93:
	s_andn2_saveexec_b32 s3, s3
	s_cbranch_execnz .LBB4_125
.LBB4_94:
	s_or_b32 exec_lo, exec_lo, s3
	s_and_saveexec_b32 s3, s2
.LBB4_95:
	ds_write_b32 v6, v7 offset:4
.LBB4_96:
	s_or_b32 exec_lo, exec_lo, s3
	s_mov_b32 s2, 0
                                        ; implicit-def: $vgpr6
	s_and_saveexec_b32 s3, s8
	s_xor_b32 s3, exec_lo, s3
	s_cbranch_execnz .LBB4_128
; %bb.97:
	s_or_saveexec_b32 s3, s3
	v_mov_b32_e32 v7, 0
	s_xor_b32 exec_lo, exec_lo, s3
	s_cbranch_execnz .LBB4_131
.LBB4_98:
	s_or_b32 exec_lo, exec_lo, s3
	s_and_saveexec_b32 s3, s2
.LBB4_99:
	ds_write_b32 v6, v7 offset:4
.LBB4_100:
	s_or_b32 exec_lo, exec_lo, s3
	s_mov_b32 s2, 0
                                        ; implicit-def: $vgpr6
	s_and_saveexec_b32 s3, s9
	s_xor_b32 s3, exec_lo, s3
	s_cbranch_execnz .LBB4_132
; %bb.101:
	s_or_saveexec_b32 s3, s3
	v_mov_b32_e32 v7, 0
	s_xor_b32 exec_lo, exec_lo, s3
	s_cbranch_execnz .LBB4_135
.LBB4_102:
	s_or_b32 exec_lo, exec_lo, s3
	v_add_nc_u32_e32 v21, 0x2380, v27
	s_and_saveexec_b32 s3, s2
.LBB4_103:
	ds_write_b32 v6, v7 offset:4
.LBB4_104:
	s_or_b32 exec_lo, exec_lo, s3
	s_waitcnt lgkmcnt(0)
	s_barrier
	buffer_gl0_inv
	ds_read_b64 v[18:19], v23
	ds_read_b128 v[5:8], v21 offset:256
	ds_read2_b64 v[29:32], v28 offset1:33
	ds_read_b128 v[33:36], v21 offset:272
	ds_read_b64 v[37:38], v28 offset:528
	v_cmp_eq_u32_e64 s2, 1, v9
	s_waitcnt lgkmcnt(0)
	s_barrier
	buffer_gl0_inv
	v_mul_f32_e32 v13, v6, v19
	v_mul_f32_e32 v19, v5, v19
	;; [unrolled: 1-line block ×5, first 2 shown]
	v_fma_f32 v5, v5, v18, -v13
	v_fmac_f32_e32 v19, v6, v18
	v_mul_f32_e32 v32, v33, v32
	v_fma_f32 v7, v7, v29, -v22
	v_fmac_f32_e32 v27, v8, v29
	v_add_f32_e32 v5, 0, v5
	v_add_f32_e32 v8, 0, v19
	v_mul_f32_e32 v6, v36, v38
	v_mul_f32_e32 v13, v35, v38
	v_fma_f32 v18, v33, v31, -v30
	v_fmac_f32_e32 v32, v34, v31
	v_add_f32_e32 v5, v5, v7
	v_add_f32_e32 v7, v8, v27
	v_fma_f32 v6, v35, v37, -v6
	v_fmac_f32_e32 v13, v36, v37
	v_add_f32_e32 v5, v5, v18
	v_add_f32_e32 v7, v7, v32
	;; [unrolled: 1-line block ×4, first 2 shown]
	ds_write_b64 v26, v[5:6]
	s_waitcnt lgkmcnt(0)
	s_barrier
	buffer_gl0_inv
	s_and_saveexec_b32 s3, s2
	s_cbranch_execz .LBB4_106
; %bb.105:
	ds_read2_b64 v[5:8], v25 offset1:7
	ds_read2_b64 v[29:32], v25 offset0:1 offset1:2
	ds_read2_b64 v[33:36], v25 offset0:3 offset1:4
	;; [unrolled: 1-line block ×3, first 2 shown]
	s_waitcnt lgkmcnt(2)
	v_add_f32_e32 v5, v29, v5
	v_add_f32_e32 v6, v30, v6
	v_add_f32_e32 v5, v31, v5
	v_add_f32_e32 v6, v32, v6
	s_waitcnt lgkmcnt(1)
	v_add_f32_e32 v5, v5, v33
	v_add_f32_e32 v6, v6, v34
	v_add_f32_e32 v5, v5, v35
	v_add_f32_e32 v6, v6, v36
	;; [unrolled: 5-line block ×3, first 2 shown]
	v_add_f32_e32 v60, v5, v7
	v_add_f32_e32 v61, v6, v8
.LBB4_106:
	s_or_b32 exec_lo, exec_lo, s3
	v_add_co_u32 v5, vcc_lo, 0xffffff00, v3
	v_add_co_ci_u32_e64 v6, null, -1, v4, vcc_lo
	s_and_b32 vcc_lo, exec_lo, s26
	s_barrier
	buffer_gl0_inv
	s_cbranch_vccz .LBB4_136
; %bb.107:
	v_sub_co_u32 v7, vcc_lo, v3, v10
	s_ashr_i32 s17, s16, 31
	v_subrev_co_ci_u32_e64 v8, null, 0, v4, vcc_lo
	s_lshl_b64 s[8:9], s[16:17], 3
	s_sub_i32 s10, s16, 32
	v_add_co_u32 v7, vcc_lo, v7, s8
	v_add_co_ci_u32_e64 v8, null, s9, v8, vcc_lo
	v_cmp_le_i32_e64 s3, s10, v9
	v_add_co_u32 v7, vcc_lo, 0xfffffef8, v7
	v_add_co_ci_u32_e64 v8, null, -1, v8, vcc_lo
	v_cmp_gt_i32_e32 vcc_lo, s16, v2
	v_add_nc_u32_e32 v13, v11, v12
	v_cndmask_b32_e32 v8, v8, v6, vcc_lo
	v_cndmask_b32_e32 v7, v7, v5, vcc_lo
	s_and_saveexec_b32 s14, s3
	s_xor_b32 s3, exec_lo, s14
; %bb.108:
	v_mov_b32_e32 v11, 0
	v_mov_b32_e32 v12, v11
	ds_write_b64 v13, v[11:12]
; %bb.109:
	s_andn2_saveexec_b32 s3, s3
	s_cbranch_execz .LBB4_111
; %bb.110:
	global_load_dwordx2 v[11:12], v[7:8], off
	s_waitcnt vmcnt(0)
	ds_write_b64 v13, v[11:12]
.LBB4_111:
	s_or_b32 exec_lo, exec_lo, s3
	v_add_nc_u32_e32 v2, 8, v9
	v_cmp_le_i32_e64 s3, s10, v2
	s_and_saveexec_b32 s14, s3
	s_xor_b32 s3, exec_lo, s14
; %bb.112:
	v_mov_b32_e32 v11, 0
	v_mov_b32_e32 v12, v11
	ds_write_b64 v13, v[11:12] offset:2112
; %bb.113:
	s_andn2_saveexec_b32 s14, s3
	s_cbranch_execz .LBB4_115
; %bb.114:
	s_lshl_b64 s[26:27], s[12:13], 6
	v_add_co_u32 v11, s3, v7, s26
	v_add_co_ci_u32_e64 v12, null, s27, v8, s3
	global_load_dwordx2 v[11:12], v[11:12], off
	s_waitcnt vmcnt(0)
	ds_write_b64 v13, v[11:12] offset:2112
.LBB4_115:
	s_or_b32 exec_lo, exec_lo, s14
	v_add_nc_u32_e32 v11, 16, v9
	v_cmp_le_i32_e64 s3, s10, v11
	s_and_saveexec_b32 s14, s3
	s_xor_b32 s3, exec_lo, s14
; %bb.116:
	v_mov_b32_e32 v18, 0
	v_mov_b32_e32 v19, v18
	ds_write_b64 v13, v[18:19] offset:4224
; %bb.117:
	s_andn2_saveexec_b32 s14, s3
	s_cbranch_execz .LBB4_119
; %bb.118:
	s_lshl_b64 s[26:27], s[12:13], 7
	v_add_co_u32 v18, s3, v7, s26
	v_add_co_ci_u32_e64 v19, null, s27, v8, s3
	global_load_dwordx2 v[18:19], v[18:19], off
	s_waitcnt vmcnt(0)
	ds_write_b64 v13, v[18:19] offset:4224
.LBB4_119:
	s_or_b32 exec_lo, exec_lo, s14
	v_add_nc_u32_e32 v12, 24, v9
	v_cmp_le_i32_e64 s3, s10, v12
	s_and_saveexec_b32 s10, s3
	s_xor_b32 s3, exec_lo, s10
; %bb.120:
	v_mov_b32_e32 v18, 0
	v_mov_b32_e32 v19, v18
	ds_write_b64 v13, v[18:19] offset:6336
                                        ; implicit-def: $vgpr13
; %bb.121:
	s_andn2_saveexec_b32 s3, s3
	s_cbranch_execz .LBB4_123
; %bb.122:
	v_mad_u64_u32 v[18:19], null, 0xc0, s12, v[7:8]
	v_mad_u64_u32 v[29:30], null, 0xc0, s13, v[19:20]
	v_mov_b32_e32 v19, v29
	global_load_dwordx2 v[18:19], v[18:19], off
	s_waitcnt vmcnt(0)
	ds_write_b64 v13, v[18:19] offset:6336
.LBB4_123:
	s_or_b32 exec_lo, exec_lo, s3
	v_add_co_u32 v7, s3, v7, v10
	v_add_co_ci_u32_e64 v8, null, 0, v8, s3
	v_sub_co_u32 v7, s3, v7, s8
	v_subrev_co_ci_u32_e64 v8, null, s9, v8, s3
	v_add_co_u32 v7, s3, v7, 8
	v_add_co_ci_u32_e64 v8, null, 0, v8, s3
	v_cndmask_b32_e32 v18, v7, v5, vcc_lo
	v_cndmask_b32_e32 v19, v8, v6, vcc_lo
	s_branch .LBB4_138
.LBB4_124:
	ds_read_b64 v[18:19], v28
	s_mov_b32 s2, exec_lo
	v_add_nc_u32_e32 v6, 8, v5
	s_waitcnt lgkmcnt(0)
	v_xor_b32_e32 v7, 0x80000000, v19
	ds_write_b32 v5, v18 offset:8
                                        ; implicit-def: $vgpr19
	s_andn2_saveexec_b32 s3, s3
	s_cbranch_execz .LBB4_94
.LBB4_125:
	s_mov_b32 s10, s2
	s_mov_b32 s14, exec_lo
                                        ; implicit-def: $vgpr6
	v_cmpx_eq_u32_e64 v19, v2
; %bb.126:
	v_add_nc_u32_e32 v6, v11, v13
	s_or_b32 s10, s2, exec_lo
; %bb.127:
	s_or_b32 exec_lo, exec_lo, s14
	v_mov_b32_e32 v7, 0
	s_andn2_b32 s2, s2, exec_lo
	s_and_b32 s10, s10, exec_lo
	s_or_b32 s2, s2, s10
	s_or_b32 exec_lo, exec_lo, s3
	s_and_saveexec_b32 s3, s2
	s_cbranch_execnz .LBB4_95
	s_branch .LBB4_96
.LBB4_128:
	s_mov_b32 s8, exec_lo
                                        ; implicit-def: $vgpr6
	v_cmpx_eq_u32_e64 v21, v2
; %bb.129:
	v_add_nc_u32_e32 v6, v11, v13
	s_mov_b32 s2, exec_lo
; %bb.130:
	s_or_b32 exec_lo, exec_lo, s8
	s_and_b32 s2, s2, exec_lo
	s_or_saveexec_b32 s3, s3
	v_mov_b32_e32 v7, 0
	s_xor_b32 exec_lo, exec_lo, s3
	s_cbranch_execz .LBB4_98
.LBB4_131:
	ds_read_b64 v[18:19], v28 offset:264
	v_add_nc_u32_e32 v6, 16, v5
	s_or_b32 s2, s2, exec_lo
	s_waitcnt lgkmcnt(0)
	v_xor_b32_e32 v7, 0x80000000, v19
	ds_write_b32 v5, v18 offset:16
	s_or_b32 exec_lo, exec_lo, s3
	s_and_saveexec_b32 s3, s2
	s_cbranch_execnz .LBB4_99
	s_branch .LBB4_100
.LBB4_132:
	s_mov_b32 s8, exec_lo
                                        ; implicit-def: $vgpr6
	v_cmpx_eq_u32_e64 v22, v2
; %bb.133:
	v_add_nc_u32_e32 v6, v11, v13
	s_mov_b32 s2, exec_lo
; %bb.134:
	s_or_b32 exec_lo, exec_lo, s8
	s_and_b32 s2, s2, exec_lo
                                        ; implicit-def: $vgpr5
	s_or_saveexec_b32 s3, s3
	v_mov_b32_e32 v7, 0
	s_xor_b32 exec_lo, exec_lo, s3
	s_cbranch_execz .LBB4_102
.LBB4_135:
	ds_read_b64 v[18:19], v28 offset:528
	v_add_nc_u32_e32 v6, 24, v5
	s_or_b32 s2, s2, exec_lo
	s_waitcnt lgkmcnt(0)
	v_xor_b32_e32 v7, 0x80000000, v19
	ds_write_b32 v5, v18 offset:24
	s_or_b32 exec_lo, exec_lo, s3
	v_add_nc_u32_e32 v21, 0x2380, v27
	s_and_saveexec_b32 s3, s2
	s_cbranch_execnz .LBB4_103
	s_branch .LBB4_104
.LBB4_136:
                                        ; implicit-def: $vgpr18_vgpr19
                                        ; implicit-def: $vgpr2
                                        ; implicit-def: $vgpr11
                                        ; implicit-def: $vgpr12
	s_cbranch_execz .LBB4_138
; %bb.137:
	s_lshl_b64 s[8:9], s[12:13], 6
	v_mov_b32_e32 v19, v6
	v_add_co_u32 v7, vcc_lo, v3, s8
	v_add_co_ci_u32_e64 v8, null, s9, v4, vcc_lo
	v_add_nc_u32_e32 v2, 8, v9
	v_add_co_u32 v10, vcc_lo, v7, s8
	v_add_co_ci_u32_e64 v11, null, s9, v8, vcc_lo
	v_mov_b32_e32 v18, v5
	v_add_co_u32 v12, vcc_lo, v10, s8
	v_add_co_ci_u32_e64 v13, null, s9, v11, vcc_lo
	s_clause 0x3
	global_load_dwordx2 v[3:4], v[3:4], off offset:-256
	global_load_dwordx2 v[7:8], v[7:8], off offset:-256
	;; [unrolled: 1-line block ×4, first 2 shown]
	v_add_nc_u32_e32 v11, 16, v9
	v_add_nc_u32_e32 v12, 24, v9
	s_waitcnt vmcnt(3)
	ds_write_b64 v20, v[3:4]
	s_waitcnt vmcnt(2)
	ds_write_b64 v20, v[7:8] offset:2112
	s_waitcnt vmcnt(1)
	ds_write_b64 v20, v[29:30] offset:4224
	;; [unrolled: 2-line block ×3, first 2 shown]
.LBB4_138:
	v_lshlrev_b32_e32 v3, 3, v9
	v_lshlrev_b32_e32 v2, 3, v2
	s_waitcnt lgkmcnt(0)
	s_barrier
	buffer_gl0_inv
	v_add_nc_u32_e32 v5, v25, v3
	v_add_nc_u32_e32 v6, v25, v2
	v_lshlrev_b32_e32 v4, 3, v11
	v_lshlrev_b32_e32 v7, 3, v12
	ds_read_b64 v[29:30], v5
	ds_read_b64 v[31:32], v6
	ds_read_b64 v[33:34], v2 offset:9088
	ds_read_b64 v[35:36], v3 offset:9088
	v_add_nc_u32_e32 v8, v25, v4
	v_add_nc_u32_e32 v2, v25, v7
	ds_read_b64 v[37:38], v8
	ds_read_b64 v[39:40], v7 offset:9088
	ds_read_b64 v[41:42], v4 offset:9088
	ds_read_b64 v[43:44], v2
	ds_read_b128 v[10:13], v21 offset:256
	ds_read_b128 v[2:5], v21 offset:272
	ds_read2_b64 v[6:9], v28 offset1:33
	ds_read_b64 v[22:23], v23
	ds_read_b64 v[20:21], v28 offset:528
	s_waitcnt lgkmcnt(0)
	s_barrier
	buffer_gl0_inv
	v_mul_f32_e32 v27, v30, v36
	v_mul_f32_e32 v28, v30, v35
	;; [unrolled: 1-line block ×5, first 2 shown]
	v_fmac_f32_e32 v27, v29, v35
	v_fma_f32 v28, v29, v36, -v28
	v_mul_f32_e32 v38, v38, v41
	v_fmac_f32_e32 v30, v31, v33
	v_fma_f32 v31, v31, v34, -v32
	v_add_f32_e32 v27, 0, v27
	v_add_f32_e32 v28, 0, v28
	v_mul_f32_e32 v29, v44, v40
	v_mul_f32_e32 v32, v44, v39
	v_fmac_f32_e32 v45, v37, v41
	v_fma_f32 v33, v37, v42, -v38
	v_add_f32_e32 v27, v27, v30
	v_add_f32_e32 v28, v28, v31
	v_fmac_f32_e32 v29, v43, v39
	v_fma_f32 v30, v43, v40, -v32
	v_add_f32_e32 v27, v27, v45
	v_add_f32_e32 v28, v28, v33
	;; [unrolled: 1-line block ×4, first 2 shown]
	ds_write_b64 v26, v[27:28]
	s_waitcnt lgkmcnt(0)
	s_barrier
	buffer_gl0_inv
	s_and_saveexec_b32 s3, s2
	s_cbranch_execz .LBB4_140
; %bb.139:
	ds_read2_b64 v[27:30], v25 offset1:1
	ds_read2_b64 v[31:34], v25 offset0:2 offset1:3
	ds_read2_b64 v[35:38], v25 offset0:4 offset1:5
	s_waitcnt lgkmcnt(2)
	v_add_f32_e32 v27, v60, v27
	v_add_f32_e32 v28, v61, v28
	v_add_f32_e32 v39, v27, v29
	v_add_f32_e32 v40, v28, v30
	ds_read2_b64 v[27:30], v25 offset0:6 offset1:7
	s_waitcnt lgkmcnt(2)
	v_add_f32_e32 v31, v39, v31
	v_add_f32_e32 v32, v40, v32
	v_add_f32_e32 v31, v31, v33
	v_add_f32_e32 v32, v32, v34
	s_waitcnt lgkmcnt(1)
	v_add_f32_e32 v31, v31, v35
	v_add_f32_e32 v32, v32, v36
	v_add_f32_e32 v31, v31, v37
	v_add_f32_e32 v32, v32, v38
	;; [unrolled: 5-line block ×3, first 2 shown]
.LBB4_140:
	s_or_b32 exec_lo, exec_lo, s3
	v_mul_f32_e32 v27, v11, v23
	v_mul_f32_e32 v23, v10, v23
	v_mul_f32_e32 v28, v13, v7
	v_mul_f32_e32 v7, v12, v7
	v_mul_f32_e32 v29, v3, v9
	v_fma_f32 v10, v10, v22, -v27
	v_fmac_f32_e32 v23, v11, v22
	v_mul_f32_e32 v9, v2, v9
	v_fma_f32 v12, v12, v6, -v28
	v_fmac_f32_e32 v7, v13, v6
	v_add_f32_e32 v10, 0, v10
	v_add_f32_e32 v6, 0, v23
	v_mul_f32_e32 v11, v5, v21
	v_mul_f32_e32 v13, v4, v21
	v_fma_f32 v2, v2, v8, -v29
	v_add_f32_e32 v10, v10, v12
	v_fmac_f32_e32 v9, v3, v8
	v_add_f32_e32 v3, v6, v7
	v_fma_f32 v4, v4, v20, -v11
	v_fmac_f32_e32 v13, v5, v20
	v_add_f32_e32 v2, v10, v2
	v_add_f32_e32 v3, v3, v9
	s_barrier
	buffer_gl0_inv
	v_add_f32_e32 v2, v2, v4
	v_add_f32_e32 v3, v3, v13
	ds_write_b64 v26, v[2:3]
	s_waitcnt lgkmcnt(0)
	s_barrier
	buffer_gl0_inv
	s_and_saveexec_b32 s2, s1
	s_cbranch_execz .LBB4_142
; %bb.141:
	ds_read2_b64 v[2:5], v25 offset1:1
	ds_read2_b64 v[6:9], v25 offset0:2 offset1:3
	ds_read2_b64 v[10:13], v25 offset0:4 offset1:5
	s_waitcnt lgkmcnt(2)
	v_add_f32_e32 v2, v60, v2
	v_add_f32_e32 v3, v61, v3
	;; [unrolled: 1-line block ×4, first 2 shown]
	ds_read2_b64 v[2:5], v25 offset0:6 offset1:7
	s_waitcnt lgkmcnt(2)
	v_add_f32_e32 v6, v20, v6
	v_add_f32_e32 v7, v21, v7
	v_add_f32_e32 v6, v6, v8
	v_add_f32_e32 v7, v7, v9
	s_waitcnt lgkmcnt(1)
	v_add_f32_e32 v6, v6, v10
	v_add_f32_e32 v7, v7, v11
	v_add_f32_e32 v6, v6, v12
	v_add_f32_e32 v7, v7, v13
	;; [unrolled: 5-line block ×3, first 2 shown]
.LBB4_142:
	s_or_b32 exec_lo, exec_lo, s2
	s_load_dwordx2 s[2:3], s[4:5], 0x68
	s_mul_hi_u32 s1, s24, s7
	s_mul_i32 s25, s25, s7
	s_mul_i32 s4, s24, s7
	s_add_i32 s1, s1, s25
	s_mul_hi_u32 s5, s4, s22
	s_mul_i32 s1, s1, s22
	s_mul_i32 s4, s4, s22
	s_add_i32 s5, s5, s1
	s_mul_hi_i32 s9, s24, s6
	s_lshl_b64 s[4:5], s[4:5], 3
	s_mul_i32 s8, s24, s6
	v_lshlrev_b32_e32 v95, 3, v0
	s_waitcnt lgkmcnt(0)
	s_barrier
	buffer_gl0_inv
	s_add_u32 s1, s2, s4
	s_addc_u32 s2, s3, s5
	s_lshl_b64 s[4:5], s[8:9], 3
	s_add_u32 s3, s1, s4
	s_addc_u32 s7, s2, s5
	s_add_i32 s1, s6, 1
	s_cmp_ge_u32 s1, s22
	s_cbranch_scc1 .LBB4_200
; %bb.143:
	v_lshrrev_b32_e32 v2, 4, v24
	v_lshlrev_b32_e32 v12, 5, v1
	v_and_b32_e32 v4, 48, v0
	v_and_b32_e32 v6, 15, v0
	s_mul_i32 s1, s20, s19
	v_lshlrev_b32_e32 v3, 5, v2
	v_add_nc_u32_e32 v7, 0x100, v12
	v_lshlrev_b32_e32 v4, 3, v4
	v_add_nc_u32_e32 v9, 0x298, v12
	s_mul_hi_u32 s2, s20, s18
	v_mad_u32_u24 v103, 0x218, v6, v3
	v_mul_i32_i24_e32 v13, 0xffffffe8, v2
	v_mad_u64_u32 v[2:3], null, s12, v7, 0
	v_mad_u32_u24 v104, 0x218, v6, v4
	v_mad_u64_u32 v[4:5], null, s12, v9, 0
	s_mul_i32 s4, s21, s18
	s_add_i32 s1, s2, s1
	v_or_b32_e32 v8, 0x78, v95
	s_add_i32 s5, s1, s4
	s_mul_i32 s4, s20, s18
	v_cmp_gt_u32_e64 s1, 64, v24
	s_lshl_b64 s[4:5], s[4:5], 3
	v_mad_u32_u24 v105, 0x218, v6, v8
	v_sub_co_u32 v97, vcc_lo, v16, s4
	v_mad_u64_u32 v[6:7], null, s13, v7, v[3:4]
	v_mov_b32_e32 v3, v5
	v_subrev_co_ci_u32_e64 v98, null, s5, v17, vcc_lo
	v_add_nc_u32_e32 v16, 0x110, v12
	v_add_nc_u32_e32 v17, 0x290, v12
	v_mad_u64_u32 v[9:10], null, s13, v9, v[3:4]
	v_sub_co_u32 v20, vcc_lo, v2, v14
	v_mad_u64_u32 v[7:8], null, s12, v16, 0
	v_mad_u64_u32 v[10:11], null, s12, v17, 0
	v_sub_co_ci_u32_e64 v21, null, v6, v15, vcc_lo
	v_sub_co_u32 v22, vcc_lo, v4, v14
	v_mov_b32_e32 v2, v8
	v_add_nc_u32_e32 v8, 0x108, v12
	v_mov_b32_e32 v3, v11
	v_sub_co_ci_u32_e64 v23, null, v9, v15, vcc_lo
	v_add_nc_u32_e32 v9, 0x288, v12
	v_sub_co_u32 v11, vcc_lo, v7, v14
	v_mad_u64_u32 v[4:5], null, s13, v16, v[2:3]
	v_mad_u64_u32 v[5:6], null, s12, v8, 0
	v_add_nc_u32_e32 v25, 0x118, v12
	v_add_nc_u32_e32 v26, 0x280, v12
	v_add_nc_u32_e32 v33, 0x188, v12
	v_add_nc_u32_e32 v34, 0x210, v12
	v_mad_u64_u32 v[2:3], null, s13, v17, v[3:4]
	v_mov_b32_e32 v3, v6
	v_mad_u64_u32 v[6:7], null, s12, v9, 0
	v_sub_co_ci_u32_e64 v16, null, v4, v15, vcc_lo
	v_sub_co_u32 v17, vcc_lo, v10, v14
	v_sub_co_ci_u32_e64 v24, null, v2, v15, vcc_lo
	v_mad_u64_u32 v[2:3], null, s13, v8, v[3:4]
	v_mov_b32_e32 v3, v7
	v_mad_u64_u32 v[7:8], null, s12, v25, 0
	v_sub_co_u32 v27, vcc_lo, v5, v14
	v_mad_u64_u32 v[3:4], null, s13, v9, v[3:4]
	v_mad_u64_u32 v[9:10], null, s12, v26, 0
	v_sub_co_ci_u32_e64 v28, null, v2, v15, vcc_lo
	v_sub_co_u32 v29, vcc_lo, v6, v14
	v_mov_b32_e32 v2, v8
	v_sub_co_ci_u32_e64 v30, null, v3, v15, vcc_lo
	v_mov_b32_e32 v3, v10
	v_add_nc_u32_e32 v8, 0x180, v12
	v_add_nc_u32_e32 v10, 0x218, v12
	;; [unrolled: 1-line block ×4, first 2 shown]
	v_mad_u64_u32 v[4:5], null, s13, v25, v[2:3]
	v_mad_u64_u32 v[5:6], null, s12, v8, 0
	v_sub_co_u32 v25, vcc_lo, v7, v14
	v_lshlrev_b32_e32 v96, 2, v1
	v_add_nc_u32_e32 v99, 0x2180, v95
	v_mad_u64_u32 v[2:3], null, s13, v26, v[3:4]
	v_mov_b32_e32 v3, v6
	v_mad_u64_u32 v[6:7], null, s12, v10, 0
	v_sub_co_ci_u32_e64 v26, null, v4, v15, vcc_lo
	v_sub_co_u32 v31, vcc_lo, v9, v14
	v_sub_co_ci_u32_e64 v32, null, v2, v15, vcc_lo
	v_mad_u64_u32 v[2:3], null, s13, v8, v[3:4]
	v_mov_b32_e32 v3, v7
	v_mad_u64_u32 v[7:8], null, s12, v33, 0
	v_sub_co_u32 v35, vcc_lo, v5, v14
	v_mad_u64_u32 v[3:4], null, s13, v10, v[3:4]
	v_mad_u64_u32 v[9:10], null, s12, v34, 0
	v_sub_co_ci_u32_e64 v36, null, v2, v15, vcc_lo
	v_sub_co_u32 v37, vcc_lo, v6, v14
	v_mov_b32_e32 v2, v8
	v_sub_co_ci_u32_e64 v38, null, v3, v15, vcc_lo
	v_mov_b32_e32 v3, v10
	v_add_nc_u32_e32 v8, 0x190, v12
	v_add_nc_u32_e32 v10, 0x208, v12
	;; [unrolled: 1-line block ×4, first 2 shown]
	v_mad_u64_u32 v[4:5], null, s13, v33, v[2:3]
	v_mad_u64_u32 v[5:6], null, s12, v8, 0
	v_sub_co_u32 v33, vcc_lo, v7, v14
	v_mad_u32_u24 v102, 0x860, v1, v95
	v_or_b32_e32 v106, 3, v96
	v_mad_u64_u32 v[2:3], null, s13, v34, v[3:4]
	v_mov_b32_e32 v3, v6
	v_mad_u64_u32 v[6:7], null, s12, v10, 0
	v_sub_co_ci_u32_e64 v34, null, v4, v15, vcc_lo
	v_sub_co_u32 v39, vcc_lo, v9, v14
	v_sub_co_ci_u32_e64 v40, null, v2, v15, vcc_lo
	v_mad_u64_u32 v[2:3], null, s13, v8, v[3:4]
	v_mov_b32_e32 v3, v7
	v_mad_u64_u32 v[7:8], null, s12, v41, 0
	v_sub_co_u32 v42, vcc_lo, v5, v14
	v_mad_u64_u32 v[3:4], null, s13, v10, v[3:4]
	v_mad_u64_u32 v[9:10], null, s12, v12, 0
	v_sub_co_ci_u32_e64 v43, null, v2, v15, vcc_lo
	v_sub_co_u32 v6, vcc_lo, v6, v14
	v_mov_b32_e32 v2, v8
	v_sub_co_ci_u32_e64 v8, null, v3, v15, vcc_lo
	v_mov_b32_e32 v3, v10
	v_add_nc_u32_e32 v107, 16, v96
	v_add_nc_u32_e32 v108, 17, v96
	;; [unrolled: 1-line block ×4, first 2 shown]
	v_mad_u64_u32 v[4:5], null, s13, v41, v[2:3]
	v_or_b32_e32 v5, 4, v20
	v_add_nc_u32_e32 v111, 32, v96
	v_add_nc_u32_e32 v112, 33, v96
	;; [unrolled: 1-line block ×5, first 2 shown]
	v_mad_u64_u32 v[2:3], null, s13, v12, v[3:4]
	v_sub_co_u32 v3, vcc_lo, v7, v14
	v_sub_co_ci_u32_e64 v4, null, v4, v15, vcc_lo
	v_sub_co_u32 v7, vcc_lo, v9, v14
	v_sub_co_ci_u32_e64 v2, null, v2, v15, vcc_lo
	v_add_co_u32 v116, vcc_lo, v18, v5
	v_add_co_ci_u32_e64 v117, null, v19, v21, vcc_lo
	v_add_co_u32 v118, vcc_lo, v18, v22
	v_or_b32_e32 v5, 4, v27
	v_add_co_ci_u32_e64 v119, null, v19, v23, vcc_lo
	v_add_co_u32 v120, vcc_lo, v18, v11
	v_add_co_ci_u32_e64 v121, null, v19, v16, vcc_lo
	v_add_co_u32 v122, vcc_lo, v18, v17
	;; [unrolled: 2-line block ×3, first 2 shown]
	v_or_b32_e32 v5, 4, v25
	v_add_co_ci_u32_e64 v125, null, v19, v28, vcc_lo
	v_add_co_u32 v126, vcc_lo, v18, v29
	v_add_co_ci_u32_e64 v127, null, v19, v30, vcc_lo
	v_add_co_u32 v128, vcc_lo, v18, v5
	v_or_b32_e32 v5, 4, v35
	v_add_co_ci_u32_e64 v129, null, v19, v26, vcc_lo
	v_add_co_u32 v130, vcc_lo, v18, v31
	v_add_co_ci_u32_e64 v131, null, v19, v32, vcc_lo
	v_add_co_u32 v132, vcc_lo, v18, v5
	;; [unrolled: 5-line block ×3, first 2 shown]
	v_or_b32_e32 v5, 4, v42
	v_add_co_ci_u32_e64 v137, null, v19, v34, vcc_lo
	v_add_co_u32 v138, vcc_lo, v18, v39
	v_or_b32_e32 v3, 4, v3
	v_add_co_ci_u32_e64 v139, null, v19, v40, vcc_lo
	v_add_co_u32 v140, vcc_lo, v18, v5
	;; [unrolled: 3-line block ×3, first 2 shown]
	v_add_co_ci_u32_e64 v143, null, v19, v8, vcc_lo
	v_add_co_u32 v144, vcc_lo, v18, v3
	v_add_co_ci_u32_e64 v145, null, v19, v4, vcc_lo
	v_add_co_u32 v146, vcc_lo, v18, v5
	v_add_co_ci_u32_e64 v147, null, v19, v2, vcc_lo
	v_add_nc_u32_e32 v148, 49, v96
	v_add_nc_u32_e32 v149, 50, v96
	;; [unrolled: 1-line block ×4, first 2 shown]
	v_mov_b32_e32 v62, 0
	s_add_i32 s8, s22, -2
	s_add_i32 s9, s18, 64
	s_lshl_b64 s[4:5], s[12:13], 9
	s_cmp_eq_u32 s8, s6
	s_cselect_b32 s10, s23, 0
	s_and_saveexec_b32 s2, s0
	s_cbranch_execz .LBB4_148
.LBB4_144:
	v_cmp_le_i32_e32 vcc_lo, s10, v0
	s_cmp_lg_u32 s10, 0
	s_cselect_b32 s12, -1, 0
	s_and_b32 s12, s12, vcc_lo
	s_and_saveexec_b32 s13, s12
	s_xor_b32 s12, exec_lo, s13
; %bb.145:
	v_mov_b32_e32 v63, v62
	ds_write_b64 v99, v[62:63]
; %bb.146:
	s_andn2_saveexec_b32 s12, s12
	s_cbranch_execz .LBB4_148
; %bb.147:
	s_ashr_i32 s12, s9, 31
	s_mul_hi_u32 s13, s20, s9
	s_mul_i32 s12, s20, s12
	s_mul_i32 s14, s21, s9
	s_add_i32 s13, s13, s12
	s_mul_i32 s12, s20, s9
	s_add_i32 s13, s13, s14
	s_lshl_b64 s[12:13], s[12:13], 3
	v_add_co_u32 v2, vcc_lo, v97, s12
	v_add_co_ci_u32_e64 v3, null, s13, v98, vcc_lo
	global_load_dwordx2 v[2:3], v[2:3], off
	s_waitcnt vmcnt(0)
	ds_write_b64 v99, v[2:3]
.LBB4_148:                              ; =>This Inner Loop Header: Depth=1
	s_or_b32 exec_lo, exec_lo, s2
	s_cmp_eq_u32 s10, 0
	v_add_co_u32 v2, vcc_lo, v116, v95
	s_cselect_b32 s12, -1, 0
	s_cmp_lg_u32 s10, 0
	v_add_co_ci_u32_e64 v3, null, 0, v117, vcc_lo
	s_cselect_b32 s2, -1, 0
	s_waitcnt lgkmcnt(0)
	s_and_b32 vcc_lo, exec_lo, s2
	s_barrier
	buffer_gl0_inv
	s_cbranch_vccz .LBB4_156
; %bb.149:                              ;   in Loop: Header=BB4_148 Depth=1
	v_mov_b32_e32 v65, 0
	v_mov_b32_e32 v63, 0
	;; [unrolled: 1-line block ×3, first 2 shown]
	s_mov_b32 s13, exec_lo
	v_cmpx_gt_i32_e64 s10, v96
	s_cbranch_execz .LBB4_151
; %bb.150:                              ;   in Loop: Header=BB4_148 Depth=1
	global_load_dwordx2 v[63:64], v[2:3], off offset:-4
.LBB4_151:                              ;   in Loop: Header=BB4_148 Depth=1
	s_or_b32 exec_lo, exec_lo, s13
	v_or_b32_e32 v4, 1, v96
	v_mov_b32_e32 v66, 0
	s_mov_b32 s13, exec_lo
	v_cmpx_gt_i32_e64 s10, v4
	s_cbranch_execz .LBB4_153
; %bb.152:                              ;   in Loop: Header=BB4_148 Depth=1
	v_add_co_u32 v4, vcc_lo, v124, v95
	v_add_co_ci_u32_e64 v5, null, 0, v125, vcc_lo
	global_load_dwordx2 v[65:66], v[4:5], off offset:-4
.LBB4_153:                              ;   in Loop: Header=BB4_148 Depth=1
	s_or_b32 exec_lo, exec_lo, s13
	v_or_b32_e32 v4, 2, v96
	v_mov_b32_e32 v67, 0
	v_mov_b32_e32 v68, 0
	s_mov_b32 s13, exec_lo
	v_cmpx_gt_i32_e64 s10, v4
	s_cbranch_execz .LBB4_155
; %bb.154:                              ;   in Loop: Header=BB4_148 Depth=1
	v_add_co_u32 v4, vcc_lo, v120, v95
	v_add_co_ci_u32_e64 v5, null, 0, v121, vcc_lo
	global_load_dwordx2 v[67:68], v[4:5], off
.LBB4_155:                              ;   in Loop: Header=BB4_148 Depth=1
	s_or_b32 exec_lo, exec_lo, s13
	v_cmp_gt_i32_e64 s13, s10, v106
	s_branch .LBB4_158
.LBB4_156:                              ;   in Loop: Header=BB4_148 Depth=1
	s_mov_b32 s13, 0
                                        ; implicit-def: $vgpr64
                                        ; implicit-def: $vgpr66
                                        ; implicit-def: $vgpr68
	s_cbranch_execz .LBB4_158
; %bb.157:                              ;   in Loop: Header=BB4_148 Depth=1
	v_add_co_u32 v4, vcc_lo, v124, v95
	v_add_co_ci_u32_e64 v5, null, 0, v125, vcc_lo
	v_add_co_u32 v6, vcc_lo, v120, v95
	v_add_co_ci_u32_e64 v7, null, 0, v121, vcc_lo
	global_load_dwordx2 v[63:64], v[2:3], off offset:-4
	global_load_dwordx2 v[65:66], v[4:5], off offset:-4
	global_load_dwordx2 v[67:68], v[6:7], off
	s_or_b32 s13, s13, exec_lo
.LBB4_158:                              ;   in Loop: Header=BB4_148 Depth=1
	v_mov_b32_e32 v69, 0
	v_mov_b32_e32 v70, 0
	s_and_saveexec_b32 s14, s13
	s_cbranch_execz .LBB4_160
; %bb.159:                              ;   in Loop: Header=BB4_148 Depth=1
	v_add_co_u32 v2, vcc_lo, v128, v95
	v_add_co_ci_u32_e64 v3, null, 0, v129, vcc_lo
	global_load_dwordx2 v[69:70], v[2:3], off offset:-4
.LBB4_160:                              ;   in Loop: Header=BB4_148 Depth=1
	s_or_b32 exec_lo, exec_lo, s14
	ds_read_b64 v[2:3], v101
	v_add_co_u32 v18, vcc_lo, v132, v95
	v_cndmask_b32_e64 v42, 0, 1, s2
	v_add_co_ci_u32_e64 v19, null, 0, v133, vcc_lo
	s_andn2_b32 vcc_lo, exec_lo, s2
	s_waitcnt vmcnt(0) lgkmcnt(0)
	v_mul_f32_e32 v10, v64, v3
	v_mul_f32_e32 v4, v64, v2
	;; [unrolled: 1-line block ×8, first 2 shown]
	v_fmac_f32_e32 v10, v63, v2
	v_fma_f32 v11, v63, v3, -v4
	v_fmac_f32_e32 v12, v65, v2
	v_fma_f32 v13, v65, v3, -v5
	;; [unrolled: 2-line block ×4, first 2 shown]
	ds_read_b128 v[6:9], v100
	ds_read_b128 v[2:5], v100 offset:16
	ds_write2_b64 v102, v[10:11], v[12:13] offset1:67
	ds_write2_b64 v102, v[14:15], v[16:17] offset0:134 offset1:201
	s_waitcnt lgkmcnt(0)
	s_barrier
	buffer_gl0_inv
	ds_read2_b64 v[14:17], v103 offset1:1
	ds_read2_b64 v[10:13], v103 offset0:2 offset1:3
	s_waitcnt lgkmcnt(0)
	s_barrier
	buffer_gl0_inv
	s_cbranch_vccnz .LBB4_168
; %bb.161:                              ;   in Loop: Header=BB4_148 Depth=1
	v_mov_b32_e32 v71, 0
	v_mov_b32_e32 v73, 0
	;; [unrolled: 1-line block ×3, first 2 shown]
	s_mov_b32 s2, exec_lo
	v_cmpx_gt_i32_e64 s10, v107
	s_cbranch_execz .LBB4_163
; %bb.162:                              ;   in Loop: Header=BB4_148 Depth=1
	global_load_dwordx2 v[73:74], v[18:19], off offset:-4
.LBB4_163:                              ;   in Loop: Header=BB4_148 Depth=1
	s_or_b32 exec_lo, exec_lo, s2
	v_mov_b32_e32 v72, 0
	s_mov_b32 s2, exec_lo
	v_cmpx_gt_i32_e64 s10, v108
	s_cbranch_execz .LBB4_165
; %bb.164:                              ;   in Loop: Header=BB4_148 Depth=1
	v_add_co_u32 v20, vcc_lo, v136, v95
	v_add_co_ci_u32_e64 v21, null, 0, v137, vcc_lo
	global_load_dwordx2 v[71:72], v[20:21], off offset:-4
.LBB4_165:                              ;   in Loop: Header=BB4_148 Depth=1
	s_or_b32 exec_lo, exec_lo, s2
	v_mov_b32_e32 v75, 0
	v_mov_b32_e32 v76, 0
	s_mov_b32 s2, exec_lo
	v_cmpx_gt_i32_e64 s10, v109
	s_cbranch_execz .LBB4_167
; %bb.166:                              ;   in Loop: Header=BB4_148 Depth=1
	v_add_co_u32 v20, vcc_lo, v140, v95
	v_add_co_ci_u32_e64 v21, null, 0, v141, vcc_lo
	global_load_dwordx2 v[75:76], v[20:21], off offset:-4
.LBB4_167:                              ;   in Loop: Header=BB4_148 Depth=1
	s_or_b32 exec_lo, exec_lo, s2
	v_cmp_gt_i32_e64 s2, s10, v110
	s_branch .LBB4_170
.LBB4_168:                              ;   in Loop: Header=BB4_148 Depth=1
	s_mov_b32 s2, 0
                                        ; implicit-def: $vgpr74
                                        ; implicit-def: $vgpr72
                                        ; implicit-def: $vgpr76
	s_cbranch_execz .LBB4_170
; %bb.169:                              ;   in Loop: Header=BB4_148 Depth=1
	v_add_co_u32 v20, vcc_lo, v136, v95
	v_add_co_ci_u32_e64 v21, null, 0, v137, vcc_lo
	v_add_co_u32 v22, vcc_lo, v140, v95
	v_add_co_ci_u32_e64 v23, null, 0, v141, vcc_lo
	global_load_dwordx2 v[73:74], v[18:19], off offset:-4
	global_load_dwordx2 v[71:72], v[20:21], off offset:-4
	;; [unrolled: 1-line block ×3, first 2 shown]
	s_or_b32 s2, s2, exec_lo
.LBB4_170:                              ;   in Loop: Header=BB4_148 Depth=1
	v_mov_b32_e32 v77, 0
	v_mov_b32_e32 v78, 0
	s_and_saveexec_b32 s13, s2
	s_cbranch_execz .LBB4_172
; %bb.171:                              ;   in Loop: Header=BB4_148 Depth=1
	v_add_co_u32 v18, vcc_lo, v144, v95
	v_add_co_ci_u32_e64 v19, null, 0, v145, vcc_lo
	global_load_dwordx2 v[77:78], v[18:19], off offset:-4
.LBB4_172:                              ;   in Loop: Header=BB4_148 Depth=1
	s_or_b32 exec_lo, exec_lo, s13
	ds_read_b64 v[18:19], v101
	v_cmp_ne_u32_e32 vcc_lo, 1, v42
	s_and_b32 vcc_lo, exec_lo, vcc_lo
	s_waitcnt vmcnt(0) lgkmcnt(0)
	v_mul_f32_e32 v26, v74, v19
	v_mul_f32_e32 v20, v74, v18
	;; [unrolled: 1-line block ×8, first 2 shown]
	v_fmac_f32_e32 v26, v73, v18
	v_fma_f32 v27, v73, v19, -v20
	v_fmac_f32_e32 v28, v71, v18
	v_fma_f32 v29, v71, v19, -v21
	;; [unrolled: 2-line block ×4, first 2 shown]
	ds_read_b128 v[22:25], v100 offset:128
	ds_read_b128 v[18:21], v100 offset:144
	ds_write2_b64 v102, v[26:27], v[28:29] offset1:67
	ds_write2_b64 v102, v[30:31], v[32:33] offset0:134 offset1:201
	s_waitcnt lgkmcnt(0)
	s_barrier
	buffer_gl0_inv
	ds_read2_b64 v[38:41], v103 offset1:1
	ds_read2_b64 v[30:33], v103 offset0:2 offset1:3
	v_add_co_u32 v26, s2, v146, v95
	v_add_co_ci_u32_e64 v27, null, 0, v147, s2
	s_waitcnt lgkmcnt(0)
	s_barrier
	buffer_gl0_inv
	s_cbranch_vccnz .LBB4_180
; %bb.173:                              ;   in Loop: Header=BB4_148 Depth=1
	v_mov_b32_e32 v79, 0
	v_mov_b32_e32 v81, 0
	;; [unrolled: 1-line block ×3, first 2 shown]
	s_mov_b32 s2, exec_lo
	v_cmpx_gt_i32_e64 s10, v111
	s_cbranch_execz .LBB4_175
; %bb.174:                              ;   in Loop: Header=BB4_148 Depth=1
	global_load_dwordx2 v[81:82], v[26:27], off offset:-4
.LBB4_175:                              ;   in Loop: Header=BB4_148 Depth=1
	s_or_b32 exec_lo, exec_lo, s2
	v_mov_b32_e32 v80, 0
	s_mov_b32 s2, exec_lo
	v_cmpx_gt_i32_e64 s10, v112
	s_cbranch_execz .LBB4_177
; %bb.176:                              ;   in Loop: Header=BB4_148 Depth=1
	v_add_co_u32 v28, vcc_lo, v142, v95
	v_add_co_ci_u32_e64 v29, null, 0, v143, vcc_lo
	global_load_dwordx2 v[79:80], v[28:29], off
.LBB4_177:                              ;   in Loop: Header=BB4_148 Depth=1
	s_or_b32 exec_lo, exec_lo, s2
	v_mov_b32_e32 v83, 0
	v_mov_b32_e32 v84, 0
	s_mov_b32 s2, exec_lo
	v_cmpx_gt_i32_e64 s10, v113
	s_cbranch_execz .LBB4_179
; %bb.178:                              ;   in Loop: Header=BB4_148 Depth=1
	v_add_co_u32 v28, vcc_lo, v138, v95
	v_add_co_ci_u32_e64 v29, null, 0, v139, vcc_lo
	global_load_dwordx2 v[83:84], v[28:29], off
.LBB4_179:                              ;   in Loop: Header=BB4_148 Depth=1
	s_or_b32 exec_lo, exec_lo, s2
	v_cmp_gt_i32_e64 s2, s10, v114
	s_branch .LBB4_182
.LBB4_180:                              ;   in Loop: Header=BB4_148 Depth=1
	s_mov_b32 s2, 0
                                        ; implicit-def: $vgpr82
                                        ; implicit-def: $vgpr80
                                        ; implicit-def: $vgpr84
	s_cbranch_execz .LBB4_182
; %bb.181:                              ;   in Loop: Header=BB4_148 Depth=1
	v_add_co_u32 v28, vcc_lo, v142, v95
	v_add_co_ci_u32_e64 v29, null, 0, v143, vcc_lo
	v_add_co_u32 v34, vcc_lo, v138, v95
	v_add_co_ci_u32_e64 v35, null, 0, v139, vcc_lo
	global_load_dwordx2 v[81:82], v[26:27], off offset:-4
	global_load_dwordx2 v[79:80], v[28:29], off
	global_load_dwordx2 v[83:84], v[34:35], off
	s_or_b32 s2, s2, exec_lo
.LBB4_182:                              ;   in Loop: Header=BB4_148 Depth=1
	v_mov_b32_e32 v85, 0
	v_mov_b32_e32 v86, 0
	s_and_saveexec_b32 s13, s2
	s_cbranch_execz .LBB4_184
; %bb.183:                              ;   in Loop: Header=BB4_148 Depth=1
	v_add_co_u32 v26, vcc_lo, v134, v95
	v_add_co_ci_u32_e64 v27, null, 0, v135, vcc_lo
	global_load_dwordx2 v[85:86], v[26:27], off
.LBB4_184:                              ;   in Loop: Header=BB4_148 Depth=1
	s_or_b32 exec_lo, exec_lo, s13
	ds_read_b64 v[26:27], v101
	v_cmp_ne_u32_e32 vcc_lo, 1, v42
	v_add_co_u32 v42, s2, v130, v95
	s_and_b32 vcc_lo, exec_lo, vcc_lo
	s_waitcnt vmcnt(0) lgkmcnt(0)
	v_mul_f32_e32 v43, v82, v27
	v_mul_f32_e32 v28, v82, v26
	;; [unrolled: 1-line block ×8, first 2 shown]
	v_fmac_f32_e32 v43, v81, v26
	v_fma_f32 v44, v81, v27, -v28
	v_fmac_f32_e32 v45, v79, v26
	v_fma_f32 v46, v79, v27, -v29
	;; [unrolled: 2-line block ×4, first 2 shown]
	ds_read_b128 v[34:37], v100 offset:256
	ds_read_b128 v[26:29], v100 offset:272
	ds_write2_b64 v102, v[43:44], v[45:46] offset1:67
	ds_write2_b64 v102, v[47:48], v[49:50] offset0:134 offset1:201
	s_waitcnt lgkmcnt(0)
	s_barrier
	buffer_gl0_inv
	ds_read2_b64 v[54:57], v103 offset1:1
	ds_read2_b64 v[50:53], v103 offset0:2 offset1:3
	v_add_co_ci_u32_e64 v43, null, 0, v131, s2
	s_waitcnt lgkmcnt(0)
	s_barrier
	buffer_gl0_inv
	s_cbranch_vccnz .LBB4_192
; %bb.185:                              ;   in Loop: Header=BB4_148 Depth=1
	v_mov_b32_e32 v89, 0
	v_mov_b32_e32 v87, 0
	;; [unrolled: 1-line block ×3, first 2 shown]
	s_mov_b32 s2, exec_lo
	v_cmpx_gt_i32_e64 s10, v115
	s_cbranch_execz .LBB4_187
; %bb.186:                              ;   in Loop: Header=BB4_148 Depth=1
	global_load_dwordx2 v[87:88], v[42:43], off
.LBB4_187:                              ;   in Loop: Header=BB4_148 Depth=1
	s_or_b32 exec_lo, exec_lo, s2
	v_mov_b32_e32 v90, 0
	s_mov_b32 s2, exec_lo
	v_cmpx_gt_i32_e64 s10, v148
	s_cbranch_execz .LBB4_189
; %bb.188:                              ;   in Loop: Header=BB4_148 Depth=1
	v_add_co_u32 v44, vcc_lo, v126, v95
	v_add_co_ci_u32_e64 v45, null, 0, v127, vcc_lo
	global_load_dwordx2 v[89:90], v[44:45], off
.LBB4_189:                              ;   in Loop: Header=BB4_148 Depth=1
	s_or_b32 exec_lo, exec_lo, s2
	v_mov_b32_e32 v91, 0
	v_mov_b32_e32 v92, 0
	s_mov_b32 s2, exec_lo
	v_cmpx_gt_i32_e64 s10, v149
	s_cbranch_execz .LBB4_191
; %bb.190:                              ;   in Loop: Header=BB4_148 Depth=1
	v_add_co_u32 v44, vcc_lo, v122, v95
	v_add_co_ci_u32_e64 v45, null, 0, v123, vcc_lo
	global_load_dwordx2 v[91:92], v[44:45], off
.LBB4_191:                              ;   in Loop: Header=BB4_148 Depth=1
	s_or_b32 exec_lo, exec_lo, s2
	v_cmp_gt_i32_e64 s2, s10, v151
	s_branch .LBB4_194
.LBB4_192:                              ;   in Loop: Header=BB4_148 Depth=1
	s_mov_b32 s2, 0
                                        ; implicit-def: $vgpr88
                                        ; implicit-def: $vgpr90
                                        ; implicit-def: $vgpr92
	s_cbranch_execz .LBB4_194
; %bb.193:                              ;   in Loop: Header=BB4_148 Depth=1
	v_add_co_u32 v44, vcc_lo, v126, v95
	v_add_co_ci_u32_e64 v45, null, 0, v127, vcc_lo
	v_add_co_u32 v46, vcc_lo, v122, v95
	v_add_co_ci_u32_e64 v47, null, 0, v123, vcc_lo
	global_load_dwordx2 v[87:88], v[42:43], off
	global_load_dwordx2 v[89:90], v[44:45], off
	;; [unrolled: 1-line block ×3, first 2 shown]
	s_or_b32 s2, s2, exec_lo
.LBB4_194:                              ;   in Loop: Header=BB4_148 Depth=1
	v_mov_b32_e32 v93, 0
	v_mov_b32_e32 v94, 0
	s_and_saveexec_b32 s13, s2
	s_cbranch_execz .LBB4_196
; %bb.195:                              ;   in Loop: Header=BB4_148 Depth=1
	v_add_co_u32 v42, vcc_lo, v118, v95
	v_add_co_ci_u32_e64 v43, null, 0, v119, vcc_lo
	global_load_dwordx2 v[93:94], v[42:43], off
.LBB4_196:                              ;   in Loop: Header=BB4_148 Depth=1
	s_or_b32 exec_lo, exec_lo, s13
	ds_read_b64 v[42:43], v101
	v_add_f32_e32 v54, 0, v54
	v_add_f32_e32 v55, 0, v55
	;; [unrolled: 1-line block ×6, first 2 shown]
	v_cmp_gt_i32_e32 vcc_lo, s10, v0
	v_add_f32_e32 v38, v38, v40
	v_add_f32_e32 v15, v15, v17
	;; [unrolled: 1-line block ×4, first 2 shown]
	s_or_b32 s2, s12, vcc_lo
	v_add_f32_e32 v30, v38, v30
	v_add_f32_e32 v41, v15, v11
	;; [unrolled: 1-line block ×4, first 2 shown]
	s_and_b32 s10, s1, s2
	v_add_f32_e32 v14, v30, v32
	v_add_f32_e32 v13, v41, v13
	s_waitcnt vmcnt(0) lgkmcnt(0)
	v_mul_f32_e32 v152, v88, v43
	v_mul_f32_e32 v44, v88, v42
	v_mul_f32_e32 v154, v90, v43
	v_mul_f32_e32 v45, v90, v42
	v_mul_f32_e32 v156, v92, v43
	v_mul_f32_e32 v46, v92, v42
	v_mul_f32_e32 v158, v94, v43
	v_mul_f32_e32 v47, v94, v42
	v_fmac_f32_e32 v152, v87, v42
	v_fma_f32 v153, v87, v43, -v44
	v_fmac_f32_e32 v154, v89, v42
	v_fma_f32 v155, v89, v43, -v45
	;; [unrolled: 2-line block ×4, first 2 shown]
	ds_read_b128 v[46:49], v100 offset:384
	ds_read_b128 v[42:45], v100 offset:400
	ds_write2_b64 v102, v[152:153], v[154:155] offset1:67
	ds_write2_b64 v102, v[156:157], v[158:159] offset0:134 offset1:201
	s_waitcnt lgkmcnt(0)
	s_barrier
	buffer_gl0_inv
	ds_read2_b64 v[152:155], v103 offset1:1
	v_add_f32_e32 v156, v54, v56
	v_add_f32_e32 v157, v55, v57
	ds_read2_b64 v[54:57], v103 offset0:2 offset1:3
	v_add_f32_e32 v12, v39, v12
	s_waitcnt lgkmcnt(0)
	v_add_f32_e32 v16, v156, v50
	v_add_f32_e32 v17, v157, v51
	s_barrier
	buffer_gl0_inv
	v_add_f32_e32 v10, v16, v52
	v_add_f32_e32 v11, v17, v53
	;; [unrolled: 1-line block ×11, first 2 shown]
	ds_write2_b64 v150, v[12:13], v[14:15] offset1:16
	ds_write2_b64 v150, v[10:11], v[16:17] offset0:32 offset1:48
	s_waitcnt lgkmcnt(0)
	s_barrier
	buffer_gl0_inv
	s_and_saveexec_b32 s2, s10
	s_cbranch_execz .LBB4_198
; %bb.197:                              ;   in Loop: Header=BB4_148 Depth=1
	ds_read_b64 v[38:39], v104
	ds_read2_b64 v[10:13], v104 offset0:1 offset1:2
	ds_read2_b64 v[14:17], v104 offset0:3 offset1:4
	;; [unrolled: 1-line block ×3, first 2 shown]
	s_waitcnt lgkmcnt(2)
	v_add_f32_e32 v10, v10, v38
	v_add_f32_e32 v11, v11, v39
	v_add_f32_e32 v38, v12, v10
	v_add_f32_e32 v39, v13, v11
	ds_read2_b64 v[10:13], v104 offset0:7 offset1:8
	s_waitcnt lgkmcnt(2)
	v_add_f32_e32 v14, v38, v14
	v_add_f32_e32 v15, v39, v15
	v_add_f32_e32 v38, v14, v16
	v_add_f32_e32 v39, v15, v17
	ds_read2_b64 v[14:17], v104 offset0:9 offset1:10
	;; [unrolled: 6-line block ×4, first 2 shown]
	s_waitcnt lgkmcnt(2)
	v_add_f32_e32 v14, v38, v14
	v_add_f32_e32 v15, v39, v15
	;; [unrolled: 1-line block ×4, first 2 shown]
	ds_read_b64 v[14:15], v105
	s_waitcnt lgkmcnt(2)
	v_add_f32_e32 v16, v16, v30
	v_add_f32_e32 v17, v17, v31
	;; [unrolled: 1-line block ×4, first 2 shown]
	v_add_nc_u32_e32 v16, s9, v0
	s_waitcnt lgkmcnt(1)
	v_add_f32_e32 v10, v30, v10
	v_add_f32_e32 v11, v17, v11
	v_ashrrev_i32_e32 v17, 31, v16
	v_add_f32_e32 v12, v10, v12
	v_add_f32_e32 v13, v11, v13
	v_lshlrev_b64 v[10:11], 3, v[16:17]
	s_waitcnt lgkmcnt(0)
	v_add_f32_e32 v12, v12, v14
	v_add_f32_e32 v13, v13, v15
	v_add_co_u32 v10, vcc_lo, s3, v10
	v_add_co_ci_u32_e64 v11, null, s7, v11, vcc_lo
	global_store_dwordx2 v[10:11], v[12:13], off
.LBB4_198:                              ;   in Loop: Header=BB4_148 Depth=1
	s_or_b32 exec_lo, exec_lo, s2
	v_mul_f32_e32 v10, v64, v7
	v_mul_f32_e32 v7, v63, v7
	;; [unrolled: 1-line block ×5, first 2 shown]
	v_fma_f32 v10, v63, v6, -v10
	v_fmac_f32_e32 v7, v64, v6
	v_fma_f32 v11, v65, v8, -v11
	v_mul_f32_e32 v3, v67, v3
	v_mul_f32_e32 v13, v70, v5
	v_add_f32_e32 v10, v60, v10
	v_fma_f32 v6, v67, v2, -v12
	v_fmac_f32_e32 v9, v66, v8
	v_add_f32_e32 v7, v61, v7
	v_mul_f32_e32 v5, v69, v5
	v_add_f32_e32 v10, v10, v11
	v_mul_f32_e32 v14, v74, v23
	v_fma_f32 v8, v69, v4, -v13
	v_fmac_f32_e32 v3, v68, v2
	v_add_f32_e32 v2, v7, v9
	v_add_f32_e32 v6, v10, v6
	v_mul_f32_e32 v15, v73, v23
	v_mul_f32_e32 v11, v72, v25
	v_fma_f32 v7, v73, v22, -v14
	v_fmac_f32_e32 v5, v70, v4
	v_add_f32_e32 v6, v6, v8
	v_add_f32_e32 v2, v2, v3
	v_mul_f32_e32 v10, v71, v25
	v_mul_f32_e32 v8, v76, v19
	v_fma_f32 v3, v71, v24, -v11
	v_add_f32_e32 v4, v6, v7
	v_fmac_f32_e32 v15, v74, v22
	v_add_f32_e32 v2, v2, v5
	v_mul_f32_e32 v6, v78, v21
	v_fma_f32 v5, v75, v18, -v8
	v_add_f32_e32 v3, v4, v3
	v_mul_f32_e32 v4, v75, v19
	v_fmac_f32_e32 v10, v72, v24
	v_add_f32_e32 v2, v2, v15
	v_fma_f32 v6, v77, v20, -v6
	v_add_f32_e32 v3, v3, v5
	v_mul_f32_e32 v5, v82, v35
	v_fmac_f32_e32 v4, v76, v18
	v_add_f32_e32 v2, v2, v10
	v_mul_f32_e32 v7, v77, v21
	v_add_f32_e32 v3, v3, v6
	v_fma_f32 v5, v81, v34, -v5
	v_mul_f32_e32 v6, v80, v37
	v_add_f32_e32 v2, v2, v4
	v_fmac_f32_e32 v7, v78, v20
	v_mul_f32_e32 v4, v81, v35
	v_add_f32_e32 v3, v3, v5
	v_fma_f32 v5, v79, v36, -v6
	v_mul_f32_e32 v6, v84, v27
	v_add_f32_e32 v2, v2, v7
	v_fmac_f32_e32 v4, v82, v34
	v_mul_f32_e32 v7, v79, v37
	v_add_f32_e32 v3, v3, v5
	v_fma_f32 v5, v83, v26, -v6
	v_mul_f32_e32 v6, v86, v29
	v_add_f32_e32 v2, v2, v4
	v_fmac_f32_e32 v7, v80, v36
	v_mul_f32_e32 v4, v83, v27
	v_add_co_u32 v116, vcc_lo, v116, s4
	v_add_f32_e32 v3, v3, v5
	v_fma_f32 v5, v85, v28, -v6
	v_add_f32_e32 v2, v2, v7
	v_fmac_f32_e32 v4, v84, v26
	v_mul_f32_e32 v6, v88, v47
	v_mul_f32_e32 v7, v85, v29
	v_add_co_ci_u32_e64 v117, null, s5, v117, vcc_lo
	v_add_co_u32 v118, vcc_lo, v118, s4
	v_add_co_ci_u32_e64 v119, null, s5, v119, vcc_lo
	v_add_co_u32 v120, vcc_lo, v120, s4
	;; [unrolled: 2-line block ×3, first 2 shown]
	v_add_f32_e32 v3, v3, v5
	v_add_f32_e32 v2, v2, v4
	v_fma_f32 v4, v87, v46, -v6
	v_mul_f32_e32 v5, v90, v49
	v_fmac_f32_e32 v7, v86, v28
	v_mul_f32_e32 v6, v87, v47
	v_add_co_ci_u32_e64 v123, null, s5, v123, vcc_lo
	v_add_co_u32 v124, vcc_lo, v124, s4
	v_add_co_ci_u32_e64 v125, null, s5, v125, vcc_lo
	v_add_co_u32 v126, vcc_lo, v126, s4
	v_add_f32_e32 v3, v3, v4
	v_fma_f32 v4, v89, v48, -v5
	v_add_f32_e32 v2, v2, v7
	v_mul_f32_e32 v5, v89, v49
	v_fmac_f32_e32 v6, v88, v46
	v_add_co_ci_u32_e64 v127, null, s5, v127, vcc_lo
	v_add_co_u32 v128, vcc_lo, v128, s4
	v_add_co_ci_u32_e64 v129, null, s5, v129, vcc_lo
	v_add_co_u32 v130, vcc_lo, v130, s4
	;; [unrolled: 2-line block ×3, first 2 shown]
	v_mul_f32_e32 v7, v92, v43
	v_add_f32_e32 v3, v3, v4
	v_mul_f32_e32 v4, v91, v43
	v_fmac_f32_e32 v5, v90, v48
	v_add_f32_e32 v2, v2, v6
	v_add_co_ci_u32_e64 v133, null, s5, v133, vcc_lo
	v_add_co_u32 v134, vcc_lo, v134, s4
	v_add_co_ci_u32_e64 v135, null, s5, v135, vcc_lo
	v_add_co_u32 v136, vcc_lo, v136, s4
	v_fma_f32 v6, v91, v42, -v7
	v_mul_f32_e32 v7, v94, v45
	v_mul_f32_e32 v8, v93, v45
	v_fmac_f32_e32 v4, v92, v42
	v_add_f32_e32 v2, v2, v5
	v_add_co_ci_u32_e64 v137, null, s5, v137, vcc_lo
	v_add_co_u32 v138, vcc_lo, v138, s4
	v_add_co_ci_u32_e64 v139, null, s5, v139, vcc_lo
	v_add_co_u32 v140, vcc_lo, v140, s4
	;; [unrolled: 2-line block ×3, first 2 shown]
	v_add_f32_e32 v3, v3, v6
	v_fma_f32 v5, v93, v44, -v7
	v_fmac_f32_e32 v8, v94, v44
	v_add_f32_e32 v2, v2, v4
	v_add_co_ci_u32_e64 v143, null, s5, v143, vcc_lo
	v_add_co_u32 v144, vcc_lo, v144, s4
	v_add_co_ci_u32_e64 v145, null, s5, v145, vcc_lo
	v_add_co_u32 v146, vcc_lo, v146, s4
	v_add_f32_e32 v60, v3, v5
	v_add_f32_e32 v61, v2, v8
	v_add_co_ci_u32_e64 v147, null, s5, v147, vcc_lo
	s_add_i32 s2, s6, 1
	s_add_i32 s6, s6, 2
	;; [unrolled: 1-line block ×3, first 2 shown]
	s_cmp_ge_u32 s6, s22
	s_waitcnt_vscnt null, 0x0
	s_barrier
	buffer_gl0_inv
	s_cbranch_scc1 .LBB4_200
; %bb.199:                              ;   in Loop: Header=BB4_148 Depth=1
	s_mov_b32 s6, s2
	s_cmp_eq_u32 s8, s6
	s_cselect_b32 s10, s23, 0
	s_and_saveexec_b32 s2, s0
	s_cbranch_execnz .LBB4_144
	s_branch .LBB4_148
.LBB4_200:
	v_cmp_gt_i32_e32 vcc_lo, s16, v0
	v_mad_u32_u24 v1, 0x218, v1, v95
	s_or_b32 s1, s11, vcc_lo
	ds_write_b64 v1, v[60:61]
	s_and_b32 s0, s0, s1
	s_waitcnt lgkmcnt(0)
	s_barrier
	buffer_gl0_inv
	s_and_saveexec_b32 s1, s0
	s_cbranch_execz .LBB4_202
; %bb.201:
	ds_read2_b64 v[0:3], v95 offset1:67
	ds_read2_b64 v[4:7], v95 offset0:134 offset1:201
	s_waitcnt lgkmcnt(1)
	v_add_f32_e32 v0, v2, v0
	v_add_f32_e32 v1, v3, v1
	s_waitcnt lgkmcnt(0)
	v_add_f32_e32 v2, v4, v0
	v_add_f32_e32 v3, v5, v1
	v_lshlrev_b64 v[0:1], 3, v[58:59]
	v_add_f32_e32 v2, v2, v6
	v_add_f32_e32 v3, v3, v7
	v_add_co_u32 v0, vcc_lo, s3, v0
	v_add_co_ci_u32_e64 v1, null, s7, v1, vcc_lo
	global_store_dwordx2 v[0:1], v[2:3], off
.LBB4_202:
	s_endpgm
	.section	.rodata,"a",@progbits
	.p2align	6, 0x0
	.amdhsa_kernel _ZL26rocblas_hemvn_kernel_upperILb1ELi64ELi4ELi33ELi32ELi16El19rocblas_complex_numIfEPKS1_PS1_EviT6_lT7_lT5_lS6_lS7_lS5_lT8_i
		.amdhsa_group_segment_fixed_size 9600
		.amdhsa_private_segment_fixed_size 0
		.amdhsa_kernarg_size 376
		.amdhsa_user_sgpr_count 6
		.amdhsa_user_sgpr_private_segment_buffer 1
		.amdhsa_user_sgpr_dispatch_ptr 0
		.amdhsa_user_sgpr_queue_ptr 0
		.amdhsa_user_sgpr_kernarg_segment_ptr 1
		.amdhsa_user_sgpr_dispatch_id 0
		.amdhsa_user_sgpr_flat_scratch_init 0
		.amdhsa_user_sgpr_private_segment_size 0
		.amdhsa_wavefront_size32 1
		.amdhsa_uses_dynamic_stack 0
		.amdhsa_system_sgpr_private_segment_wavefront_offset 0
		.amdhsa_system_sgpr_workgroup_id_x 1
		.amdhsa_system_sgpr_workgroup_id_y 0
		.amdhsa_system_sgpr_workgroup_id_z 1
		.amdhsa_system_sgpr_workgroup_info 0
		.amdhsa_system_vgpr_workitem_id 1
		.amdhsa_next_free_vgpr 160
		.amdhsa_next_free_sgpr 30
		.amdhsa_reserve_vcc 1
		.amdhsa_reserve_flat_scratch 0
		.amdhsa_float_round_mode_32 0
		.amdhsa_float_round_mode_16_64 0
		.amdhsa_float_denorm_mode_32 3
		.amdhsa_float_denorm_mode_16_64 3
		.amdhsa_dx10_clamp 1
		.amdhsa_ieee_mode 1
		.amdhsa_fp16_overflow 0
		.amdhsa_workgroup_processor_mode 1
		.amdhsa_memory_ordered 1
		.amdhsa_forward_progress 1
		.amdhsa_shared_vgpr_count 0
		.amdhsa_exception_fp_ieee_invalid_op 0
		.amdhsa_exception_fp_denorm_src 0
		.amdhsa_exception_fp_ieee_div_zero 0
		.amdhsa_exception_fp_ieee_overflow 0
		.amdhsa_exception_fp_ieee_underflow 0
		.amdhsa_exception_fp_ieee_inexact 0
		.amdhsa_exception_int_div_zero 0
	.end_amdhsa_kernel
	.section	.text._ZL26rocblas_hemvn_kernel_upperILb1ELi64ELi4ELi33ELi32ELi16El19rocblas_complex_numIfEPKS1_PS1_EviT6_lT7_lT5_lS6_lS7_lS5_lT8_i,"axG",@progbits,_ZL26rocblas_hemvn_kernel_upperILb1ELi64ELi4ELi33ELi32ELi16El19rocblas_complex_numIfEPKS1_PS1_EviT6_lT7_lT5_lS6_lS7_lS5_lT8_i,comdat
.Lfunc_end4:
	.size	_ZL26rocblas_hemvn_kernel_upperILb1ELi64ELi4ELi33ELi32ELi16El19rocblas_complex_numIfEPKS1_PS1_EviT6_lT7_lT5_lS6_lS7_lS5_lT8_i, .Lfunc_end4-_ZL26rocblas_hemvn_kernel_upperILb1ELi64ELi4ELi33ELi32ELi16El19rocblas_complex_numIfEPKS1_PS1_EviT6_lT7_lT5_lS6_lS7_lS5_lT8_i
                                        ; -- End function
	.set _ZL26rocblas_hemvn_kernel_upperILb1ELi64ELi4ELi33ELi32ELi16El19rocblas_complex_numIfEPKS1_PS1_EviT6_lT7_lT5_lS6_lS7_lS5_lT8_i.num_vgpr, 160
	.set _ZL26rocblas_hemvn_kernel_upperILb1ELi64ELi4ELi33ELi32ELi16El19rocblas_complex_numIfEPKS1_PS1_EviT6_lT7_lT5_lS6_lS7_lS5_lT8_i.num_agpr, 0
	.set _ZL26rocblas_hemvn_kernel_upperILb1ELi64ELi4ELi33ELi32ELi16El19rocblas_complex_numIfEPKS1_PS1_EviT6_lT7_lT5_lS6_lS7_lS5_lT8_i.numbered_sgpr, 30
	.set _ZL26rocblas_hemvn_kernel_upperILb1ELi64ELi4ELi33ELi32ELi16El19rocblas_complex_numIfEPKS1_PS1_EviT6_lT7_lT5_lS6_lS7_lS5_lT8_i.num_named_barrier, 0
	.set _ZL26rocblas_hemvn_kernel_upperILb1ELi64ELi4ELi33ELi32ELi16El19rocblas_complex_numIfEPKS1_PS1_EviT6_lT7_lT5_lS6_lS7_lS5_lT8_i.private_seg_size, 0
	.set _ZL26rocblas_hemvn_kernel_upperILb1ELi64ELi4ELi33ELi32ELi16El19rocblas_complex_numIfEPKS1_PS1_EviT6_lT7_lT5_lS6_lS7_lS5_lT8_i.uses_vcc, 1
	.set _ZL26rocblas_hemvn_kernel_upperILb1ELi64ELi4ELi33ELi32ELi16El19rocblas_complex_numIfEPKS1_PS1_EviT6_lT7_lT5_lS6_lS7_lS5_lT8_i.uses_flat_scratch, 0
	.set _ZL26rocblas_hemvn_kernel_upperILb1ELi64ELi4ELi33ELi32ELi16El19rocblas_complex_numIfEPKS1_PS1_EviT6_lT7_lT5_lS6_lS7_lS5_lT8_i.has_dyn_sized_stack, 0
	.set _ZL26rocblas_hemvn_kernel_upperILb1ELi64ELi4ELi33ELi32ELi16El19rocblas_complex_numIfEPKS1_PS1_EviT6_lT7_lT5_lS6_lS7_lS5_lT8_i.has_recursion, 0
	.set _ZL26rocblas_hemvn_kernel_upperILb1ELi64ELi4ELi33ELi32ELi16El19rocblas_complex_numIfEPKS1_PS1_EviT6_lT7_lT5_lS6_lS7_lS5_lT8_i.has_indirect_call, 0
	.section	.AMDGPU.csdata,"",@progbits
; Kernel info:
; codeLenInByte = 10088
; TotalNumSgprs: 32
; NumVgprs: 160
; ScratchSize: 0
; MemoryBound: 1
; FloatMode: 240
; IeeeMode: 1
; LDSByteSize: 9600 bytes/workgroup (compile time only)
; SGPRBlocks: 0
; VGPRBlocks: 19
; NumSGPRsForWavesPerEU: 32
; NumVGPRsForWavesPerEU: 160
; Occupancy: 6
; WaveLimiterHint : 0
; COMPUTE_PGM_RSRC2:SCRATCH_EN: 0
; COMPUTE_PGM_RSRC2:USER_SGPR: 6
; COMPUTE_PGM_RSRC2:TRAP_HANDLER: 0
; COMPUTE_PGM_RSRC2:TGID_X_EN: 1
; COMPUTE_PGM_RSRC2:TGID_Y_EN: 0
; COMPUTE_PGM_RSRC2:TGID_Z_EN: 1
; COMPUTE_PGM_RSRC2:TIDIG_COMP_CNT: 1
	.section	.text._ZL36rocblas_hemvn_kernel_upper_block_sumILi64El19rocblas_complex_numIfEPS1_S1_EviT1_lS3_lT2_lT0_lPT3_i,"axG",@progbits,_ZL36rocblas_hemvn_kernel_upper_block_sumILi64El19rocblas_complex_numIfEPS1_S1_EviT1_lS3_lT2_lT0_lPT3_i,comdat
	.globl	_ZL36rocblas_hemvn_kernel_upper_block_sumILi64El19rocblas_complex_numIfEPS1_S1_EviT1_lS3_lT2_lT0_lPT3_i ; -- Begin function _ZL36rocblas_hemvn_kernel_upper_block_sumILi64El19rocblas_complex_numIfEPS1_S1_EviT1_lS3_lT2_lT0_lPT3_i
	.p2align	8
	.type	_ZL36rocblas_hemvn_kernel_upper_block_sumILi64El19rocblas_complex_numIfEPS1_S1_EviT1_lS3_lT2_lT0_lPT3_i,@function
_ZL36rocblas_hemvn_kernel_upper_block_sumILi64El19rocblas_complex_numIfEPS1_S1_EviT1_lS3_lT2_lT0_lPT3_i: ; @_ZL36rocblas_hemvn_kernel_upper_block_sumILi64El19rocblas_complex_numIfEPS1_S1_EviT1_lS3_lT2_lT0_lPT3_i
; %bb.0:
	s_clause 0x1
	s_load_dwordx4 s[16:19], s[4:5], 0x0
	s_load_dwordx2 s[2:3], s[4:5], 0x18
	s_waitcnt lgkmcnt(0)
	s_or_b32 s0, s17, s18
	s_bitset0_b32 s0, 31
	s_cmp_eq_u32 s0, 0
	s_cselect_b32 s1, -1, 0
	s_cmp_lg_u32 s0, 0
	s_mov_b32 s0, -1
	s_cbranch_scc1 .LBB5_2
; %bb.1:
	v_cmp_neq_f32_e64 s0, s2, 1.0
	v_cmp_neq_f32_e64 s8, s3, 0
	s_or_b32 s0, s0, s8
.LBB5_2:
	s_andn2_b32 vcc_lo, exec_lo, s0
	s_cbranch_vccnz .LBB5_19
; %bb.3:
	s_clause 0x1
	s_load_dwordx8 s[8:15], s[4:5], 0x30
	s_load_dwordx2 s[20:21], s[4:5], 0x28
	v_lshl_or_b32 v0, s6, 6, v0
	s_waitcnt lgkmcnt(0)
	s_mul_i32 s0, s13, s7
	s_mul_hi_u32 s13, s12, s7
	s_mul_i32 s12, s12, s7
	s_add_i32 s13, s13, s0
	v_cmp_gt_i32_e64 s0, s16, v0
	s_lshl_b64 s[12:13], s[12:13], 3
	s_add_u32 s12, s20, s12
	s_addc_u32 s13, s21, s13
	s_lshl_b64 s[8:9], s[8:9], 3
	s_add_u32 s8, s12, s8
	s_addc_u32 s9, s13, s9
	s_andn2_b32 vcc_lo, exec_lo, s1
	s_mov_b32 s1, -1
	s_cbranch_vccnz .LBB5_9
; %bb.4:
	s_and_saveexec_b32 s1, s0
	s_cbranch_execz .LBB5_8
; %bb.5:
	v_ashrrev_i32_e32 v1, 31, v0
	v_mul_lo_u32 v3, s11, v0
	v_cmp_neq_f32_e64 s0, s2, 0
	v_cmp_neq_f32_e64 s12, s3, 0
	v_mul_lo_u32 v4, s10, v1
	v_mad_u64_u32 v[1:2], null, s10, v0, 0
	s_or_b32 s0, s0, s12
	s_andn2_b32 vcc_lo, exec_lo, s0
	v_add3_u32 v2, v2, v4, v3
	v_mov_b32_e32 v3, 0
	v_mov_b32_e32 v4, 0
	v_lshlrev_b64 v[1:2], 3, v[1:2]
	s_cbranch_vccnz .LBB5_7
; %bb.6:
	v_add_co_u32 v3, vcc_lo, s8, v1
	v_add_co_ci_u32_e64 v4, null, s9, v2, vcc_lo
	global_load_dwordx2 v[5:6], v[3:4], off
	s_waitcnt vmcnt(0)
	v_mul_f32_e32 v3, s3, v6
	v_mul_f32_e32 v4, s2, v6
	v_fma_f32 v3, v5, s2, -v3
	v_fmac_f32_e32 v4, s3, v5
.LBB5_7:
	v_add_co_u32 v1, vcc_lo, s8, v1
	v_add_co_ci_u32_e64 v2, null, s9, v2, vcc_lo
	global_store_dwordx2 v[1:2], v[3:4], off
.LBB5_8:
	s_or_b32 exec_lo, exec_lo, s1
	s_mov_b32 s1, 0
.LBB5_9:
	s_andn2_b32 vcc_lo, exec_lo, s1
	s_cbranch_vccnz .LBB5_19
; %bb.10:
	s_mov_b32 s0, exec_lo
	v_cmpx_gt_i32_e64 s16, v0
	s_cbranch_execz .LBB5_19
; %bb.11:
	v_ashrrev_i32_e32 v1, 31, v0
	v_mov_b32_e32 v4, 0
	v_mov_b32_e32 v5, 0
	s_cmp_lt_i32 s6, 0
	s_cbranch_scc1 .LBB5_14
; %bb.12:
	s_load_dword s0, s[4:5], 0x58
	s_ashr_i32 s1, s16, 31
	s_mul_hi_u32 s4, s16, s7
	s_mul_i32 s5, s1, s7
	v_lshlrev_b64 v[2:3], 3, v[0:1]
	s_add_i32 s4, s4, s5
	s_mul_i32 s5, s16, s7
	v_mov_b32_e32 v4, 0
	v_mov_b32_e32 v5, 0
	s_waitcnt lgkmcnt(0)
	s_mul_i32 s7, s4, s0
	s_mul_hi_u32 s12, s5, s0
	s_mul_i32 s4, s5, s0
	s_add_i32 s5, s12, s7
	s_lshl_b64 s[12:13], s[4:5], 3
	s_add_i32 s4, s6, 1
	s_add_u32 s0, s14, s12
	s_addc_u32 s5, s15, s13
	v_add_co_u32 v2, vcc_lo, s0, v2
	v_add_co_ci_u32_e64 v3, null, s5, v3, vcc_lo
	s_mov_b32 s0, s16
	v_add_co_u32 v2, vcc_lo, v2, 4
	v_add_co_ci_u32_e64 v3, null, 0, v3, vcc_lo
	s_lshl_b64 s[0:1], s[0:1], 3
.LBB5_13:                               ; =>This Inner Loop Header: Depth=1
	global_load_dwordx2 v[6:7], v[2:3], off offset:-4
	v_add_co_u32 v2, vcc_lo, v2, s0
	v_add_co_ci_u32_e64 v3, null, s1, v3, vcc_lo
	s_add_i32 s4, s4, -1
	s_cmp_eq_u32 s4, 0
	s_waitcnt vmcnt(0)
	v_add_f32_e32 v5, v5, v6
	v_add_f32_e32 v4, v4, v7
	s_cbranch_scc0 .LBB5_13
.LBB5_14:
	v_mul_f32_e32 v3, s18, v4
	v_mul_f32_e32 v2, s17, v4
	v_cmp_neq_f32_e64 s0, s2, 0
	v_cmp_neq_f32_e64 s1, s3, 0
	v_mul_lo_u32 v6, s11, v0
	v_mul_lo_u32 v7, s10, v1
	v_fma_f32 v1, v5, s17, -v3
	v_fmac_f32_e32 v2, s18, v5
	s_or_b32 s0, s0, s1
	s_andn2_b32 vcc_lo, exec_lo, s0
	s_mov_b32 s0, 0
	s_cbranch_vccz .LBB5_16
; %bb.15:
	v_mad_u64_u32 v[3:4], null, s10, v0, 0
	v_add3_u32 v4, v4, v7, v6
	s_andn2_b32 vcc_lo, exec_lo, s0
	s_cbranch_vccz .LBB5_17
	s_branch .LBB5_18
.LBB5_16:
                                        ; implicit-def: $vgpr3_vgpr4
.LBB5_17:
	v_mad_u64_u32 v[3:4], null, s10, v0, 0
	v_add3_u32 v4, v4, v7, v6
	v_lshlrev_b64 v[5:6], 3, v[3:4]
	v_add_co_u32 v5, vcc_lo, s8, v5
	v_add_co_ci_u32_e64 v6, null, s9, v6, vcc_lo
	global_load_dwordx2 v[5:6], v[5:6], off
	s_waitcnt vmcnt(0)
	v_mul_f32_e32 v0, s3, v6
	v_mul_f32_e32 v6, s2, v6
	v_fma_f32 v0, v5, s2, -v0
	v_fmac_f32_e32 v6, s3, v5
	v_add_f32_e32 v1, v1, v0
	v_add_f32_e32 v2, v2, v6
.LBB5_18:
	v_lshlrev_b64 v[3:4], 3, v[3:4]
	v_add_co_u32 v3, vcc_lo, s8, v3
	v_add_co_ci_u32_e64 v4, null, s9, v4, vcc_lo
	global_store_dwordx2 v[3:4], v[1:2], off
.LBB5_19:
	s_endpgm
	.section	.rodata,"a",@progbits
	.p2align	6, 0x0
	.amdhsa_kernel _ZL36rocblas_hemvn_kernel_upper_block_sumILi64El19rocblas_complex_numIfEPS1_S1_EviT1_lS3_lT2_lT0_lPT3_i
		.amdhsa_group_segment_fixed_size 0
		.amdhsa_private_segment_fixed_size 0
		.amdhsa_kernarg_size 344
		.amdhsa_user_sgpr_count 6
		.amdhsa_user_sgpr_private_segment_buffer 1
		.amdhsa_user_sgpr_dispatch_ptr 0
		.amdhsa_user_sgpr_queue_ptr 0
		.amdhsa_user_sgpr_kernarg_segment_ptr 1
		.amdhsa_user_sgpr_dispatch_id 0
		.amdhsa_user_sgpr_flat_scratch_init 0
		.amdhsa_user_sgpr_private_segment_size 0
		.amdhsa_wavefront_size32 1
		.amdhsa_uses_dynamic_stack 0
		.amdhsa_system_sgpr_private_segment_wavefront_offset 0
		.amdhsa_system_sgpr_workgroup_id_x 1
		.amdhsa_system_sgpr_workgroup_id_y 0
		.amdhsa_system_sgpr_workgroup_id_z 1
		.amdhsa_system_sgpr_workgroup_info 0
		.amdhsa_system_vgpr_workitem_id 0
		.amdhsa_next_free_vgpr 8
		.amdhsa_next_free_sgpr 22
		.amdhsa_reserve_vcc 1
		.amdhsa_reserve_flat_scratch 0
		.amdhsa_float_round_mode_32 0
		.amdhsa_float_round_mode_16_64 0
		.amdhsa_float_denorm_mode_32 3
		.amdhsa_float_denorm_mode_16_64 3
		.amdhsa_dx10_clamp 1
		.amdhsa_ieee_mode 1
		.amdhsa_fp16_overflow 0
		.amdhsa_workgroup_processor_mode 1
		.amdhsa_memory_ordered 1
		.amdhsa_forward_progress 1
		.amdhsa_shared_vgpr_count 0
		.amdhsa_exception_fp_ieee_invalid_op 0
		.amdhsa_exception_fp_denorm_src 0
		.amdhsa_exception_fp_ieee_div_zero 0
		.amdhsa_exception_fp_ieee_overflow 0
		.amdhsa_exception_fp_ieee_underflow 0
		.amdhsa_exception_fp_ieee_inexact 0
		.amdhsa_exception_int_div_zero 0
	.end_amdhsa_kernel
	.section	.text._ZL36rocblas_hemvn_kernel_upper_block_sumILi64El19rocblas_complex_numIfEPS1_S1_EviT1_lS3_lT2_lT0_lPT3_i,"axG",@progbits,_ZL36rocblas_hemvn_kernel_upper_block_sumILi64El19rocblas_complex_numIfEPS1_S1_EviT1_lS3_lT2_lT0_lPT3_i,comdat
.Lfunc_end5:
	.size	_ZL36rocblas_hemvn_kernel_upper_block_sumILi64El19rocblas_complex_numIfEPS1_S1_EviT1_lS3_lT2_lT0_lPT3_i, .Lfunc_end5-_ZL36rocblas_hemvn_kernel_upper_block_sumILi64El19rocblas_complex_numIfEPS1_S1_EviT1_lS3_lT2_lT0_lPT3_i
                                        ; -- End function
	.set _ZL36rocblas_hemvn_kernel_upper_block_sumILi64El19rocblas_complex_numIfEPS1_S1_EviT1_lS3_lT2_lT0_lPT3_i.num_vgpr, 8
	.set _ZL36rocblas_hemvn_kernel_upper_block_sumILi64El19rocblas_complex_numIfEPS1_S1_EviT1_lS3_lT2_lT0_lPT3_i.num_agpr, 0
	.set _ZL36rocblas_hemvn_kernel_upper_block_sumILi64El19rocblas_complex_numIfEPS1_S1_EviT1_lS3_lT2_lT0_lPT3_i.numbered_sgpr, 22
	.set _ZL36rocblas_hemvn_kernel_upper_block_sumILi64El19rocblas_complex_numIfEPS1_S1_EviT1_lS3_lT2_lT0_lPT3_i.num_named_barrier, 0
	.set _ZL36rocblas_hemvn_kernel_upper_block_sumILi64El19rocblas_complex_numIfEPS1_S1_EviT1_lS3_lT2_lT0_lPT3_i.private_seg_size, 0
	.set _ZL36rocblas_hemvn_kernel_upper_block_sumILi64El19rocblas_complex_numIfEPS1_S1_EviT1_lS3_lT2_lT0_lPT3_i.uses_vcc, 1
	.set _ZL36rocblas_hemvn_kernel_upper_block_sumILi64El19rocblas_complex_numIfEPS1_S1_EviT1_lS3_lT2_lT0_lPT3_i.uses_flat_scratch, 0
	.set _ZL36rocblas_hemvn_kernel_upper_block_sumILi64El19rocblas_complex_numIfEPS1_S1_EviT1_lS3_lT2_lT0_lPT3_i.has_dyn_sized_stack, 0
	.set _ZL36rocblas_hemvn_kernel_upper_block_sumILi64El19rocblas_complex_numIfEPS1_S1_EviT1_lS3_lT2_lT0_lPT3_i.has_recursion, 0
	.set _ZL36rocblas_hemvn_kernel_upper_block_sumILi64El19rocblas_complex_numIfEPS1_S1_EviT1_lS3_lT2_lT0_lPT3_i.has_indirect_call, 0
	.section	.AMDGPU.csdata,"",@progbits
; Kernel info:
; codeLenInByte = 764
; TotalNumSgprs: 24
; NumVgprs: 8
; ScratchSize: 0
; MemoryBound: 0
; FloatMode: 240
; IeeeMode: 1
; LDSByteSize: 0 bytes/workgroup (compile time only)
; SGPRBlocks: 0
; VGPRBlocks: 0
; NumSGPRsForWavesPerEU: 24
; NumVGPRsForWavesPerEU: 8
; Occupancy: 16
; WaveLimiterHint : 0
; COMPUTE_PGM_RSRC2:SCRATCH_EN: 0
; COMPUTE_PGM_RSRC2:USER_SGPR: 6
; COMPUTE_PGM_RSRC2:TRAP_HANDLER: 0
; COMPUTE_PGM_RSRC2:TGID_X_EN: 1
; COMPUTE_PGM_RSRC2:TGID_Y_EN: 0
; COMPUTE_PGM_RSRC2:TGID_Z_EN: 1
; COMPUTE_PGM_RSRC2:TIDIG_COMP_CNT: 0
	.section	.text._ZL26rocblas_hemvn_kernel_upperILb1ELi64ELi4ELi33ELi32ELi16Ei19rocblas_complex_numIfEPKS1_PS1_EviT6_lT7_lT5_lS6_lS7_lS5_lT8_i,"axG",@progbits,_ZL26rocblas_hemvn_kernel_upperILb1ELi64ELi4ELi33ELi32ELi16Ei19rocblas_complex_numIfEPKS1_PS1_EviT6_lT7_lT5_lS6_lS7_lS5_lT8_i,comdat
	.globl	_ZL26rocblas_hemvn_kernel_upperILb1ELi64ELi4ELi33ELi32ELi16Ei19rocblas_complex_numIfEPKS1_PS1_EviT6_lT7_lT5_lS6_lS7_lS5_lT8_i ; -- Begin function _ZL26rocblas_hemvn_kernel_upperILb1ELi64ELi4ELi33ELi32ELi16Ei19rocblas_complex_numIfEPKS1_PS1_EviT6_lT7_lT5_lS6_lS7_lS5_lT8_i
	.p2align	8
	.type	_ZL26rocblas_hemvn_kernel_upperILb1ELi64ELi4ELi33ELi32ELi16Ei19rocblas_complex_numIfEPKS1_PS1_EviT6_lT7_lT5_lS6_lS7_lS5_lT8_i,@function
_ZL26rocblas_hemvn_kernel_upperILb1ELi64ELi4ELi33ELi32ELi16Ei19rocblas_complex_numIfEPKS1_PS1_EviT6_lT7_lT5_lS6_lS7_lS5_lT8_i: ; @_ZL26rocblas_hemvn_kernel_upperILb1ELi64ELi4ELi33ELi32ELi16Ei19rocblas_complex_numIfEPKS1_PS1_EviT6_lT7_lT5_lS6_lS7_lS5_lT8_i
; %bb.0:
	s_load_dwordx2 s[2:3], s[4:5], 0x84
	s_add_u32 s0, s4, 0x78
	s_addc_u32 s1, s5, 0
	s_waitcnt lgkmcnt(0)
	s_lshr_b32 s8, s2, 16
	s_and_b32 s2, s2, 0xffff
	s_and_b32 s3, s3, 0xffff
	s_mul_i32 s2, s8, s2
	s_mul_i32 s2, s2, s3
	s_cmpk_lg_i32 s2, 0x100
	s_cbranch_scc1 .LBB6_202
; %bb.1:
	s_load_dwordx2 s[2:3], s[4:5], 0x4
	s_waitcnt lgkmcnt(0)
	s_or_b32 s2, s2, s3
	s_mov_b32 s3, -1
	s_bitset0_b32 s2, 31
	s_cmp_lg_u32 s2, 0
	s_cselect_b32 s2, -1, 0
	s_and_b32 vcc_lo, exec_lo, s2
	s_cbranch_vccnz .LBB6_3
; %bb.2:
	s_load_dwordx2 s[8:9], s[4:5], 0x58
	s_waitcnt lgkmcnt(0)
	v_cmp_neq_f32_e64 s3, s8, 1.0
	v_cmp_neq_f32_e64 s8, s9, 0
	s_or_b32 s3, s3, s8
.LBB6_3:
	s_andn2_b32 vcc_lo, exec_lo, s3
	s_cbranch_vccnz .LBB6_202
; %bb.4:
	s_andn2_b32 vcc_lo, exec_lo, s2
	s_cbranch_vccnz .LBB6_202
; %bb.5:
	s_clause 0x4
	s_load_dwordx2 s[2:3], s[4:5], 0x50
	s_load_dwordx4 s[8:11], s[4:5], 0x30
	s_load_dwordx2 s[12:13], s[4:5], 0x40
	s_load_dword s27, s[4:5], 0x48
	s_load_dword s28, s[4:5], 0x0
	;; [unrolled: 1-line block ×3, first 2 shown]
	s_waitcnt lgkmcnt(0)
	s_mul_i32 s3, s3, s7
	s_mul_hi_u32 s14, s2, s7
	s_mul_i32 s2, s2, s7
	s_add_i32 s3, s14, s3
	s_lshl_b64 s[2:3], s[2:3], 3
	s_add_u32 s10, s10, s2
	s_addc_u32 s11, s11, s3
	s_lshl_b64 s[2:3], s[12:13], 3
	s_add_u32 s2, s10, s2
	s_addc_u32 s3, s11, s3
	s_lshl_b32 s16, s6, 6
	s_ashr_i32 s11, s28, 31
	v_add_nc_u32_e32 v58, s16, v0
	s_lshr_b32 s0, s11, 26
	s_add_i32 s1, s24, -1
	s_add_i32 s0, s28, s0
	v_mul_lo_u32 v2, s27, v58
	s_andn2_b32 s0, s0, 63
	s_sub_i32 s25, s28, s0
	v_cmp_eq_u32_e64 s0, 0, v1
	s_cmp_eq_u32 s6, s1
	s_cselect_b32 s12, s25, 0
	v_ashrrev_i32_e32 v3, 31, v2
	v_lshlrev_b64 v[2:3], 3, v[2:3]
	v_add_co_u32 v16, vcc_lo, s2, v2
	v_add_co_ci_u32_e64 v17, null, s3, v3, vcc_lo
	s_mov_b32 s3, -1
	s_and_saveexec_b32 s1, s0
	s_cbranch_execz .LBB6_10
; %bb.6:
	v_cmp_le_i32_e32 vcc_lo, s12, v0
	s_cmp_lg_u32 s12, 0
	v_lshl_add_u32 v2, v0, 3, 0x2380
	s_cselect_b32 s2, -1, 0
	s_and_b32 s2, s2, vcc_lo
	s_and_saveexec_b32 s10, s2
	s_xor_b32 s2, exec_lo, s10
; %bb.7:
	v_mov_b32_e32 v3, 0
	v_mov_b32_e32 v4, v3
	ds_write_b64 v2, v[3:4]
                                        ; implicit-def: $vgpr2
; %bb.8:
	s_andn2_saveexec_b32 s2, s2
	s_cbranch_execz .LBB6_10
; %bb.9:
	global_load_dwordx2 v[3:4], v[16:17], off
	s_waitcnt vmcnt(0)
	ds_write_b64 v2, v[3:4]
.LBB6_10:
	s_or_b32 exec_lo, exec_lo, s1
	s_clause 0x1
	s_load_dwordx4 s[20:23], s[4:5], 0x18
	s_load_dword s14, s[4:5], 0x28
	v_lshl_add_u32 v24, v1, 6, v0
	v_and_b32_e32 v2, 31, v0
	s_mul_i32 s1, s9, s7
	s_mul_hi_u32 s2, s8, s7
	s_mul_i32 s8, s8, s7
	v_lshrrev_b32_e32 v9, 5, v24
	s_add_i32 s9, s2, s1
	v_lshlrev_b32_e32 v10, 3, v2
	s_lshl_b64 s[8:9], s[8:9], 3
	v_mul_u32_u24_e32 v11, 0x108, v9
	s_waitcnt lgkmcnt(0)
	s_add_u32 s1, s20, s8
	v_mad_u64_u32 v[3:4], null, s14, v9, v[2:3]
	s_addc_u32 s2, s21, s9
	s_lshl_b64 s[8:9], s[22:23], 3
	s_mul_i32 s18, s14, s16
	s_add_u32 s1, s1, s8
	s_addc_u32 s2, s2, s9
	s_ashr_i32 s17, s16, 31
	v_ashrrev_i32_e32 v4, 31, v3
	s_lshl_b64 s[8:9], s[16:17], 3
	s_add_u32 s10, s1, s8
	s_addc_u32 s2, s2, s9
	v_lshlrev_b64 v[14:15], 3, v[3:4]
	s_ashr_i32 s19, s18, 31
	v_cmp_gt_i32_e64 s1, s12, v2
	s_lshl_b64 s[8:9], s[18:19], 3
	s_cmp_eq_u32 s12, 0
	s_cselect_b32 s26, -1, 0
	v_add_co_u32 v3, vcc_lo, s10, v14
	v_add_co_ci_u32_e64 v4, null, s2, v15, vcc_lo
	s_cmp_lg_u32 s12, 0
	v_add_co_u32 v5, s2, v3, s8
	v_add_co_ci_u32_e64 v6, null, s9, v4, s2
	s_cselect_b32 s17, -1, 0
                                        ; implicit-def: $vgpr3_vgpr4
	s_and_b32 vcc_lo, exec_lo, s17
	s_cbranch_vccz .LBB6_28
; %bb.11:
	v_sub_co_u32 v3, vcc_lo, v5, v10
	s_ashr_i32 s13, s12, 31
	v_subrev_co_ci_u32_e64 v4, null, 0, v6, vcc_lo
	s_lshl_b64 s[2:3], s[12:13], 3
	v_add_nc_u32_e32 v7, v10, v11
	v_add_co_u32 v3, vcc_lo, v3, s2
	v_add_co_ci_u32_e64 v4, null, s3, v4, vcc_lo
	s_mov_b32 s8, exec_lo
	v_add_co_u32 v3, vcc_lo, v3, -8
	v_add_co_ci_u32_e64 v4, null, -1, v4, vcc_lo
	v_cndmask_b32_e64 v3, v3, v5, s1
	v_cndmask_b32_e64 v4, v4, v6, s1
	v_cmpx_le_i32_e64 s12, v9
	s_xor_b32 s8, exec_lo, s8
; %bb.12:
	v_mov_b32_e32 v12, 0
	v_mov_b32_e32 v13, v12
	ds_write_b64 v7, v[12:13]
; %bb.13:
	s_andn2_saveexec_b32 s8, s8
	s_cbranch_execz .LBB6_15
; %bb.14:
	global_load_dwordx2 v[12:13], v[3:4], off
	s_waitcnt vmcnt(0)
	ds_write_b64 v7, v[12:13]
.LBB6_15:
	s_or_b32 exec_lo, exec_lo, s8
	v_add_nc_u32_e32 v8, 8, v9
	s_mov_b32 s8, exec_lo
	v_cmpx_le_i32_e64 s12, v8
	s_xor_b32 s8, exec_lo, s8
; %bb.16:
	v_mov_b32_e32 v12, 0
	v_mov_b32_e32 v13, v12
	ds_write_b64 v7, v[12:13] offset:2112
; %bb.17:
	s_andn2_saveexec_b32 s8, s8
	s_cbranch_execz .LBB6_19
; %bb.18:
	s_lshl_b32 s18, s14, 3
	s_ashr_i32 s19, s18, 31
	s_lshl_b64 s[18:19], s[18:19], 3
	v_add_co_u32 v12, vcc_lo, v3, s18
	v_add_co_ci_u32_e64 v13, null, s19, v4, vcc_lo
	global_load_dwordx2 v[12:13], v[12:13], off
	s_waitcnt vmcnt(0)
	ds_write_b64 v7, v[12:13] offset:2112
.LBB6_19:
	s_or_b32 exec_lo, exec_lo, s8
	v_add_nc_u32_e32 v8, 16, v9
	s_mov_b32 s8, exec_lo
	v_cmpx_le_i32_e64 s12, v8
	s_xor_b32 s8, exec_lo, s8
; %bb.20:
	v_mov_b32_e32 v12, 0
	v_mov_b32_e32 v13, v12
	ds_write_b64 v7, v[12:13] offset:4224
; %bb.21:
	s_andn2_saveexec_b32 s8, s8
	s_cbranch_execz .LBB6_23
; %bb.22:
	s_lshl_b32 s18, s14, 4
	s_ashr_i32 s19, s18, 31
	s_lshl_b64 s[18:19], s[18:19], 3
	v_add_co_u32 v12, vcc_lo, v3, s18
	v_add_co_ci_u32_e64 v13, null, s19, v4, vcc_lo
	global_load_dwordx2 v[12:13], v[12:13], off
	s_waitcnt vmcnt(0)
	ds_write_b64 v7, v[12:13] offset:4224
.LBB6_23:
	s_or_b32 exec_lo, exec_lo, s8
	v_add_nc_u32_e32 v8, 24, v9
	s_mov_b32 s8, exec_lo
	v_cmpx_le_i32_e64 s12, v8
	s_xor_b32 s8, exec_lo, s8
; %bb.24:
	v_mov_b32_e32 v12, 0
	v_mov_b32_e32 v13, v12
	ds_write_b64 v7, v[12:13] offset:6336
                                        ; implicit-def: $vgpr7
; %bb.25:
	s_andn2_saveexec_b32 s8, s8
	s_cbranch_execz .LBB6_27
; %bb.26:
	s_mul_i32 s18, s14, 24
	s_ashr_i32 s19, s18, 31
	s_lshl_b64 s[18:19], s[18:19], 3
	v_add_co_u32 v12, vcc_lo, v3, s18
	v_add_co_ci_u32_e64 v13, null, s19, v4, vcc_lo
	global_load_dwordx2 v[12:13], v[12:13], off
	s_waitcnt vmcnt(0)
	ds_write_b64 v7, v[12:13] offset:6336
.LBB6_27:
	s_or_b32 exec_lo, exec_lo, s8
	v_add_co_u32 v3, vcc_lo, v3, v10
	v_add_co_ci_u32_e64 v4, null, 0, v4, vcc_lo
	v_sub_co_u32 v3, vcc_lo, v3, s2
	v_subrev_co_ci_u32_e64 v4, null, s3, v4, vcc_lo
	s_mov_b32 s3, 0
	v_add_co_u32 v3, vcc_lo, v3, 8
	v_add_co_ci_u32_e64 v4, null, 0, v4, vcc_lo
	v_cndmask_b32_e64 v3, v3, v5, s1
	v_cndmask_b32_e64 v4, v4, v6, s1
.LBB6_28:
	s_and_b32 vcc_lo, exec_lo, s3
	s_cbranch_vccz .LBB6_30
; %bb.29:
	s_lshl_b32 s2, s14, 3
	s_ashr_i32 s15, s14, 31
	s_ashr_i32 s3, s2, 31
	v_lshl_add_u32 v22, v2, 3, v11
	s_lshl_b64 s[2:3], s[2:3], 3
	v_add_co_u32 v3, vcc_lo, v5, s2
	v_add_co_ci_u32_e64 v4, null, s3, v6, vcc_lo
	s_lshl_b64 s[2:3], s[14:15], 6
	v_add_co_u32 v7, vcc_lo, v3, s2
	v_add_co_ci_u32_e64 v8, null, s3, v4, vcc_lo
	v_add_co_u32 v12, vcc_lo, v7, s2
	v_add_co_ci_u32_e64 v13, null, s3, v8, vcc_lo
	s_clause 0x3
	global_load_dwordx2 v[18:19], v[5:6], off
	global_load_dwordx2 v[20:21], v[3:4], off
	;; [unrolled: 1-line block ×4, first 2 shown]
	v_mov_b32_e32 v3, v5
	v_mov_b32_e32 v4, v6
	s_waitcnt vmcnt(3)
	ds_write_b64 v22, v[18:19]
	s_waitcnt vmcnt(2)
	ds_write_b64 v22, v[20:21] offset:2112
	s_waitcnt vmcnt(1)
	ds_write_b64 v22, v[7:8] offset:4224
	s_waitcnt vmcnt(0)
	ds_write_b64 v22, v[12:13] offset:6336
.LBB6_30:
	v_lshlrev_b32_e32 v13, 2, v9
	v_mul_u32_u24_e32 v12, 0x108, v2
	s_mov_b32 s1, 0
	s_waitcnt lgkmcnt(0)
	s_barrier
	v_cmp_le_u32_e64 s2, v13, v2
	buffer_gl0_inv
                                        ; implicit-def: $vgpr6
	s_and_saveexec_b32 s3, s2
	s_xor_b32 s3, exec_lo, s3
	s_cbranch_execz .LBB6_34
; %bb.31:
	s_mov_b32 s8, exec_lo
                                        ; implicit-def: $vgpr6
	v_cmpx_eq_u32_e64 v13, v2
	s_xor_b32 s8, exec_lo, s8
; %bb.32:
	s_mov_b32 s1, exec_lo
	v_add_nc_u32_e32 v6, v10, v12
; %bb.33:
	s_or_b32 exec_lo, exec_lo, s8
	s_and_b32 s1, s1, exec_lo
.LBB6_34:
	s_or_saveexec_b32 s3, s3
	v_lshl_or_b32 v7, v2, 8, v10
	v_mov_b32_e32 v8, 0
	v_mad_u32_u24 v5, 0x420, v9, v10
	v_lshl_add_u32 v7, v13, 3, v7
	s_xor_b32 exec_lo, exec_lo, s3
	s_cbranch_execz .LBB6_36
; %bb.35:
	ds_read_b64 v[18:19], v5
	v_mov_b32_e32 v6, v7
	s_or_b32 s1, s1, exec_lo
	s_waitcnt lgkmcnt(0)
	v_xor_b32_e32 v8, 0x80000000, v19
	ds_write_b32 v7, v18
.LBB6_36:
	s_or_b32 exec_lo, exec_lo, s3
	s_and_saveexec_b32 s3, s1
; %bb.37:
	ds_write_b32 v6, v8 offset:4
; %bb.38:
	s_or_b32 exec_lo, exec_lo, s3
	v_or_b32_e32 v18, 1, v13
	v_cmp_ge_u32_e64 s3, v13, v2
	s_mov_b32 s1, 0
                                        ; implicit-def: $vgpr19
                                        ; implicit-def: $vgpr8
	v_mad_u32_u24 v6, 0x108, v18, v10
	s_and_saveexec_b32 s8, s3
	s_xor_b32 s8, exec_lo, s8
	s_cbranch_execnz .LBB6_70
; %bb.39:
	s_andn2_saveexec_b32 s8, s8
	s_cbranch_execnz .LBB6_71
.LBB6_40:
	s_or_b32 exec_lo, exec_lo, s8
	s_and_saveexec_b32 s8, s1
.LBB6_41:
	ds_write_b32 v8, v19 offset:4
.LBB6_42:
	s_or_b32 exec_lo, exec_lo, s8
	v_or_b32_e32 v19, 2, v13
	s_mov_b32 s1, 0
                                        ; implicit-def: $vgpr8
	v_cmp_le_u32_e64 s8, v19, v2
	s_and_saveexec_b32 s9, s8
	s_xor_b32 s9, exec_lo, s9
	s_cbranch_execnz .LBB6_74
; %bb.43:
	s_or_saveexec_b32 s9, s9
	v_mov_b32_e32 v20, 0
	s_xor_b32 exec_lo, exec_lo, s9
	s_cbranch_execnz .LBB6_77
.LBB6_44:
	s_or_b32 exec_lo, exec_lo, s9
	s_and_saveexec_b32 s9, s1
.LBB6_45:
	ds_write_b32 v8, v20 offset:4
.LBB6_46:
	s_or_b32 exec_lo, exec_lo, s9
	v_or_b32_e32 v21, 3, v13
	s_mov_b32 s1, 0
                                        ; implicit-def: $vgpr8
	v_cmp_le_u32_e64 s9, v21, v2
	s_and_saveexec_b32 s10, s9
	s_xor_b32 s10, exec_lo, s10
	s_cbranch_execnz .LBB6_78
; %bb.47:
	s_or_saveexec_b32 s10, s10
	v_mov_b32_e32 v20, 0
	s_xor_b32 exec_lo, exec_lo, s10
	s_cbranch_execnz .LBB6_81
.LBB6_48:
	s_or_b32 exec_lo, exec_lo, s10
	s_and_saveexec_b32 s10, s1
.LBB6_49:
	ds_write_b32 v8, v20 offset:4
.LBB6_50:
	s_or_b32 exec_lo, exec_lo, s10
	v_lshlrev_b32_e32 v23, 3, v13
	s_waitcnt lgkmcnt(0)
	s_barrier
	buffer_gl0_inv
	ds_read_b64 v[7:8], v5
	ds_read_b128 v[25:28], v23 offset:9088
	ds_read2_b64 v[29:32], v6 offset1:33
	ds_read_b128 v[33:36], v23 offset:9104
	ds_read_b64 v[5:6], v6 offset:528
	v_mul_u32_u24_e32 v20, 33, v2
	v_mov_b32_e32 v59, 0
	v_cmp_gt_u32_e64 s1, 32, v24
	v_mov_b32_e32 v60, 0
	s_waitcnt lgkmcnt(0)
	s_barrier
	buffer_gl0_inv
	v_mul_f32_e32 v22, v26, v8
	v_mul_f32_e32 v8, v25, v8
	;; [unrolled: 1-line block ×5, first 2 shown]
	v_fma_f32 v22, v25, v7, -v22
	v_fmac_f32_e32 v8, v26, v7
	v_mul_f32_e32 v32, v33, v32
	v_fma_f32 v25, v27, v29, -v37
	v_fmac_f32_e32 v30, v28, v29
	v_add_f32_e32 v22, 0, v22
	v_add_f32_e32 v8, 0, v8
	v_mul_f32_e32 v7, v36, v6
	v_mul_f32_e32 v6, v35, v6
	v_fma_f32 v26, v33, v31, -v38
	v_fmac_f32_e32 v32, v34, v31
	v_add_f32_e32 v22, v22, v25
	v_add_f32_e32 v8, v8, v30
	v_lshlrev_b32_e32 v25, 3, v20
	v_fma_f32 v7, v35, v5, -v7
	v_fmac_f32_e32 v6, v36, v5
	v_add_f32_e32 v5, v22, v26
	v_add_f32_e32 v8, v8, v32
	v_lshl_add_u32 v26, v9, 3, v25
	v_add_f32_e32 v5, v5, v7
	v_add_f32_e32 v6, v8, v6
	ds_write_b64 v26, v[5:6]
	s_waitcnt lgkmcnt(0)
	s_barrier
	buffer_gl0_inv
	s_and_saveexec_b32 s10, s1
	s_cbranch_execz .LBB6_52
; %bb.51:
	ds_read2_b64 v[5:8], v25 offset1:7
	ds_read2_b64 v[27:30], v25 offset0:1 offset1:2
	ds_read2_b64 v[31:34], v25 offset0:3 offset1:4
	ds_read2_b64 v[35:38], v25 offset0:5 offset1:6
	s_waitcnt lgkmcnt(2)
	v_add_f32_e32 v5, v27, v5
	v_add_f32_e32 v6, v28, v6
	v_add_f32_e32 v5, v29, v5
	v_add_f32_e32 v6, v30, v6
	s_waitcnt lgkmcnt(1)
	v_add_f32_e32 v5, v5, v31
	v_add_f32_e32 v6, v6, v32
	v_add_f32_e32 v5, v5, v33
	v_add_f32_e32 v6, v6, v34
	s_waitcnt lgkmcnt(0)
	v_add_f32_e32 v5, v5, v35
	v_add_f32_e32 v6, v6, v36
	v_add_f32_e32 v5, v5, v37
	v_add_f32_e32 v6, v6, v38
	v_add_f32_e32 v59, v5, v7
	v_add_f32_e32 v60, v6, v8
.LBB6_52:
	s_or_b32 exec_lo, exec_lo, s10
	s_lshl_b32 s20, s14, 5
	s_ashr_i32 s21, s20, 31
	s_barrier
	s_lshl_b64 s[18:19], s[20:21], 3
	buffer_gl0_inv
	v_add_co_u32 v7, vcc_lo, v3, s18
	v_add_co_ci_u32_e64 v8, null, s19, v4, vcc_lo
	v_add_co_u32 v5, vcc_lo, 0x100, v7
	v_add_co_ci_u32_e64 v6, null, 0, v8, vcc_lo
	s_and_b32 vcc_lo, exec_lo, s17
	s_cbranch_vccz .LBB6_82
; %bb.53:
	v_sub_co_u32 v3, vcc_lo, v7, v10
	s_ashr_i32 s13, s12, 31
	v_subrev_co_ci_u32_e64 v4, null, 0, v8, vcc_lo
	s_lshl_b64 s[22:23], s[12:13], 3
	v_or_b32_e32 v20, 32, v2
	v_add_co_u32 v3, vcc_lo, v3, s22
	v_add_co_ci_u32_e64 v4, null, s23, v4, vcc_lo
	s_sub_i32 s13, s12, 32
	v_add_co_u32 v3, vcc_lo, v3, -8
	v_add_co_ci_u32_e64 v4, null, -1, v4, vcc_lo
	v_cmp_gt_i32_e32 vcc_lo, s12, v20
	v_cmp_le_i32_e64 s10, s13, v9
	v_add_nc_u32_e32 v20, v10, v11
	v_cndmask_b32_e32 v4, v4, v6, vcc_lo
	v_cndmask_b32_e32 v3, v3, v5, vcc_lo
	s_and_saveexec_b32 s15, s10
	s_xor_b32 s10, exec_lo, s15
; %bb.54:
	v_mov_b32_e32 v27, 0
	v_mov_b32_e32 v28, v27
	ds_write_b64 v20, v[27:28]
; %bb.55:
	s_andn2_saveexec_b32 s10, s10
	s_cbranch_execz .LBB6_57
; %bb.56:
	global_load_dwordx2 v[27:28], v[3:4], off
	s_waitcnt vmcnt(0)
	ds_write_b64 v20, v[27:28]
.LBB6_57:
	s_or_b32 exec_lo, exec_lo, s10
	v_add_nc_u32_e32 v22, 8, v9
	v_cmp_le_i32_e64 s10, s13, v22
	s_and_saveexec_b32 s15, s10
	s_xor_b32 s10, exec_lo, s15
; %bb.58:
	v_mov_b32_e32 v27, 0
	v_mov_b32_e32 v28, v27
	ds_write_b64 v20, v[27:28] offset:2112
; %bb.59:
	s_andn2_saveexec_b32 s15, s10
	s_cbranch_execz .LBB6_61
; %bb.60:
	s_lshl_b32 s30, s14, 3
	s_ashr_i32 s31, s30, 31
	s_lshl_b64 s[30:31], s[30:31], 3
	v_add_co_u32 v27, s10, v3, s30
	v_add_co_ci_u32_e64 v28, null, s31, v4, s10
	global_load_dwordx2 v[27:28], v[27:28], off
	s_waitcnt vmcnt(0)
	ds_write_b64 v20, v[27:28] offset:2112
.LBB6_61:
	s_or_b32 exec_lo, exec_lo, s15
	v_add_nc_u32_e32 v22, 16, v9
	v_cmp_le_i32_e64 s10, s13, v22
	s_and_saveexec_b32 s15, s10
	s_xor_b32 s10, exec_lo, s15
; %bb.62:
	v_mov_b32_e32 v27, 0
	v_mov_b32_e32 v28, v27
	ds_write_b64 v20, v[27:28] offset:4224
; %bb.63:
	s_andn2_saveexec_b32 s15, s10
	s_cbranch_execz .LBB6_65
; %bb.64:
	s_lshl_b32 s30, s14, 4
	s_ashr_i32 s31, s30, 31
	s_lshl_b64 s[30:31], s[30:31], 3
	v_add_co_u32 v27, s10, v3, s30
	v_add_co_ci_u32_e64 v28, null, s31, v4, s10
	global_load_dwordx2 v[27:28], v[27:28], off
	s_waitcnt vmcnt(0)
	ds_write_b64 v20, v[27:28] offset:4224
.LBB6_65:
	s_or_b32 exec_lo, exec_lo, s15
	v_add_nc_u32_e32 v22, 24, v9
	v_cmp_le_i32_e64 s10, s13, v22
	s_and_saveexec_b32 s13, s10
	s_xor_b32 s10, exec_lo, s13
; %bb.66:
	v_mov_b32_e32 v27, 0
	v_mov_b32_e32 v28, v27
	ds_write_b64 v20, v[27:28] offset:6336
                                        ; implicit-def: $vgpr20
; %bb.67:
	s_andn2_saveexec_b32 s13, s10
	s_cbranch_execz .LBB6_69
; %bb.68:
	s_mul_i32 s30, s14, 24
	s_ashr_i32 s31, s30, 31
	s_lshl_b64 s[30:31], s[30:31], 3
	v_add_co_u32 v27, s10, v3, s30
	v_add_co_ci_u32_e64 v28, null, s31, v4, s10
	global_load_dwordx2 v[27:28], v[27:28], off
	s_waitcnt vmcnt(0)
	ds_write_b64 v20, v[27:28] offset:6336
.LBB6_69:
	s_or_b32 exec_lo, exec_lo, s13
	v_add_co_u32 v3, s10, v3, v10
	v_add_co_ci_u32_e64 v4, null, 0, v4, s10
	v_sub_co_u32 v3, s10, v3, s22
	v_subrev_co_ci_u32_e64 v4, null, s23, v4, s10
	v_add_co_u32 v3, s10, 0x108, v3
	v_add_co_ci_u32_e64 v4, null, 0, v4, s10
	v_cndmask_b32_e32 v3, v3, v5, vcc_lo
	v_cndmask_b32_e32 v4, v4, v6, vcc_lo
	v_mad_u32_u24 v20, 0x108, v9, v10
	s_branch .LBB6_84
.LBB6_70:
	ds_read_b64 v[20:21], v6
	s_mov_b32 s1, exec_lo
	v_add_nc_u32_e32 v8, 8, v7
	s_waitcnt lgkmcnt(0)
	v_xor_b32_e32 v19, 0x80000000, v21
	ds_write_b32 v7, v20 offset:8
	s_andn2_saveexec_b32 s8, s8
	s_cbranch_execz .LBB6_40
.LBB6_71:
	s_mov_b32 s9, s1
	s_mov_b32 s10, exec_lo
                                        ; implicit-def: $vgpr8
	v_cmpx_eq_u32_e64 v18, v2
; %bb.72:
	v_add_nc_u32_e32 v8, v10, v12
	s_or_b32 s9, s1, exec_lo
; %bb.73:
	s_or_b32 exec_lo, exec_lo, s10
	v_mov_b32_e32 v19, 0
	s_andn2_b32 s1, s1, exec_lo
	s_and_b32 s9, s9, exec_lo
	s_or_b32 s1, s1, s9
	s_or_b32 exec_lo, exec_lo, s8
	s_and_saveexec_b32 s8, s1
	s_cbranch_execnz .LBB6_41
	s_branch .LBB6_42
.LBB6_74:
	s_mov_b32 s10, exec_lo
                                        ; implicit-def: $vgpr8
	v_cmpx_eq_u32_e64 v19, v2
; %bb.75:
	v_add_nc_u32_e32 v8, v10, v12
	s_mov_b32 s1, exec_lo
; %bb.76:
	s_or_b32 exec_lo, exec_lo, s10
	s_and_b32 s1, s1, exec_lo
	s_or_saveexec_b32 s9, s9
	v_mov_b32_e32 v20, 0
	s_xor_b32 exec_lo, exec_lo, s9
	s_cbranch_execz .LBB6_44
.LBB6_77:
	v_mad_u32_u24 v8, 0x108, v19, v10
	s_or_b32 s1, s1, exec_lo
	ds_read_b64 v[21:22], v8
	v_add_nc_u32_e32 v8, 16, v7
	s_waitcnt lgkmcnt(0)
	v_xor_b32_e32 v20, 0x80000000, v22
	ds_write_b32 v7, v21 offset:16
	s_or_b32 exec_lo, exec_lo, s9
	s_and_saveexec_b32 s9, s1
	s_cbranch_execnz .LBB6_45
	s_branch .LBB6_46
.LBB6_78:
	s_mov_b32 s13, exec_lo
                                        ; implicit-def: $vgpr8
	v_cmpx_eq_u32_e64 v21, v2
; %bb.79:
	v_add_nc_u32_e32 v8, v10, v12
	s_mov_b32 s1, exec_lo
; %bb.80:
	s_or_b32 exec_lo, exec_lo, s13
	s_and_b32 s1, s1, exec_lo
                                        ; implicit-def: $vgpr7
	s_or_saveexec_b32 s10, s10
	v_mov_b32_e32 v20, 0
	s_xor_b32 exec_lo, exec_lo, s10
	s_cbranch_execz .LBB6_48
.LBB6_81:
	v_mad_u32_u24 v8, 0x108, v21, v10
	s_or_b32 s1, s1, exec_lo
	ds_read_b64 v[22:23], v8
	v_add_nc_u32_e32 v8, 24, v7
	s_waitcnt lgkmcnt(0)
	v_xor_b32_e32 v20, 0x80000000, v23
	ds_write_b32 v7, v22 offset:24
	s_or_b32 exec_lo, exec_lo, s10
	s_and_saveexec_b32 s10, s1
	s_cbranch_execnz .LBB6_49
	s_branch .LBB6_50
.LBB6_82:
                                        ; implicit-def: $vgpr3_vgpr4
	v_mad_u32_u24 v20, 0x108, v9, v10
	s_cbranch_execz .LBB6_84
; %bb.83:
	s_lshl_b32 s22, s14, 3
	s_ashr_i32 s15, s14, 31
	s_ashr_i32 s23, s22, 31
	s_lshl_b64 s[22:23], s[22:23], 3
	v_add_co_u32 v3, vcc_lo, v7, s22
	v_add_co_ci_u32_e64 v4, null, s23, v8, vcc_lo
	s_lshl_b64 s[22:23], s[14:15], 6
	v_add_co_u32 v27, vcc_lo, v3, s22
	v_add_co_ci_u32_e64 v28, null, s23, v4, vcc_lo
	v_add_co_u32 v29, vcc_lo, v27, s22
	v_add_co_ci_u32_e64 v30, null, s23, v28, vcc_lo
	s_clause 0x3
	global_load_dwordx2 v[7:8], v[7:8], off offset:256
	global_load_dwordx2 v[31:32], v[3:4], off offset:256
	;; [unrolled: 1-line block ×4, first 2 shown]
	v_mov_b32_e32 v3, v5
	v_mov_b32_e32 v4, v6
	s_waitcnt vmcnt(3)
	ds_write_b64 v20, v[7:8]
	s_waitcnt vmcnt(2)
	ds_write_b64 v20, v[31:32] offset:2112
	s_waitcnt vmcnt(1)
	ds_write_b64 v20, v[27:28] offset:4224
	;; [unrolled: 2-line block ×3, first 2 shown]
.LBB6_84:
	v_mul_u32_u24_e32 v5, 0x420, v9
	s_mov_b32 s10, 0
	s_waitcnt lgkmcnt(0)
	s_barrier
	buffer_gl0_inv
                                        ; implicit-def: $vgpr6
	s_and_saveexec_b32 s13, s2
	s_xor_b32 s2, exec_lo, s13
	s_cbranch_execz .LBB6_88
; %bb.85:
	s_mov_b32 s13, exec_lo
                                        ; implicit-def: $vgpr6
	v_cmpx_eq_u32_e64 v13, v2
	s_xor_b32 s13, exec_lo, s13
; %bb.86:
	v_add_nc_u32_e32 v6, v10, v12
	s_mov_b32 s10, exec_lo
; %bb.87:
	s_or_b32 exec_lo, exec_lo, s13
	s_and_b32 s10, s10, exec_lo
.LBB6_88:
	s_or_saveexec_b32 s2, s2
	v_mov_b32_e32 v7, 0
	v_add_nc_u32_e32 v22, v10, v5
	v_lshl_add_u32 v5, v13, 3, v25
	s_xor_b32 exec_lo, exec_lo, s2
	s_cbranch_execz .LBB6_90
; %bb.89:
	ds_read_b64 v[27:28], v22
	v_mov_b32_e32 v6, v5
	s_or_b32 s10, s10, exec_lo
	s_waitcnt lgkmcnt(0)
	v_xor_b32_e32 v7, 0x80000000, v28
	ds_write_b32 v5, v27
.LBB6_90:
	s_or_b32 exec_lo, exec_lo, s2
	v_mul_u32_u24_e32 v8, 0x108, v18
	s_and_saveexec_b32 s2, s10
; %bb.91:
	ds_write_b32 v6, v7 offset:4
; %bb.92:
	s_or_b32 exec_lo, exec_lo, s2
	v_add_nc_u32_e32 v27, v10, v8
	s_mov_b32 s2, 0
                                        ; implicit-def: $vgpr7
                                        ; implicit-def: $vgpr6
	s_and_saveexec_b32 s10, s3
	s_xor_b32 s3, exec_lo, s10
	s_cbranch_execnz .LBB6_124
; %bb.93:
	s_andn2_saveexec_b32 s3, s3
	s_cbranch_execnz .LBB6_125
.LBB6_94:
	s_or_b32 exec_lo, exec_lo, s3
	s_and_saveexec_b32 s3, s2
.LBB6_95:
	ds_write_b32 v6, v7 offset:4
.LBB6_96:
	s_or_b32 exec_lo, exec_lo, s3
	s_mov_b32 s2, 0
                                        ; implicit-def: $vgpr6
	s_and_saveexec_b32 s3, s8
	s_xor_b32 s3, exec_lo, s3
	s_cbranch_execnz .LBB6_128
; %bb.97:
	s_or_saveexec_b32 s3, s3
	v_mov_b32_e32 v7, 0
	s_xor_b32 exec_lo, exec_lo, s3
	s_cbranch_execnz .LBB6_131
.LBB6_98:
	s_or_b32 exec_lo, exec_lo, s3
	s_and_saveexec_b32 s3, s2
.LBB6_99:
	ds_write_b32 v6, v7 offset:4
.LBB6_100:
	s_or_b32 exec_lo, exec_lo, s3
	s_mov_b32 s2, 0
                                        ; implicit-def: $vgpr6
	s_and_saveexec_b32 s3, s9
	s_xor_b32 s3, exec_lo, s3
	s_cbranch_execnz .LBB6_132
; %bb.101:
	s_or_saveexec_b32 s3, s3
	v_mov_b32_e32 v7, 0
	s_xor_b32 exec_lo, exec_lo, s3
	s_cbranch_execnz .LBB6_135
.LBB6_102:
	s_or_b32 exec_lo, exec_lo, s3
	v_add_nc_u32_e32 v21, 0x2380, v23
	s_and_saveexec_b32 s3, s2
.LBB6_103:
	ds_write_b32 v6, v7 offset:4
.LBB6_104:
	s_or_b32 exec_lo, exec_lo, s3
	s_waitcnt lgkmcnt(0)
	s_barrier
	buffer_gl0_inv
	ds_read_b64 v[12:13], v22
	ds_read_b128 v[5:8], v21 offset:256
	ds_read2_b64 v[28:31], v27 offset1:33
	ds_read_b128 v[32:35], v21 offset:272
	ds_read_b64 v[18:19], v27 offset:528
	v_cmp_eq_u32_e64 s2, 1, v9
	s_waitcnt lgkmcnt(0)
	s_barrier
	buffer_gl0_inv
	v_mul_f32_e32 v23, v6, v13
	v_mul_f32_e32 v13, v5, v13
	;; [unrolled: 1-line block ×5, first 2 shown]
	v_fma_f32 v5, v5, v12, -v23
	v_fmac_f32_e32 v13, v6, v12
	v_mul_f32_e32 v31, v32, v31
	v_fma_f32 v7, v7, v28, -v36
	v_fmac_f32_e32 v29, v8, v28
	v_add_f32_e32 v5, 0, v5
	v_add_f32_e32 v8, 0, v13
	v_mul_f32_e32 v6, v35, v19
	v_mul_f32_e32 v12, v34, v19
	v_fma_f32 v13, v32, v30, -v37
	v_fmac_f32_e32 v31, v33, v30
	v_add_f32_e32 v5, v5, v7
	v_add_f32_e32 v7, v8, v29
	v_fma_f32 v6, v34, v18, -v6
	v_fmac_f32_e32 v12, v35, v18
	v_add_f32_e32 v5, v5, v13
	v_add_f32_e32 v7, v7, v31
	;; [unrolled: 1-line block ×4, first 2 shown]
	ds_write_b64 v26, v[5:6]
	s_waitcnt lgkmcnt(0)
	s_barrier
	buffer_gl0_inv
	s_and_saveexec_b32 s3, s2
	s_cbranch_execz .LBB6_106
; %bb.105:
	ds_read2_b64 v[5:8], v25 offset1:7
	ds_read2_b64 v[28:31], v25 offset0:1 offset1:2
	ds_read2_b64 v[32:35], v25 offset0:3 offset1:4
	;; [unrolled: 1-line block ×3, first 2 shown]
	s_waitcnt lgkmcnt(2)
	v_add_f32_e32 v5, v28, v5
	v_add_f32_e32 v6, v29, v6
	v_add_f32_e32 v5, v30, v5
	v_add_f32_e32 v6, v31, v6
	s_waitcnt lgkmcnt(1)
	v_add_f32_e32 v5, v5, v32
	v_add_f32_e32 v6, v6, v33
	v_add_f32_e32 v5, v5, v34
	v_add_f32_e32 v6, v6, v35
	;; [unrolled: 5-line block ×3, first 2 shown]
	v_add_f32_e32 v59, v5, v7
	v_add_f32_e32 v60, v6, v8
.LBB6_106:
	s_or_b32 exec_lo, exec_lo, s3
	v_add_co_u32 v5, vcc_lo, 0xffffff00, v3
	v_add_co_ci_u32_e64 v6, null, -1, v4, vcc_lo
	s_and_b32 vcc_lo, exec_lo, s17
	s_barrier
	buffer_gl0_inv
	s_cbranch_vccz .LBB6_136
; %bb.107:
	v_sub_co_u32 v7, vcc_lo, v3, v10
	s_ashr_i32 s13, s12, 31
	v_subrev_co_ci_u32_e64 v8, null, 0, v4, vcc_lo
	s_lshl_b64 s[8:9], s[12:13], 3
	s_sub_i32 s10, s12, 32
	v_add_co_u32 v7, vcc_lo, v7, s8
	v_add_co_ci_u32_e64 v8, null, s9, v8, vcc_lo
	v_cmp_le_i32_e64 s3, s10, v9
	v_add_co_u32 v7, vcc_lo, 0xfffffef8, v7
	v_add_co_ci_u32_e64 v8, null, -1, v8, vcc_lo
	v_cmp_gt_i32_e32 vcc_lo, s12, v2
	v_add_nc_u32_e32 v12, v10, v11
	v_cndmask_b32_e32 v8, v8, v6, vcc_lo
	v_cndmask_b32_e32 v7, v7, v5, vcc_lo
	s_and_saveexec_b32 s13, s3
	s_xor_b32 s3, exec_lo, s13
; %bb.108:
	v_mov_b32_e32 v18, 0
	v_mov_b32_e32 v19, v18
	ds_write_b64 v12, v[18:19]
; %bb.109:
	s_andn2_saveexec_b32 s3, s3
	s_cbranch_execz .LBB6_111
; %bb.110:
	global_load_dwordx2 v[18:19], v[7:8], off
	s_waitcnt vmcnt(0)
	ds_write_b64 v12, v[18:19]
.LBB6_111:
	s_or_b32 exec_lo, exec_lo, s3
	v_add_nc_u32_e32 v2, 8, v9
	v_cmp_le_i32_e64 s3, s10, v2
	s_and_saveexec_b32 s13, s3
	s_xor_b32 s3, exec_lo, s13
; %bb.112:
	v_mov_b32_e32 v18, 0
	v_mov_b32_e32 v19, v18
	ds_write_b64 v12, v[18:19] offset:2112
; %bb.113:
	s_andn2_saveexec_b32 s13, s3
	s_cbranch_execz .LBB6_115
; %bb.114:
	s_lshl_b32 s22, s14, 3
	s_ashr_i32 s23, s22, 31
	s_lshl_b64 s[22:23], s[22:23], 3
	v_add_co_u32 v18, s3, v7, s22
	v_add_co_ci_u32_e64 v19, null, s23, v8, s3
	global_load_dwordx2 v[18:19], v[18:19], off
	s_waitcnt vmcnt(0)
	ds_write_b64 v12, v[18:19] offset:2112
.LBB6_115:
	s_or_b32 exec_lo, exec_lo, s13
	v_add_nc_u32_e32 v11, 16, v9
	v_cmp_le_i32_e64 s3, s10, v11
	s_and_saveexec_b32 s13, s3
	s_xor_b32 s3, exec_lo, s13
; %bb.116:
	v_mov_b32_e32 v18, 0
	v_mov_b32_e32 v19, v18
	ds_write_b64 v12, v[18:19] offset:4224
; %bb.117:
	s_andn2_saveexec_b32 s13, s3
	s_cbranch_execz .LBB6_119
; %bb.118:
	s_lshl_b32 s22, s14, 4
	s_ashr_i32 s23, s22, 31
	s_lshl_b64 s[22:23], s[22:23], 3
	v_add_co_u32 v18, s3, v7, s22
	v_add_co_ci_u32_e64 v19, null, s23, v8, s3
	global_load_dwordx2 v[18:19], v[18:19], off
	s_waitcnt vmcnt(0)
	ds_write_b64 v12, v[18:19] offset:4224
.LBB6_119:
	s_or_b32 exec_lo, exec_lo, s13
	v_add_nc_u32_e32 v13, 24, v9
	v_cmp_le_i32_e64 s3, s10, v13
	s_and_saveexec_b32 s10, s3
	s_xor_b32 s3, exec_lo, s10
; %bb.120:
	v_mov_b32_e32 v18, 0
	v_mov_b32_e32 v19, v18
	ds_write_b64 v12, v[18:19] offset:6336
                                        ; implicit-def: $vgpr12
; %bb.121:
	s_andn2_saveexec_b32 s10, s3
	s_cbranch_execz .LBB6_123
; %bb.122:
	s_mul_i32 s22, s14, 24
	s_ashr_i32 s23, s22, 31
	s_lshl_b64 s[22:23], s[22:23], 3
	v_add_co_u32 v18, s3, v7, s22
	v_add_co_ci_u32_e64 v19, null, s23, v8, s3
	global_load_dwordx2 v[18:19], v[18:19], off
	s_waitcnt vmcnt(0)
	ds_write_b64 v12, v[18:19] offset:6336
.LBB6_123:
	s_or_b32 exec_lo, exec_lo, s10
	v_add_co_u32 v7, s3, v7, v10
	v_add_co_ci_u32_e64 v8, null, 0, v8, s3
	v_sub_co_u32 v7, s3, v7, s8
	v_subrev_co_ci_u32_e64 v8, null, s9, v8, s3
	v_add_co_u32 v7, s3, v7, 8
	v_add_co_ci_u32_e64 v8, null, 0, v8, s3
	v_cndmask_b32_e32 v18, v7, v5, vcc_lo
	v_cndmask_b32_e32 v19, v8, v6, vcc_lo
	s_branch .LBB6_138
.LBB6_124:
	ds_read_b64 v[28:29], v27
	s_mov_b32 s2, exec_lo
	v_add_nc_u32_e32 v6, 8, v5
                                        ; implicit-def: $vgpr18
	s_waitcnt lgkmcnt(0)
	v_xor_b32_e32 v7, 0x80000000, v29
	ds_write_b32 v5, v28 offset:8
	s_andn2_saveexec_b32 s3, s3
	s_cbranch_execz .LBB6_94
.LBB6_125:
	s_mov_b32 s10, s2
	s_mov_b32 s13, exec_lo
                                        ; implicit-def: $vgpr6
	v_cmpx_eq_u32_e64 v18, v2
; %bb.126:
	v_add_nc_u32_e32 v6, v10, v12
	s_or_b32 s10, s2, exec_lo
; %bb.127:
	s_or_b32 exec_lo, exec_lo, s13
	v_mov_b32_e32 v7, 0
	s_andn2_b32 s2, s2, exec_lo
	s_and_b32 s10, s10, exec_lo
	s_or_b32 s2, s2, s10
	s_or_b32 exec_lo, exec_lo, s3
	s_and_saveexec_b32 s3, s2
	s_cbranch_execnz .LBB6_95
	s_branch .LBB6_96
.LBB6_128:
	s_mov_b32 s8, exec_lo
                                        ; implicit-def: $vgpr6
	v_cmpx_eq_u32_e64 v19, v2
; %bb.129:
	v_add_nc_u32_e32 v6, v10, v12
	s_mov_b32 s2, exec_lo
; %bb.130:
	s_or_b32 exec_lo, exec_lo, s8
	s_and_b32 s2, s2, exec_lo
	s_or_saveexec_b32 s3, s3
	v_mov_b32_e32 v7, 0
	s_xor_b32 exec_lo, exec_lo, s3
	s_cbranch_execz .LBB6_98
.LBB6_131:
	ds_read_b64 v[18:19], v27 offset:264
	v_add_nc_u32_e32 v6, 16, v5
	s_or_b32 s2, s2, exec_lo
	s_waitcnt lgkmcnt(0)
	v_xor_b32_e32 v7, 0x80000000, v19
	ds_write_b32 v5, v18 offset:16
	s_or_b32 exec_lo, exec_lo, s3
	s_and_saveexec_b32 s3, s2
	s_cbranch_execnz .LBB6_99
	s_branch .LBB6_100
.LBB6_132:
	s_mov_b32 s8, exec_lo
                                        ; implicit-def: $vgpr6
	v_cmpx_eq_u32_e64 v21, v2
; %bb.133:
	v_add_nc_u32_e32 v6, v10, v12
	s_mov_b32 s2, exec_lo
; %bb.134:
	s_or_b32 exec_lo, exec_lo, s8
	s_and_b32 s2, s2, exec_lo
                                        ; implicit-def: $vgpr5
	s_or_saveexec_b32 s3, s3
	v_mov_b32_e32 v7, 0
	s_xor_b32 exec_lo, exec_lo, s3
	s_cbranch_execz .LBB6_102
.LBB6_135:
	ds_read_b64 v[12:13], v27 offset:528
	v_add_nc_u32_e32 v6, 24, v5
	s_or_b32 s2, s2, exec_lo
	s_waitcnt lgkmcnt(0)
	v_xor_b32_e32 v7, 0x80000000, v13
	ds_write_b32 v5, v12 offset:24
	s_or_b32 exec_lo, exec_lo, s3
	v_add_nc_u32_e32 v21, 0x2380, v23
	s_and_saveexec_b32 s3, s2
	s_cbranch_execnz .LBB6_103
	s_branch .LBB6_104
.LBB6_136:
                                        ; implicit-def: $vgpr18_vgpr19
                                        ; implicit-def: $vgpr2
                                        ; implicit-def: $vgpr11
                                        ; implicit-def: $vgpr13
	s_cbranch_execz .LBB6_138
; %bb.137:
	s_lshl_b32 s8, s14, 3
	s_ashr_i32 s15, s14, 31
	s_ashr_i32 s9, s8, 31
	v_mov_b32_e32 v19, v6
	s_lshl_b64 s[8:9], s[8:9], 3
	v_add_nc_u32_e32 v2, 8, v9
	v_add_co_u32 v7, vcc_lo, v3, s8
	v_add_co_ci_u32_e64 v8, null, s9, v4, vcc_lo
	s_lshl_b64 s[8:9], s[14:15], 6
	v_mov_b32_e32 v18, v5
	v_add_co_u32 v10, vcc_lo, v7, s8
	v_add_co_ci_u32_e64 v11, null, s9, v8, vcc_lo
	v_add_co_u32 v12, vcc_lo, v10, s8
	v_add_co_ci_u32_e64 v13, null, s9, v11, vcc_lo
	s_clause 0x3
	global_load_dwordx2 v[3:4], v[3:4], off offset:-256
	global_load_dwordx2 v[7:8], v[7:8], off offset:-256
	;; [unrolled: 1-line block ×4, first 2 shown]
	v_add_nc_u32_e32 v11, 16, v9
	v_add_nc_u32_e32 v13, 24, v9
	s_waitcnt vmcnt(3)
	ds_write_b64 v20, v[3:4]
	s_waitcnt vmcnt(2)
	ds_write_b64 v20, v[7:8] offset:2112
	s_waitcnt vmcnt(1)
	ds_write_b64 v20, v[28:29] offset:4224
	;; [unrolled: 2-line block ×3, first 2 shown]
.LBB6_138:
	v_lshlrev_b32_e32 v3, 3, v9
	v_lshlrev_b32_e32 v2, 3, v2
	s_waitcnt lgkmcnt(0)
	s_barrier
	buffer_gl0_inv
	v_add_nc_u32_e32 v5, v25, v3
	v_add_nc_u32_e32 v6, v25, v2
	v_lshlrev_b32_e32 v4, 3, v11
	v_lshlrev_b32_e32 v7, 3, v13
	ds_read_b64 v[28:29], v5
	ds_read_b64 v[30:31], v6
	ds_read_b64 v[32:33], v2 offset:9088
	ds_read_b64 v[34:35], v3 offset:9088
	v_add_nc_u32_e32 v8, v25, v4
	v_add_nc_u32_e32 v2, v25, v7
	ds_read_b64 v[36:37], v8
	ds_read_b64 v[38:39], v7 offset:9088
	ds_read_b64 v[40:41], v4 offset:9088
	ds_read_b64 v[42:43], v2
	ds_read_b128 v[10:13], v21 offset:256
	ds_read_b128 v[2:5], v21 offset:272
	ds_read2_b64 v[6:9], v27 offset1:33
	ds_read_b64 v[22:23], v22
	ds_read_b64 v[20:21], v27 offset:528
	s_waitcnt lgkmcnt(0)
	s_barrier
	buffer_gl0_inv
	v_mul_f32_e32 v44, v31, v33
	v_mul_f32_e32 v27, v29, v35
	;; [unrolled: 1-line block ×6, first 2 shown]
	v_fmac_f32_e32 v27, v28, v34
	v_fma_f32 v28, v28, v35, -v29
	v_fmac_f32_e32 v44, v30, v32
	v_fma_f32 v30, v30, v33, -v31
	v_mul_f32_e32 v29, v43, v39
	v_add_f32_e32 v27, 0, v27
	v_add_f32_e32 v28, 0, v28
	v_mul_f32_e32 v31, v43, v38
	v_fmac_f32_e32 v45, v36, v40
	v_fma_f32 v32, v36, v41, -v37
	v_add_f32_e32 v27, v27, v44
	v_add_f32_e32 v28, v28, v30
	v_fmac_f32_e32 v29, v42, v38
	v_fma_f32 v30, v42, v39, -v31
	v_add_f32_e32 v27, v27, v45
	v_add_f32_e32 v28, v28, v32
	;; [unrolled: 1-line block ×4, first 2 shown]
	ds_write_b64 v26, v[27:28]
	s_waitcnt lgkmcnt(0)
	s_barrier
	buffer_gl0_inv
	s_and_saveexec_b32 s3, s2
	s_cbranch_execz .LBB6_140
; %bb.139:
	ds_read2_b64 v[27:30], v25 offset1:1
	ds_read2_b64 v[31:34], v25 offset0:2 offset1:3
	ds_read2_b64 v[35:38], v25 offset0:4 offset1:5
	s_waitcnt lgkmcnt(2)
	v_add_f32_e32 v27, v59, v27
	v_add_f32_e32 v28, v60, v28
	;; [unrolled: 1-line block ×4, first 2 shown]
	ds_read2_b64 v[27:30], v25 offset0:6 offset1:7
	s_waitcnt lgkmcnt(2)
	v_add_f32_e32 v31, v39, v31
	v_add_f32_e32 v32, v40, v32
	v_add_f32_e32 v31, v31, v33
	v_add_f32_e32 v32, v32, v34
	s_waitcnt lgkmcnt(1)
	v_add_f32_e32 v31, v31, v35
	v_add_f32_e32 v32, v32, v36
	v_add_f32_e32 v31, v31, v37
	v_add_f32_e32 v32, v32, v38
	;; [unrolled: 5-line block ×3, first 2 shown]
.LBB6_140:
	s_or_b32 exec_lo, exec_lo, s3
	v_mul_f32_e32 v27, v11, v23
	v_mul_f32_e32 v23, v10, v23
	;; [unrolled: 1-line block ×5, first 2 shown]
	v_fma_f32 v10, v10, v22, -v27
	v_fmac_f32_e32 v23, v11, v22
	v_mul_f32_e32 v9, v2, v9
	v_fma_f32 v12, v12, v6, -v28
	v_fmac_f32_e32 v7, v13, v6
	v_add_f32_e32 v10, 0, v10
	v_add_f32_e32 v6, 0, v23
	v_mul_f32_e32 v11, v5, v21
	v_mul_f32_e32 v13, v4, v21
	v_fma_f32 v2, v2, v8, -v29
	v_add_f32_e32 v10, v10, v12
	v_fmac_f32_e32 v9, v3, v8
	v_add_f32_e32 v3, v6, v7
	v_fma_f32 v4, v4, v20, -v11
	v_fmac_f32_e32 v13, v5, v20
	v_add_f32_e32 v2, v10, v2
	v_add_f32_e32 v3, v3, v9
	s_barrier
	buffer_gl0_inv
	v_add_f32_e32 v2, v2, v4
	v_add_f32_e32 v3, v3, v13
	ds_write_b64 v26, v[2:3]
	s_waitcnt lgkmcnt(0)
	s_barrier
	buffer_gl0_inv
	s_and_saveexec_b32 s2, s1
	s_cbranch_execz .LBB6_142
; %bb.141:
	ds_read2_b64 v[2:5], v25 offset1:1
	ds_read2_b64 v[6:9], v25 offset0:2 offset1:3
	ds_read2_b64 v[10:13], v25 offset0:4 offset1:5
	s_waitcnt lgkmcnt(2)
	v_add_f32_e32 v2, v59, v2
	v_add_f32_e32 v3, v60, v3
	;; [unrolled: 1-line block ×4, first 2 shown]
	ds_read2_b64 v[2:5], v25 offset0:6 offset1:7
	s_waitcnt lgkmcnt(2)
	v_add_f32_e32 v6, v20, v6
	v_add_f32_e32 v7, v21, v7
	v_add_f32_e32 v6, v6, v8
	v_add_f32_e32 v7, v7, v9
	s_waitcnt lgkmcnt(1)
	v_add_f32_e32 v6, v6, v10
	v_add_f32_e32 v7, v7, v11
	v_add_f32_e32 v6, v6, v12
	v_add_f32_e32 v7, v7, v13
	;; [unrolled: 5-line block ×3, first 2 shown]
.LBB6_142:
	s_or_b32 exec_lo, exec_lo, s2
	s_load_dwordx2 s[2:3], s[4:5], 0x68
	s_mul_hi_u32 s1, s28, s7
	s_mul_i32 s11, s11, s7
	s_mul_i32 s4, s28, s7
	s_add_i32 s1, s1, s11
	s_mul_hi_u32 s5, s4, s24
	s_mul_i32 s1, s1, s24
	s_mul_i32 s4, s4, s24
	s_add_i32 s5, s5, s1
	s_mul_hi_i32 s9, s28, s6
	s_lshl_b64 s[4:5], s[4:5], 3
	s_mul_i32 s8, s28, s6
	v_lshlrev_b32_e32 v96, 3, v0
	s_waitcnt lgkmcnt(0)
	s_barrier
	buffer_gl0_inv
	s_add_u32 s1, s2, s4
	s_addc_u32 s4, s3, s5
	s_lshl_b64 s[2:3], s[8:9], 3
	s_add_u32 s7, s1, s2
	s_addc_u32 s13, s4, s3
	s_add_i32 s4, s6, 1
	s_cmp_ge_u32 s4, s24
	s_cbranch_scc1 .LBB6_200
; %bb.143:
	v_lshlrev_b32_e32 v97, 2, v1
	s_mul_i32 s2, s27, s16
	s_mul_i32 s16, s14, 3
	s_ashr_i32 s3, s2, 31
	s_ashr_i32 s15, s14, 31
	v_mad_u64_u32 v[2:3], null, s14, v97, v[0:1]
	s_lshl_b64 s[2:3], s[2:3], 3
	s_ashr_i32 s17, s16, 31
	v_sub_co_u32 v98, vcc_lo, v16, s2
	v_subrev_co_ci_u32_e64 v99, null, s3, v17, vcc_lo
	v_ashrrev_i32_e32 v3, 31, v2
	v_add_co_u32 v4, vcc_lo, s20, v2
	s_lshl_b32 s2, s14, 4
	s_lshl_b32 s23, s27, 6
	v_add_co_ci_u32_e64 v5, null, s21, v3, vcc_lo
	v_lshlrev_b64 v[2:3], 3, v[2:3]
	s_ashr_i32 s3, s2, 31
	s_lshl_b32 s20, s14, 1
	v_lshlrev_b64 v[4:5], 3, v[4:5]
	s_mul_i32 s27, s27, s4
	s_lshl_b64 s[10:11], s[14:15], 3
	v_add_co_u32 v11, vcc_lo, s18, v2
	s_mul_i32 s5, s14, 0x180
	v_mad_i64_i32 v[6:7], null, s2, 24, v[4:5]
	s_lshl_b64 s[16:17], s[16:17], 3
	s_lshl_b64 s[14:15], s[14:15], 4
	s_add_i32 s22, s24, -2
	s_ashr_i32 s21, s20, 31
	s_lshl_b32 s4, s27, 6
	s_lshl_b64 s[8:9], s[2:3], 5
	v_add_co_ci_u32_e64 v12, null, s19, v3, vcc_lo
	v_add_co_u32 v13, vcc_lo, v6, s16
	s_add_u32 s28, s14, s18
	s_mul_hi_i32 s27, s2, 24
	s_addc_u32 s29, s15, s19
	v_add_co_ci_u32_e64 v16, null, s17, v7, vcc_lo
	v_add_co_u32 v17, vcc_lo, s28, v2
	s_add_u32 s5, s5, s14
	s_addc_u32 s14, s27, s15
	v_add_co_ci_u32_e64 v20, null, s29, v3, vcc_lo
	v_add_co_u32 v4, vcc_lo, s5, v4
	s_add_u32 s5, s10, s18
	v_add_co_ci_u32_e64 v5, null, s14, v5, vcc_lo
	s_addc_u32 s27, s11, s19
	v_add_co_u32 v21, vcc_lo, s5, v2
	s_lshl_b64 s[14:15], s[20:21], 3
	v_add_co_ci_u32_e64 v22, null, s27, v3, vcc_lo
	v_add_co_u32 v23, vcc_lo, v6, s14
	s_add_u32 s20, s18, s14
	v_lshrrev_b32_e32 v8, 4, v24
	v_cmp_gt_u32_e64 s1, 64, v24
	v_add_co_ci_u32_e64 v24, null, s15, v7, vcc_lo
	s_addc_u32 s21, s19, s15
	v_add_co_u32 v25, vcc_lo, s20, v2
	v_add_co_ci_u32_e64 v26, null, s21, v3, vcc_lo
	v_add_co_u32 v27, vcc_lo, v6, s10
	s_add_u32 s20, s18, s16
	v_add_co_ci_u32_e64 v28, null, s11, v7, vcc_lo
	s_addc_u32 s21, s19, s17
	v_add_co_u32 v29, vcc_lo, s20, v2
	v_add_co_ci_u32_e64 v30, null, s21, v3, vcc_lo
	s_lshl_b64 s[20:21], s[2:3], 3
	v_add_co_u32 v103, vcc_lo, v18, v6
	s_add_u32 s30, s18, s20
	s_addc_u32 s31, s19, s21
	s_lshl_b64 s[2:3], s[2:3], 4
	v_add_co_ci_u32_e64 v104, null, v19, v7, vcc_lo
	s_add_u32 s18, s2, s18
	s_addc_u32 s19, s3, s19
	v_add_co_u32 v6, vcc_lo, s30, v2
	s_add_u32 s33, s18, s16
	s_addc_u32 s34, s19, s17
	v_add_co_ci_u32_e64 v7, null, s31, v3, vcc_lo
	v_add_co_u32 v31, vcc_lo, s33, v2
	s_add_u32 s5, s5, s20
	s_addc_u32 s27, s27, s21
	v_add_co_ci_u32_e64 v32, null, s34, v3, vcc_lo
	;; [unrolled: 4-line block ×3, first 2 shown]
	v_add_co_u32 v35, vcc_lo, s2, v2
	s_add_u32 s2, s30, s14
	v_add_co_ci_u32_e64 v36, null, s3, v3, vcc_lo
	s_addc_u32 s3, s31, s15
	v_add_co_u32 v37, vcc_lo, s2, v2
	s_add_u32 s2, s18, s14
	v_add_co_ci_u32_e64 v38, null, s3, v3, vcc_lo
	s_addc_u32 s3, s19, s15
	;; [unrolled: 4-line block ×5, first 2 shown]
	v_add_co_u32 v45, vcc_lo, s2, v2
	v_add_co_ci_u32_e64 v46, null, s3, v3, vcc_lo
	v_add_co_u32 v2, vcc_lo, s18, v2
	v_add_co_ci_u32_e64 v3, null, s19, v3, vcc_lo
	;; [unrolled: 2-line block ×21, first 2 shown]
	v_sub_co_u32 v125, vcc_lo, 0, v14
	v_sub_co_ci_u32_e64 v126, null, 0, v15, vcc_lo
	v_add_co_u32 v127, vcc_lo, v11, 4
	v_add_co_ci_u32_e64 v128, null, 0, v12, vcc_lo
	v_add_co_u32 v129, vcc_lo, v4, 4
	v_add_co_ci_u32_e64 v130, null, 0, v5, vcc_lo
	;; [unrolled: 2-line block ×5, first 2 shown]
	v_add_co_u32 v137, vcc_lo, v6, 4
	v_and_b32_e32 v9, 15, v0
	v_and_b32_e32 v10, 48, v0
	v_lshlrev_b32_e32 v47, 5, v8
	v_add_co_ci_u32_e64 v138, null, 0, v7, vcc_lo
	v_add_co_u32 v139, vcc_lo, v23, 4
	v_add_co_ci_u32_e64 v140, null, 0, v24, vcc_lo
	v_add_co_u32 v141, vcc_lo, v25, 4
	;; [unrolled: 2-line block ×3, first 2 shown]
	v_lshlrev_b32_e32 v10, 3, v10
	v_or_b32_e32 v18, 0x78, v96
	v_mad_u32_u24 v122, 0x218, v9, v47
	v_mul_i32_i24_e32 v8, 0xffffffe8, v8
	v_add_co_ci_u32_e64 v144, null, 0, v28, vcc_lo
	v_add_co_u32 v145, vcc_lo, v29, 4
	v_add_co_ci_u32_e64 v146, null, 0, v30, vcc_lo
	v_add_co_u32 v147, vcc_lo, v2, 4
	v_add_nc_u32_e32 v100, 0x2180, v96
	v_lshl_add_u32 v101, v1, 5, 0x2180
	v_add_nc_u32_e32 v102, 0x2380, v96
	v_mad_u32_u24 v121, 0x860, v1, v96
	v_mad_u32_u24 v123, 0x218, v9, v10
	;; [unrolled: 1-line block ×3, first 2 shown]
	v_add_co_ci_u32_e64 v148, null, 0, v3, vcc_lo
	v_add_nc_u32_e32 v149, v122, v8
	v_add_nc_u32_e32 v150, 49, v97
	v_add_nc_u32_e32 v151, 50, v97
	v_add_nc_u32_e32 v152, 51, v97
	v_add_nc_u32_e32 v61, 64, v58
	v_mov_b32_e32 v63, 0
	s_cmp_eq_u32 s22, s6
	s_cselect_b32 s3, s25, 0
	s_and_saveexec_b32 s2, s0
	s_cbranch_execz .LBB6_148
.LBB6_144:
	v_cmp_le_i32_e32 vcc_lo, s3, v0
	s_cmp_lg_u32 s3, 0
	s_cselect_b32 s5, -1, 0
	s_and_b32 s5, s5, vcc_lo
	s_and_saveexec_b32 s10, s5
	s_xor_b32 s5, exec_lo, s10
; %bb.145:
	v_mov_b32_e32 v64, v63
	ds_write_b64 v100, v[63:64]
; %bb.146:
	s_andn2_saveexec_b32 s5, s5
	s_cbranch_execz .LBB6_148
; %bb.147:
	s_ashr_i32 s5, s4, 31
	s_lshl_b64 s[10:11], s[4:5], 3
	v_add_co_u32 v2, vcc_lo, v98, s10
	v_add_co_ci_u32_e64 v3, null, s11, v99, vcc_lo
	global_load_dwordx2 v[2:3], v[2:3], off
	s_waitcnt vmcnt(0)
	ds_write_b64 v100, v[2:3]
.LBB6_148:                              ; =>This Inner Loop Header: Depth=1
	s_or_b32 exec_lo, exec_lo, s2
	s_cmp_eq_u32 s3, 0
	v_add_co_u32 v2, vcc_lo, v127, v125
	s_cselect_b32 s5, -1, 0
	s_cmp_lg_u32 s3, 0
	v_add_co_ci_u32_e64 v3, null, v128, v126, vcc_lo
	s_cselect_b32 s2, -1, 0
	s_waitcnt lgkmcnt(0)
	s_and_b32 vcc_lo, exec_lo, s2
	s_barrier
	buffer_gl0_inv
	s_cbranch_vccz .LBB6_156
; %bb.149:                              ;   in Loop: Header=BB6_148 Depth=1
	v_mov_b32_e32 v66, 0
	v_mov_b32_e32 v64, 0
	;; [unrolled: 1-line block ×3, first 2 shown]
	s_mov_b32 s10, exec_lo
	v_cmpx_gt_i32_e64 s3, v97
	s_cbranch_execz .LBB6_151
; %bb.150:                              ;   in Loop: Header=BB6_148 Depth=1
	global_load_dwordx2 v[64:65], v[2:3], off offset:-4
.LBB6_151:                              ;   in Loop: Header=BB6_148 Depth=1
	s_or_b32 exec_lo, exec_lo, s10
	v_or_b32_e32 v4, 1, v97
	v_mov_b32_e32 v67, 0
	s_mov_b32 s10, exec_lo
	v_cmpx_gt_i32_e64 s3, v4
	s_cbranch_execz .LBB6_153
; %bb.152:                              ;   in Loop: Header=BB6_148 Depth=1
	v_add_co_u32 v4, vcc_lo, v131, v125
	v_add_co_ci_u32_e64 v5, null, v132, v126, vcc_lo
	global_load_dwordx2 v[66:67], v[4:5], off offset:-4
.LBB6_153:                              ;   in Loop: Header=BB6_148 Depth=1
	s_or_b32 exec_lo, exec_lo, s10
	v_or_b32_e32 v4, 2, v97
	v_mov_b32_e32 v68, 0
	v_mov_b32_e32 v69, 0
	s_mov_b32 s10, exec_lo
	v_cmpx_gt_i32_e64 s3, v4
	s_cbranch_execz .LBB6_155
; %bb.154:                              ;   in Loop: Header=BB6_148 Depth=1
	v_add_co_u32 v4, vcc_lo, v133, v125
	v_add_co_ci_u32_e64 v5, null, v134, v126, vcc_lo
	global_load_dwordx2 v[68:69], v[4:5], off offset:-4
.LBB6_155:                              ;   in Loop: Header=BB6_148 Depth=1
	s_or_b32 exec_lo, exec_lo, s10
	v_or_b32_e32 v4, 3, v97
	v_cmp_gt_i32_e64 s10, s3, v4
	s_branch .LBB6_158
.LBB6_156:                              ;   in Loop: Header=BB6_148 Depth=1
	s_mov_b32 s10, 0
                                        ; implicit-def: $vgpr65
                                        ; implicit-def: $vgpr67
                                        ; implicit-def: $vgpr69
	s_cbranch_execz .LBB6_158
; %bb.157:                              ;   in Loop: Header=BB6_148 Depth=1
	v_add_co_u32 v4, vcc_lo, v131, v125
	v_add_co_ci_u32_e64 v5, null, v132, v126, vcc_lo
	v_add_co_u32 v6, vcc_lo, v107, v125
	v_add_co_ci_u32_e64 v7, null, v108, v126, vcc_lo
	global_load_dwordx2 v[64:65], v[2:3], off offset:-4
	global_load_dwordx2 v[66:67], v[4:5], off offset:-4
	global_load_dwordx2 v[68:69], v[6:7], off
	s_or_b32 s10, s10, exec_lo
.LBB6_158:                              ;   in Loop: Header=BB6_148 Depth=1
	v_mov_b32_e32 v70, 0
	v_mov_b32_e32 v71, 0
	s_and_saveexec_b32 s11, s10
	s_cbranch_execz .LBB6_160
; %bb.159:                              ;   in Loop: Header=BB6_148 Depth=1
	v_add_co_u32 v2, vcc_lo, v135, v125
	v_add_co_ci_u32_e64 v3, null, v136, v126, vcc_lo
	global_load_dwordx2 v[70:71], v[2:3], off offset:-4
.LBB6_160:                              ;   in Loop: Header=BB6_148 Depth=1
	s_or_b32 exec_lo, exec_lo, s11
	ds_read_b64 v[2:3], v102
	v_add_co_u32 v18, vcc_lo, v137, v125
	v_cndmask_b32_e64 v42, 0, 1, s2
	v_add_co_ci_u32_e64 v19, null, v138, v126, vcc_lo
	s_andn2_b32 vcc_lo, exec_lo, s2
	s_waitcnt vmcnt(0) lgkmcnt(0)
	v_mul_f32_e32 v10, v65, v3
	v_mul_f32_e32 v4, v65, v2
	;; [unrolled: 1-line block ×8, first 2 shown]
	v_fmac_f32_e32 v10, v64, v2
	v_fma_f32 v11, v64, v3, -v4
	v_fmac_f32_e32 v12, v66, v2
	v_fma_f32 v13, v66, v3, -v5
	;; [unrolled: 2-line block ×4, first 2 shown]
	ds_read_b128 v[6:9], v101
	ds_read_b128 v[2:5], v101 offset:16
	ds_write2_b64 v121, v[10:11], v[12:13] offset1:67
	ds_write2_b64 v121, v[14:15], v[16:17] offset0:134 offset1:201
	s_waitcnt lgkmcnt(0)
	s_barrier
	buffer_gl0_inv
	ds_read2_b64 v[14:17], v122 offset1:1
	ds_read2_b64 v[10:13], v122 offset0:2 offset1:3
	s_waitcnt lgkmcnt(0)
	s_barrier
	buffer_gl0_inv
	s_cbranch_vccnz .LBB6_168
; %bb.161:                              ;   in Loop: Header=BB6_148 Depth=1
	v_add_nc_u32_e32 v20, 16, v97
	v_mov_b32_e32 v72, 0
	v_mov_b32_e32 v74, 0
	;; [unrolled: 1-line block ×3, first 2 shown]
	s_mov_b32 s2, exec_lo
	v_cmpx_gt_i32_e64 s3, v20
	s_cbranch_execz .LBB6_163
; %bb.162:                              ;   in Loop: Header=BB6_148 Depth=1
	global_load_dwordx2 v[74:75], v[18:19], off offset:-4
.LBB6_163:                              ;   in Loop: Header=BB6_148 Depth=1
	s_or_b32 exec_lo, exec_lo, s2
	v_add_nc_u32_e32 v20, 17, v97
	v_mov_b32_e32 v73, 0
	s_mov_b32 s2, exec_lo
	v_cmpx_gt_i32_e64 s3, v20
	s_cbranch_execz .LBB6_165
; %bb.164:                              ;   in Loop: Header=BB6_148 Depth=1
	v_add_co_u32 v20, vcc_lo, v139, v125
	v_add_co_ci_u32_e64 v21, null, v140, v126, vcc_lo
	global_load_dwordx2 v[72:73], v[20:21], off offset:-4
.LBB6_165:                              ;   in Loop: Header=BB6_148 Depth=1
	s_or_b32 exec_lo, exec_lo, s2
	v_add_nc_u32_e32 v20, 18, v97
	v_mov_b32_e32 v76, 0
	v_mov_b32_e32 v77, 0
	s_mov_b32 s2, exec_lo
	v_cmpx_gt_i32_e64 s3, v20
	s_cbranch_execz .LBB6_167
; %bb.166:                              ;   in Loop: Header=BB6_148 Depth=1
	v_add_co_u32 v20, vcc_lo, v143, v125
	v_add_co_ci_u32_e64 v21, null, v144, v126, vcc_lo
	global_load_dwordx2 v[76:77], v[20:21], off offset:-4
.LBB6_167:                              ;   in Loop: Header=BB6_148 Depth=1
	s_or_b32 exec_lo, exec_lo, s2
	v_add_nc_u32_e32 v20, 19, v97
	v_cmp_gt_i32_e64 s2, s3, v20
	s_branch .LBB6_170
.LBB6_168:                              ;   in Loop: Header=BB6_148 Depth=1
	s_mov_b32 s2, 0
                                        ; implicit-def: $vgpr75
                                        ; implicit-def: $vgpr73
                                        ; implicit-def: $vgpr77
	s_cbranch_execz .LBB6_170
; %bb.169:                              ;   in Loop: Header=BB6_148 Depth=1
	v_add_co_u32 v20, vcc_lo, v139, v125
	v_add_co_ci_u32_e64 v21, null, v140, v126, vcc_lo
	v_add_co_u32 v22, vcc_lo, v117, v125
	v_add_co_ci_u32_e64 v23, null, v118, v126, vcc_lo
	global_load_dwordx2 v[74:75], v[18:19], off offset:-4
	global_load_dwordx2 v[72:73], v[20:21], off offset:-4
	global_load_dwordx2 v[76:77], v[22:23], off
	s_or_b32 s2, s2, exec_lo
.LBB6_170:                              ;   in Loop: Header=BB6_148 Depth=1
	v_mov_b32_e32 v78, 0
	v_mov_b32_e32 v79, 0
	s_and_saveexec_b32 s10, s2
	s_cbranch_execz .LBB6_172
; %bb.171:                              ;   in Loop: Header=BB6_148 Depth=1
	v_add_co_u32 v18, vcc_lo, v145, v125
	v_add_co_ci_u32_e64 v19, null, v146, v126, vcc_lo
	global_load_dwordx2 v[78:79], v[18:19], off offset:-4
.LBB6_172:                              ;   in Loop: Header=BB6_148 Depth=1
	s_or_b32 exec_lo, exec_lo, s10
	ds_read_b64 v[18:19], v102
	v_cmp_ne_u32_e32 vcc_lo, 1, v42
	s_and_b32 vcc_lo, exec_lo, vcc_lo
	s_waitcnt vmcnt(0) lgkmcnt(0)
	v_mul_f32_e32 v26, v75, v19
	v_mul_f32_e32 v20, v75, v18
	v_mul_f32_e32 v28, v73, v19
	v_mul_f32_e32 v21, v73, v18
	v_mul_f32_e32 v30, v77, v19
	v_mul_f32_e32 v22, v77, v18
	v_mul_f32_e32 v32, v79, v19
	v_mul_f32_e32 v23, v79, v18
	v_fmac_f32_e32 v26, v74, v18
	v_fma_f32 v27, v74, v19, -v20
	v_fmac_f32_e32 v28, v72, v18
	v_fma_f32 v29, v72, v19, -v21
	;; [unrolled: 2-line block ×4, first 2 shown]
	ds_read_b128 v[22:25], v101 offset:128
	ds_read_b128 v[18:21], v101 offset:144
	ds_write2_b64 v121, v[26:27], v[28:29] offset1:67
	ds_write2_b64 v121, v[30:31], v[32:33] offset0:134 offset1:201
	s_waitcnt lgkmcnt(0)
	s_barrier
	buffer_gl0_inv
	ds_read2_b64 v[38:41], v122 offset1:1
	ds_read2_b64 v[30:33], v122 offset0:2 offset1:3
	v_add_co_u32 v26, s2, v147, v125
	v_add_co_ci_u32_e64 v27, null, v148, v126, s2
	s_waitcnt lgkmcnt(0)
	s_barrier
	buffer_gl0_inv
	s_cbranch_vccnz .LBB6_180
; %bb.173:                              ;   in Loop: Header=BB6_148 Depth=1
	v_add_nc_u32_e32 v28, 32, v97
	v_mov_b32_e32 v80, 0
	v_mov_b32_e32 v82, 0
	;; [unrolled: 1-line block ×3, first 2 shown]
	s_mov_b32 s2, exec_lo
	v_cmpx_gt_i32_e64 s3, v28
	s_cbranch_execz .LBB6_175
; %bb.174:                              ;   in Loop: Header=BB6_148 Depth=1
	global_load_dwordx2 v[82:83], v[26:27], off offset:-4
.LBB6_175:                              ;   in Loop: Header=BB6_148 Depth=1
	s_or_b32 exec_lo, exec_lo, s2
	v_add_nc_u32_e32 v28, 33, v97
	v_mov_b32_e32 v81, 0
	s_mov_b32 s2, exec_lo
	v_cmpx_gt_i32_e64 s3, v28
	s_cbranch_execz .LBB6_177
; %bb.176:                              ;   in Loop: Header=BB6_148 Depth=1
	v_add_co_u32 v28, vcc_lo, v119, v125
	v_add_co_ci_u32_e64 v29, null, v120, v126, vcc_lo
	global_load_dwordx2 v[80:81], v[28:29], off
.LBB6_177:                              ;   in Loop: Header=BB6_148 Depth=1
	s_or_b32 exec_lo, exec_lo, s2
	v_add_nc_u32_e32 v28, 34, v97
	v_mov_b32_e32 v84, 0
	v_mov_b32_e32 v85, 0
	s_mov_b32 s2, exec_lo
	v_cmpx_gt_i32_e64 s3, v28
	s_cbranch_execz .LBB6_179
; %bb.178:                              ;   in Loop: Header=BB6_148 Depth=1
	v_add_co_u32 v28, vcc_lo, v115, v125
	v_add_co_ci_u32_e64 v29, null, v116, v126, vcc_lo
	global_load_dwordx2 v[84:85], v[28:29], off
.LBB6_179:                              ;   in Loop: Header=BB6_148 Depth=1
	s_or_b32 exec_lo, exec_lo, s2
	v_add_nc_u32_e32 v28, 35, v97
	v_cmp_gt_i32_e64 s2, s3, v28
	s_branch .LBB6_182
.LBB6_180:                              ;   in Loop: Header=BB6_148 Depth=1
	s_mov_b32 s2, 0
                                        ; implicit-def: $vgpr83
                                        ; implicit-def: $vgpr81
                                        ; implicit-def: $vgpr85
	s_cbranch_execz .LBB6_182
; %bb.181:                              ;   in Loop: Header=BB6_148 Depth=1
	v_add_co_u32 v28, vcc_lo, v119, v125
	v_add_co_ci_u32_e64 v29, null, v120, v126, vcc_lo
	v_add_co_u32 v34, vcc_lo, v141, v125
	v_add_co_ci_u32_e64 v35, null, v142, v126, vcc_lo
	global_load_dwordx2 v[82:83], v[26:27], off offset:-4
	global_load_dwordx2 v[80:81], v[28:29], off
	global_load_dwordx2 v[84:85], v[34:35], off offset:-4
	s_or_b32 s2, s2, exec_lo
.LBB6_182:                              ;   in Loop: Header=BB6_148 Depth=1
	v_mov_b32_e32 v86, 0
	v_mov_b32_e32 v87, 0
	s_and_saveexec_b32 s10, s2
	s_cbranch_execz .LBB6_184
; %bb.183:                              ;   in Loop: Header=BB6_148 Depth=1
	v_add_co_u32 v26, vcc_lo, v113, v125
	v_add_co_ci_u32_e64 v27, null, v114, v126, vcc_lo
	global_load_dwordx2 v[86:87], v[26:27], off
.LBB6_184:                              ;   in Loop: Header=BB6_148 Depth=1
	s_or_b32 exec_lo, exec_lo, s10
	ds_read_b64 v[26:27], v102
	v_cmp_ne_u32_e32 vcc_lo, 1, v42
	v_add_co_u32 v42, s2, v103, v125
	s_and_b32 vcc_lo, exec_lo, vcc_lo
	s_waitcnt vmcnt(0) lgkmcnt(0)
	v_mul_f32_e32 v43, v83, v27
	v_mul_f32_e32 v28, v83, v26
	;; [unrolled: 1-line block ×8, first 2 shown]
	v_fmac_f32_e32 v43, v82, v26
	v_fma_f32 v44, v82, v27, -v28
	v_fmac_f32_e32 v45, v80, v26
	v_fma_f32 v46, v80, v27, -v29
	;; [unrolled: 2-line block ×4, first 2 shown]
	ds_read_b128 v[34:37], v101 offset:256
	ds_read_b128 v[26:29], v101 offset:272
	ds_write2_b64 v121, v[43:44], v[45:46] offset1:67
	ds_write2_b64 v121, v[47:48], v[49:50] offset0:134 offset1:201
	s_waitcnt lgkmcnt(0)
	s_barrier
	buffer_gl0_inv
	ds_read2_b64 v[54:57], v122 offset1:1
	ds_read2_b64 v[50:53], v122 offset0:2 offset1:3
	v_add_co_ci_u32_e64 v43, null, v104, v126, s2
	s_waitcnt lgkmcnt(0)
	s_barrier
	buffer_gl0_inv
	s_cbranch_vccnz .LBB6_192
; %bb.185:                              ;   in Loop: Header=BB6_148 Depth=1
	v_add_nc_u32_e32 v44, 48, v97
	v_mov_b32_e32 v90, 0
	v_mov_b32_e32 v88, 0
	;; [unrolled: 1-line block ×3, first 2 shown]
	s_mov_b32 s2, exec_lo
	v_cmpx_gt_i32_e64 s3, v44
	s_cbranch_execz .LBB6_187
; %bb.186:                              ;   in Loop: Header=BB6_148 Depth=1
	global_load_dwordx2 v[88:89], v[42:43], off
.LBB6_187:                              ;   in Loop: Header=BB6_148 Depth=1
	s_or_b32 exec_lo, exec_lo, s2
	v_mov_b32_e32 v91, 0
	s_mov_b32 s2, exec_lo
	v_cmpx_gt_i32_e64 s3, v150
	s_cbranch_execz .LBB6_189
; %bb.188:                              ;   in Loop: Header=BB6_148 Depth=1
	v_add_co_u32 v44, vcc_lo, v111, v125
	v_add_co_ci_u32_e64 v45, null, v112, v126, vcc_lo
	global_load_dwordx2 v[90:91], v[44:45], off
.LBB6_189:                              ;   in Loop: Header=BB6_148 Depth=1
	s_or_b32 exec_lo, exec_lo, s2
	v_mov_b32_e32 v92, 0
	v_mov_b32_e32 v93, 0
	s_mov_b32 s2, exec_lo
	v_cmpx_gt_i32_e64 s3, v151
	s_cbranch_execz .LBB6_191
; %bb.190:                              ;   in Loop: Header=BB6_148 Depth=1
	v_add_co_u32 v44, vcc_lo, v109, v125
	v_add_co_ci_u32_e64 v45, null, v110, v126, vcc_lo
	global_load_dwordx2 v[92:93], v[44:45], off
.LBB6_191:                              ;   in Loop: Header=BB6_148 Depth=1
	s_or_b32 exec_lo, exec_lo, s2
	v_cmp_gt_i32_e64 s2, s3, v152
	s_branch .LBB6_194
.LBB6_192:                              ;   in Loop: Header=BB6_148 Depth=1
	s_mov_b32 s2, 0
                                        ; implicit-def: $vgpr89
                                        ; implicit-def: $vgpr91
                                        ; implicit-def: $vgpr93
	s_cbranch_execz .LBB6_194
; %bb.193:                              ;   in Loop: Header=BB6_148 Depth=1
	v_add_co_u32 v44, vcc_lo, v111, v125
	v_add_co_ci_u32_e64 v45, null, v112, v126, vcc_lo
	v_add_co_u32 v46, vcc_lo, v129, v125
	v_add_co_ci_u32_e64 v47, null, v130, v126, vcc_lo
	global_load_dwordx2 v[88:89], v[42:43], off
	global_load_dwordx2 v[90:91], v[44:45], off
	global_load_dwordx2 v[92:93], v[46:47], off offset:-4
	s_or_b32 s2, s2, exec_lo
.LBB6_194:                              ;   in Loop: Header=BB6_148 Depth=1
	v_mov_b32_e32 v94, 0
	v_mov_b32_e32 v95, 0
	s_and_saveexec_b32 s10, s2
	s_cbranch_execz .LBB6_196
; %bb.195:                              ;   in Loop: Header=BB6_148 Depth=1
	v_add_co_u32 v42, vcc_lo, v105, v125
	v_add_co_ci_u32_e64 v43, null, v106, v126, vcc_lo
	global_load_dwordx2 v[94:95], v[42:43], off
.LBB6_196:                              ;   in Loop: Header=BB6_148 Depth=1
	s_or_b32 exec_lo, exec_lo, s10
	ds_read_b64 v[42:43], v102
	v_add_f32_e32 v54, 0, v54
	v_add_f32_e32 v55, 0, v55
	;; [unrolled: 1-line block ×10, first 2 shown]
	v_cmp_gt_i32_e32 vcc_lo, s3, v0
	v_add_f32_e32 v14, v14, v16
	v_add_f32_e32 v30, v38, v30
	;; [unrolled: 1-line block ×8, first 2 shown]
	s_waitcnt vmcnt(0) lgkmcnt(0)
	v_mul_f32_e32 v153, v89, v43
	v_mul_f32_e32 v44, v89, v42
	v_mul_f32_e32 v155, v91, v43
	v_mul_f32_e32 v45, v91, v42
	v_mul_f32_e32 v157, v93, v43
	v_mul_f32_e32 v46, v93, v42
	v_mul_f32_e32 v159, v95, v43
	v_mul_f32_e32 v47, v95, v42
	v_fmac_f32_e32 v153, v88, v42
	v_fma_f32 v154, v88, v43, -v44
	v_fmac_f32_e32 v155, v90, v42
	v_fma_f32 v156, v90, v43, -v45
	;; [unrolled: 2-line block ×4, first 2 shown]
	ds_read_b128 v[46:49], v101 offset:384
	ds_read_b128 v[42:45], v101 offset:400
	ds_write2_b64 v121, v[153:154], v[155:156] offset1:67
	ds_write2_b64 v121, v[157:158], v[159:160] offset0:134 offset1:201
	s_waitcnt lgkmcnt(0)
	s_barrier
	buffer_gl0_inv
	ds_read2_b64 v[153:156], v122 offset1:1
	v_add_f32_e32 v157, v55, v57
	ds_read2_b64 v[54:57], v122 offset0:2 offset1:3
	v_add_f32_e32 v12, v39, v12
	v_add_f32_e32 v13, v41, v13
	s_or_b32 s2, s5, vcc_lo
	v_add_f32_e32 v17, v157, v51
	s_and_b32 s3, s1, s2
	s_waitcnt lgkmcnt(0)
	s_barrier
	buffer_gl0_inv
	v_add_f32_e32 v11, v17, v53
	v_add_f32_e32 v38, 0, v153
	;; [unrolled: 1-line block ×10, first 2 shown]
	ds_write2_b64 v149, v[12:13], v[14:15] offset1:16
	ds_write2_b64 v149, v[10:11], v[16:17] offset0:32 offset1:48
	s_waitcnt lgkmcnt(0)
	s_barrier
	buffer_gl0_inv
	s_and_saveexec_b32 s2, s3
	s_cbranch_execz .LBB6_198
; %bb.197:                              ;   in Loop: Header=BB6_148 Depth=1
	ds_read_b64 v[38:39], v123
	ds_read2_b64 v[10:13], v123 offset0:1 offset1:2
	ds_read2_b64 v[14:17], v123 offset0:3 offset1:4
	;; [unrolled: 1-line block ×3, first 2 shown]
	v_ashrrev_i32_e32 v62, 31, v61
	s_waitcnt lgkmcnt(2)
	v_add_f32_e32 v10, v10, v38
	v_add_f32_e32 v11, v11, v39
	v_add_f32_e32 v38, v12, v10
	v_add_f32_e32 v39, v13, v11
	ds_read2_b64 v[10:13], v123 offset0:7 offset1:8
	s_waitcnt lgkmcnt(2)
	v_add_f32_e32 v14, v38, v14
	v_add_f32_e32 v15, v39, v15
	v_add_f32_e32 v38, v14, v16
	v_add_f32_e32 v39, v15, v17
	ds_read2_b64 v[14:17], v123 offset0:9 offset1:10
	;; [unrolled: 6-line block ×4, first 2 shown]
	s_waitcnt lgkmcnt(2)
	v_add_f32_e32 v14, v38, v14
	v_add_f32_e32 v15, v39, v15
	;; [unrolled: 1-line block ×4, first 2 shown]
	ds_read_b64 v[14:15], v124
	s_waitcnt lgkmcnt(2)
	v_add_f32_e32 v16, v16, v30
	v_add_f32_e32 v17, v17, v31
	;; [unrolled: 1-line block ×4, first 2 shown]
	s_waitcnt lgkmcnt(1)
	v_add_f32_e32 v10, v16, v10
	v_add_f32_e32 v11, v17, v11
	v_add_f32_e32 v12, v10, v12
	v_add_f32_e32 v13, v11, v13
	v_lshlrev_b64 v[10:11], 3, v[61:62]
	s_waitcnt lgkmcnt(0)
	v_add_f32_e32 v12, v12, v14
	v_add_f32_e32 v13, v13, v15
	v_add_co_u32 v10, vcc_lo, s7, v10
	v_add_co_ci_u32_e64 v11, null, s13, v11, vcc_lo
	global_store_dwordx2 v[10:11], v[12:13], off
.LBB6_198:                              ;   in Loop: Header=BB6_148 Depth=1
	s_or_b32 exec_lo, exec_lo, s2
	v_mul_f32_e32 v10, v65, v7
	v_mul_f32_e32 v7, v64, v7
	;; [unrolled: 1-line block ×5, first 2 shown]
	v_fma_f32 v10, v64, v6, -v10
	v_fmac_f32_e32 v7, v65, v6
	v_fma_f32 v11, v66, v8, -v11
	v_mul_f32_e32 v3, v68, v3
	v_mul_f32_e32 v13, v71, v5
	v_add_f32_e32 v10, v59, v10
	v_fma_f32 v6, v68, v2, -v12
	v_fmac_f32_e32 v9, v67, v8
	v_add_f32_e32 v7, v60, v7
	v_mul_f32_e32 v5, v70, v5
	v_add_f32_e32 v10, v10, v11
	v_mul_f32_e32 v14, v75, v23
	v_fma_f32 v8, v70, v4, -v13
	v_fmac_f32_e32 v3, v69, v2
	v_add_f32_e32 v2, v7, v9
	v_add_f32_e32 v6, v10, v6
	v_mul_f32_e32 v15, v74, v23
	v_mul_f32_e32 v11, v73, v25
	v_fma_f32 v7, v74, v22, -v14
	v_fmac_f32_e32 v5, v71, v4
	v_add_f32_e32 v6, v6, v8
	v_add_f32_e32 v2, v2, v3
	v_mul_f32_e32 v10, v72, v25
	v_mul_f32_e32 v8, v77, v19
	v_fma_f32 v3, v72, v24, -v11
	v_add_f32_e32 v4, v6, v7
	v_fmac_f32_e32 v15, v75, v22
	v_add_f32_e32 v2, v2, v5
	v_mul_f32_e32 v6, v79, v21
	v_fma_f32 v5, v76, v18, -v8
	v_add_f32_e32 v3, v4, v3
	v_mul_f32_e32 v4, v76, v19
	v_fmac_f32_e32 v10, v73, v24
	v_add_f32_e32 v2, v2, v15
	v_fma_f32 v6, v78, v20, -v6
	v_add_f32_e32 v3, v3, v5
	v_mul_f32_e32 v5, v83, v35
	v_fmac_f32_e32 v4, v77, v18
	v_add_f32_e32 v2, v2, v10
	v_mul_f32_e32 v7, v78, v21
	v_add_f32_e32 v3, v3, v6
	v_fma_f32 v5, v82, v34, -v5
	v_mul_f32_e32 v6, v81, v37
	v_add_f32_e32 v2, v2, v4
	v_fmac_f32_e32 v7, v79, v20
	v_mul_f32_e32 v4, v82, v35
	v_add_f32_e32 v3, v3, v5
	v_fma_f32 v5, v80, v36, -v6
	v_mul_f32_e32 v6, v85, v27
	v_add_f32_e32 v2, v2, v7
	v_fmac_f32_e32 v4, v83, v34
	v_mul_f32_e32 v7, v80, v37
	v_add_co_u32 v127, vcc_lo, v127, s8
	v_add_co_ci_u32_e64 v128, null, s9, v128, vcc_lo
	v_add_co_u32 v105, vcc_lo, v105, s8
	v_add_co_ci_u32_e64 v106, null, s9, v106, vcc_lo
	v_add_co_u32 v107, vcc_lo, v107, s8
	v_add_f32_e32 v3, v3, v5
	v_fma_f32 v5, v84, v26, -v6
	v_mul_f32_e32 v6, v87, v29
	v_add_f32_e32 v2, v2, v4
	v_fmac_f32_e32 v7, v81, v36
	v_mul_f32_e32 v4, v84, v27
	v_add_co_ci_u32_e64 v108, null, s9, v108, vcc_lo
	v_add_co_u32 v129, vcc_lo, v129, s8
	v_add_co_ci_u32_e64 v130, null, s9, v130, vcc_lo
	v_add_co_u32 v131, vcc_lo, v131, s8
	v_add_f32_e32 v3, v3, v5
	v_fma_f32 v5, v86, v28, -v6
	v_add_f32_e32 v2, v2, v7
	v_fmac_f32_e32 v4, v85, v26
	v_mul_f32_e32 v6, v89, v47
	v_mul_f32_e32 v7, v86, v29
	v_add_co_ci_u32_e64 v132, null, s9, v132, vcc_lo
	v_add_co_u32 v109, vcc_lo, v109, s8
	v_add_co_ci_u32_e64 v110, null, s9, v110, vcc_lo
	v_add_co_u32 v133, vcc_lo, v133, s8
	;; [unrolled: 2-line block ×3, first 2 shown]
	v_add_f32_e32 v3, v3, v5
	v_add_f32_e32 v2, v2, v4
	v_fma_f32 v4, v88, v46, -v6
	v_mul_f32_e32 v5, v91, v49
	v_fmac_f32_e32 v7, v87, v28
	v_mul_f32_e32 v6, v88, v47
	v_add_co_ci_u32_e64 v112, null, s9, v112, vcc_lo
	v_add_co_u32 v135, vcc_lo, v135, s8
	v_add_co_ci_u32_e64 v136, null, s9, v136, vcc_lo
	v_add_co_u32 v103, vcc_lo, v103, s8
	v_add_f32_e32 v3, v3, v4
	v_fma_f32 v4, v90, v48, -v5
	v_add_f32_e32 v2, v2, v7
	v_mul_f32_e32 v5, v90, v49
	v_fmac_f32_e32 v6, v89, v46
	v_add_co_ci_u32_e64 v104, null, s9, v104, vcc_lo
	v_add_co_u32 v137, vcc_lo, v137, s8
	v_add_co_ci_u32_e64 v138, null, s9, v138, vcc_lo
	v_add_co_u32 v113, vcc_lo, v113, s8
	;; [unrolled: 2-line block ×3, first 2 shown]
	v_mul_f32_e32 v7, v93, v43
	v_add_f32_e32 v3, v3, v4
	v_mul_f32_e32 v4, v92, v43
	v_fmac_f32_e32 v5, v91, v48
	v_add_f32_e32 v2, v2, v6
	v_add_co_ci_u32_e64 v140, null, s9, v140, vcc_lo
	v_add_co_u32 v141, vcc_lo, v141, s8
	v_add_co_ci_u32_e64 v142, null, s9, v142, vcc_lo
	v_add_co_u32 v143, vcc_lo, v143, s8
	v_fma_f32 v6, v92, v42, -v7
	v_mul_f32_e32 v7, v95, v45
	v_mul_f32_e32 v8, v94, v45
	v_fmac_f32_e32 v4, v93, v42
	v_add_f32_e32 v2, v2, v5
	v_add_co_ci_u32_e64 v144, null, s9, v144, vcc_lo
	v_add_co_u32 v115, vcc_lo, v115, s8
	v_add_co_ci_u32_e64 v116, null, s9, v116, vcc_lo
	v_add_co_u32 v117, vcc_lo, v117, s8
	;; [unrolled: 2-line block ×3, first 2 shown]
	v_add_f32_e32 v3, v3, v6
	v_fma_f32 v5, v94, v44, -v7
	v_fmac_f32_e32 v8, v95, v44
	v_add_f32_e32 v2, v2, v4
	v_add_co_ci_u32_e64 v120, null, s9, v120, vcc_lo
	v_add_co_u32 v145, vcc_lo, v145, s8
	v_add_co_ci_u32_e64 v146, null, s9, v146, vcc_lo
	v_add_co_u32 v147, vcc_lo, v147, s8
	v_add_f32_e32 v59, v3, v5
	v_add_f32_e32 v60, v2, v8
	v_add_nc_u32_e32 v61, 64, v61
	v_add_co_ci_u32_e64 v148, null, s9, v148, vcc_lo
	s_add_i32 s3, s6, 2
	s_add_i32 s2, s6, 1
	;; [unrolled: 1-line block ×3, first 2 shown]
	s_cmp_ge_u32 s3, s24
	s_waitcnt_vscnt null, 0x0
	s_barrier
	buffer_gl0_inv
	s_cbranch_scc1 .LBB6_200
; %bb.199:                              ;   in Loop: Header=BB6_148 Depth=1
	s_mov_b32 s6, s2
	s_cmp_eq_u32 s22, s6
	s_cselect_b32 s3, s25, 0
	s_and_saveexec_b32 s2, s0
	s_cbranch_execnz .LBB6_144
	s_branch .LBB6_148
.LBB6_200:
	v_cmp_gt_i32_e32 vcc_lo, s12, v0
	v_mad_u32_u24 v1, 0x218, v1, v96
	s_or_b32 s1, s26, vcc_lo
	ds_write_b64 v1, v[59:60]
	s_and_b32 s0, s0, s1
	s_waitcnt lgkmcnt(0)
	s_barrier
	buffer_gl0_inv
	s_and_saveexec_b32 s1, s0
	s_cbranch_execz .LBB6_202
; %bb.201:
	ds_read2_b64 v[0:3], v96 offset1:67
	ds_read2_b64 v[4:7], v96 offset0:134 offset1:201
	v_ashrrev_i32_e32 v59, 31, v58
	s_waitcnt lgkmcnt(1)
	v_add_f32_e32 v0, v2, v0
	v_add_f32_e32 v1, v3, v1
	s_waitcnt lgkmcnt(0)
	v_add_f32_e32 v2, v4, v0
	v_add_f32_e32 v3, v5, v1
	v_lshlrev_b64 v[0:1], 3, v[58:59]
	v_add_f32_e32 v2, v2, v6
	v_add_f32_e32 v3, v3, v7
	v_add_co_u32 v0, vcc_lo, s7, v0
	v_add_co_ci_u32_e64 v1, null, s13, v1, vcc_lo
	global_store_dwordx2 v[0:1], v[2:3], off
.LBB6_202:
	s_endpgm
	.section	.rodata,"a",@progbits
	.p2align	6, 0x0
	.amdhsa_kernel _ZL26rocblas_hemvn_kernel_upperILb1ELi64ELi4ELi33ELi32ELi16Ei19rocblas_complex_numIfEPKS1_PS1_EviT6_lT7_lT5_lS6_lS7_lS5_lT8_i
		.amdhsa_group_segment_fixed_size 9600
		.amdhsa_private_segment_fixed_size 0
		.amdhsa_kernarg_size 376
		.amdhsa_user_sgpr_count 6
		.amdhsa_user_sgpr_private_segment_buffer 1
		.amdhsa_user_sgpr_dispatch_ptr 0
		.amdhsa_user_sgpr_queue_ptr 0
		.amdhsa_user_sgpr_kernarg_segment_ptr 1
		.amdhsa_user_sgpr_dispatch_id 0
		.amdhsa_user_sgpr_flat_scratch_init 0
		.amdhsa_user_sgpr_private_segment_size 0
		.amdhsa_wavefront_size32 1
		.amdhsa_uses_dynamic_stack 0
		.amdhsa_system_sgpr_private_segment_wavefront_offset 0
		.amdhsa_system_sgpr_workgroup_id_x 1
		.amdhsa_system_sgpr_workgroup_id_y 0
		.amdhsa_system_sgpr_workgroup_id_z 1
		.amdhsa_system_sgpr_workgroup_info 0
		.amdhsa_system_vgpr_workitem_id 1
		.amdhsa_next_free_vgpr 161
		.amdhsa_next_free_sgpr 35
		.amdhsa_reserve_vcc 1
		.amdhsa_reserve_flat_scratch 0
		.amdhsa_float_round_mode_32 0
		.amdhsa_float_round_mode_16_64 0
		.amdhsa_float_denorm_mode_32 3
		.amdhsa_float_denorm_mode_16_64 3
		.amdhsa_dx10_clamp 1
		.amdhsa_ieee_mode 1
		.amdhsa_fp16_overflow 0
		.amdhsa_workgroup_processor_mode 1
		.amdhsa_memory_ordered 1
		.amdhsa_forward_progress 1
		.amdhsa_shared_vgpr_count 0
		.amdhsa_exception_fp_ieee_invalid_op 0
		.amdhsa_exception_fp_denorm_src 0
		.amdhsa_exception_fp_ieee_div_zero 0
		.amdhsa_exception_fp_ieee_overflow 0
		.amdhsa_exception_fp_ieee_underflow 0
		.amdhsa_exception_fp_ieee_inexact 0
		.amdhsa_exception_int_div_zero 0
	.end_amdhsa_kernel
	.section	.text._ZL26rocblas_hemvn_kernel_upperILb1ELi64ELi4ELi33ELi32ELi16Ei19rocblas_complex_numIfEPKS1_PS1_EviT6_lT7_lT5_lS6_lS7_lS5_lT8_i,"axG",@progbits,_ZL26rocblas_hemvn_kernel_upperILb1ELi64ELi4ELi33ELi32ELi16Ei19rocblas_complex_numIfEPKS1_PS1_EviT6_lT7_lT5_lS6_lS7_lS5_lT8_i,comdat
.Lfunc_end6:
	.size	_ZL26rocblas_hemvn_kernel_upperILb1ELi64ELi4ELi33ELi32ELi16Ei19rocblas_complex_numIfEPKS1_PS1_EviT6_lT7_lT5_lS6_lS7_lS5_lT8_i, .Lfunc_end6-_ZL26rocblas_hemvn_kernel_upperILb1ELi64ELi4ELi33ELi32ELi16Ei19rocblas_complex_numIfEPKS1_PS1_EviT6_lT7_lT5_lS6_lS7_lS5_lT8_i
                                        ; -- End function
	.set _ZL26rocblas_hemvn_kernel_upperILb1ELi64ELi4ELi33ELi32ELi16Ei19rocblas_complex_numIfEPKS1_PS1_EviT6_lT7_lT5_lS6_lS7_lS5_lT8_i.num_vgpr, 161
	.set _ZL26rocblas_hemvn_kernel_upperILb1ELi64ELi4ELi33ELi32ELi16Ei19rocblas_complex_numIfEPKS1_PS1_EviT6_lT7_lT5_lS6_lS7_lS5_lT8_i.num_agpr, 0
	.set _ZL26rocblas_hemvn_kernel_upperILb1ELi64ELi4ELi33ELi32ELi16Ei19rocblas_complex_numIfEPKS1_PS1_EviT6_lT7_lT5_lS6_lS7_lS5_lT8_i.numbered_sgpr, 35
	.set _ZL26rocblas_hemvn_kernel_upperILb1ELi64ELi4ELi33ELi32ELi16Ei19rocblas_complex_numIfEPKS1_PS1_EviT6_lT7_lT5_lS6_lS7_lS5_lT8_i.num_named_barrier, 0
	.set _ZL26rocblas_hemvn_kernel_upperILb1ELi64ELi4ELi33ELi32ELi16Ei19rocblas_complex_numIfEPKS1_PS1_EviT6_lT7_lT5_lS6_lS7_lS5_lT8_i.private_seg_size, 0
	.set _ZL26rocblas_hemvn_kernel_upperILb1ELi64ELi4ELi33ELi32ELi16Ei19rocblas_complex_numIfEPKS1_PS1_EviT6_lT7_lT5_lS6_lS7_lS5_lT8_i.uses_vcc, 1
	.set _ZL26rocblas_hemvn_kernel_upperILb1ELi64ELi4ELi33ELi32ELi16Ei19rocblas_complex_numIfEPKS1_PS1_EviT6_lT7_lT5_lS6_lS7_lS5_lT8_i.uses_flat_scratch, 0
	.set _ZL26rocblas_hemvn_kernel_upperILb1ELi64ELi4ELi33ELi32ELi16Ei19rocblas_complex_numIfEPKS1_PS1_EviT6_lT7_lT5_lS6_lS7_lS5_lT8_i.has_dyn_sized_stack, 0
	.set _ZL26rocblas_hemvn_kernel_upperILb1ELi64ELi4ELi33ELi32ELi16Ei19rocblas_complex_numIfEPKS1_PS1_EviT6_lT7_lT5_lS6_lS7_lS5_lT8_i.has_recursion, 0
	.set _ZL26rocblas_hemvn_kernel_upperILb1ELi64ELi4ELi33ELi32ELi16Ei19rocblas_complex_numIfEPKS1_PS1_EviT6_lT7_lT5_lS6_lS7_lS5_lT8_i.has_indirect_call, 0
	.section	.AMDGPU.csdata,"",@progbits
; Kernel info:
; codeLenInByte = 10288
; TotalNumSgprs: 37
; NumVgprs: 161
; ScratchSize: 0
; MemoryBound: 1
; FloatMode: 240
; IeeeMode: 1
; LDSByteSize: 9600 bytes/workgroup (compile time only)
; SGPRBlocks: 0
; VGPRBlocks: 20
; NumSGPRsForWavesPerEU: 37
; NumVGPRsForWavesPerEU: 161
; Occupancy: 5
; WaveLimiterHint : 1
; COMPUTE_PGM_RSRC2:SCRATCH_EN: 0
; COMPUTE_PGM_RSRC2:USER_SGPR: 6
; COMPUTE_PGM_RSRC2:TRAP_HANDLER: 0
; COMPUTE_PGM_RSRC2:TGID_X_EN: 1
; COMPUTE_PGM_RSRC2:TGID_Y_EN: 0
; COMPUTE_PGM_RSRC2:TGID_Z_EN: 1
; COMPUTE_PGM_RSRC2:TIDIG_COMP_CNT: 1
	.section	.text._ZL36rocblas_hemvn_kernel_upper_block_sumILi64Ei19rocblas_complex_numIfEPS1_S1_EviT1_lS3_lT2_lT0_lPT3_i,"axG",@progbits,_ZL36rocblas_hemvn_kernel_upper_block_sumILi64Ei19rocblas_complex_numIfEPS1_S1_EviT1_lS3_lT2_lT0_lPT3_i,comdat
	.globl	_ZL36rocblas_hemvn_kernel_upper_block_sumILi64Ei19rocblas_complex_numIfEPS1_S1_EviT1_lS3_lT2_lT0_lPT3_i ; -- Begin function _ZL36rocblas_hemvn_kernel_upper_block_sumILi64Ei19rocblas_complex_numIfEPS1_S1_EviT1_lS3_lT2_lT0_lPT3_i
	.p2align	8
	.type	_ZL36rocblas_hemvn_kernel_upper_block_sumILi64Ei19rocblas_complex_numIfEPS1_S1_EviT1_lS3_lT2_lT0_lPT3_i,@function
_ZL36rocblas_hemvn_kernel_upper_block_sumILi64Ei19rocblas_complex_numIfEPS1_S1_EviT1_lS3_lT2_lT0_lPT3_i: ; @_ZL36rocblas_hemvn_kernel_upper_block_sumILi64Ei19rocblas_complex_numIfEPS1_S1_EviT1_lS3_lT2_lT0_lPT3_i
; %bb.0:
	s_clause 0x1
	s_load_dwordx4 s[8:11], s[4:5], 0x0
	s_load_dwordx2 s[12:13], s[4:5], 0x18
	s_waitcnt lgkmcnt(0)
	s_or_b32 s0, s9, s10
	s_bitset0_b32 s0, 31
	s_cmp_eq_u32 s0, 0
	s_cselect_b32 s16, -1, 0
	s_cmp_lg_u32 s0, 0
	s_mov_b32 s0, -1
	s_cbranch_scc1 .LBB7_2
; %bb.1:
	v_cmp_neq_f32_e64 s0, s12, 1.0
	v_cmp_neq_f32_e64 s1, s13, 0
	s_or_b32 s0, s0, s1
.LBB7_2:
	s_andn2_b32 vcc_lo, exec_lo, s0
	s_cbranch_vccnz .LBB7_19
; %bb.3:
	s_clause 0x2
	s_load_dwordx4 s[0:3], s[4:5], 0x40
	s_load_dwordx4 s[20:23], s[4:5], 0x28
	s_load_dword s15, s[4:5], 0x38
	v_lshl_or_b32 v0, s6, 6, v0
	s_waitcnt lgkmcnt(0)
	s_mul_i32 s1, s1, s7
	s_mul_hi_u32 s11, s0, s7
	s_mul_i32 s0, s0, s7
	s_add_i32 s1, s11, s1
	s_lshl_b64 s[0:1], s[0:1], 3
	s_add_u32 s11, s20, s0
	s_addc_u32 s1, s21, s1
	s_lshl_b64 s[18:19], s[22:23], 3
	v_cmp_gt_i32_e64 s0, s8, v0
	s_add_u32 s11, s11, s18
	s_addc_u32 s14, s1, s19
	s_andn2_b32 vcc_lo, exec_lo, s16
	s_mov_b32 s1, -1
	s_cbranch_vccnz .LBB7_9
; %bb.4:
	s_and_saveexec_b32 s1, s0
	s_cbranch_execz .LBB7_8
; %bb.5:
	v_mul_lo_u32 v1, s15, v0
	v_cmp_neq_f32_e64 s0, s12, 0
	v_cmp_neq_f32_e64 s16, s13, 0
	v_mov_b32_e32 v3, 0
	v_mov_b32_e32 v4, 0
	s_or_b32 s0, s0, s16
	v_ashrrev_i32_e32 v2, 31, v1
	s_andn2_b32 vcc_lo, exec_lo, s0
	v_lshlrev_b64 v[1:2], 3, v[1:2]
	s_cbranch_vccnz .LBB7_7
; %bb.6:
	v_add_co_u32 v3, vcc_lo, s11, v1
	v_add_co_ci_u32_e64 v4, null, s14, v2, vcc_lo
	global_load_dwordx2 v[5:6], v[3:4], off
	s_waitcnt vmcnt(0)
	v_mul_f32_e32 v3, s13, v6
	v_mul_f32_e32 v4, s12, v6
	v_fma_f32 v3, v5, s12, -v3
	v_fmac_f32_e32 v4, s13, v5
.LBB7_7:
	v_add_co_u32 v1, vcc_lo, s11, v1
	v_add_co_ci_u32_e64 v2, null, s14, v2, vcc_lo
	global_store_dwordx2 v[1:2], v[3:4], off
.LBB7_8:
	s_or_b32 exec_lo, exec_lo, s1
	s_mov_b32 s1, 0
.LBB7_9:
	s_andn2_b32 vcc_lo, exec_lo, s1
	s_cbranch_vccnz .LBB7_19
; %bb.10:
	s_mov_b32 s0, exec_lo
	v_cmpx_gt_i32_e64 s8, v0
	s_cbranch_execz .LBB7_19
; %bb.11:
	v_mov_b32_e32 v1, 0
	v_mov_b32_e32 v4, 0
	s_cmp_lt_i32 s6, 0
	s_cbranch_scc1 .LBB7_14
; %bb.12:
	s_load_dword s0, s[4:5], 0x58
	s_ashr_i32 s1, s8, 31
	s_mul_hi_u32 s4, s8, s7
	s_mul_i32 s5, s1, s7
	v_mov_b32_e32 v1, 0
	s_add_i32 s4, s4, s5
	s_mul_i32 s5, s8, s7
	v_lshlrev_b64 v[2:3], 3, v[0:1]
	v_mov_b32_e32 v4, v1
	s_waitcnt lgkmcnt(0)
	s_mul_i32 s7, s4, s0
	s_mul_hi_u32 s16, s5, s0
	s_mul_i32 s4, s5, s0
	s_add_i32 s5, s16, s7
	s_lshl_b64 s[16:17], s[4:5], 3
	s_add_i32 s4, s6, 1
	s_add_u32 s0, s2, s16
	s_addc_u32 s2, s3, s17
	v_add_co_u32 v2, vcc_lo, s0, v2
	v_add_co_ci_u32_e64 v3, null, s2, v3, vcc_lo
	s_mov_b32 s0, s8
	v_add_co_u32 v2, vcc_lo, v2, 4
	v_add_co_ci_u32_e64 v3, null, 0, v3, vcc_lo
	s_lshl_b64 s[0:1], s[0:1], 3
.LBB7_13:                               ; =>This Inner Loop Header: Depth=1
	global_load_dwordx2 v[5:6], v[2:3], off offset:-4
	v_add_co_u32 v2, vcc_lo, v2, s0
	v_add_co_ci_u32_e64 v3, null, s1, v3, vcc_lo
	s_add_i32 s4, s4, -1
	s_cmp_eq_u32 s4, 0
	s_waitcnt vmcnt(0)
	v_add_f32_e32 v4, v4, v5
	v_add_f32_e32 v1, v1, v6
	s_cbranch_scc0 .LBB7_13
.LBB7_14:
	v_mul_lo_u32 v2, s15, v0
	v_mul_f32_e32 v0, s10, v1
	v_mul_f32_e32 v1, s9, v1
	v_cmp_neq_f32_e64 s0, s12, 0
	v_cmp_neq_f32_e64 s1, s13, 0
	v_fma_f32 v0, v4, s9, -v0
	v_fmac_f32_e32 v1, s10, v4
	v_ashrrev_i32_e32 v3, 31, v2
	s_or_b32 s0, s0, s1
	s_andn2_b32 vcc_lo, exec_lo, s0
	s_mov_b32 s0, 0
	s_cbranch_vccnz .LBB7_16
; %bb.15:
	s_mov_b32 s0, -1
.LBB7_16:
	s_andn2_b32 vcc_lo, exec_lo, s0
	s_cbranch_vccnz .LBB7_18
; %bb.17:
	v_lshlrev_b64 v[4:5], 3, v[2:3]
	v_add_co_u32 v4, vcc_lo, s11, v4
	v_add_co_ci_u32_e64 v5, null, s14, v5, vcc_lo
	global_load_dwordx2 v[4:5], v[4:5], off
	s_waitcnt vmcnt(0)
	v_mul_f32_e32 v6, s13, v5
	v_mul_f32_e32 v5, s12, v5
	v_fma_f32 v6, v4, s12, -v6
	v_fmac_f32_e32 v5, s13, v4
	v_add_f32_e32 v0, v0, v6
	v_add_f32_e32 v1, v1, v5
.LBB7_18:
	v_lshlrev_b64 v[2:3], 3, v[2:3]
	v_add_co_u32 v2, vcc_lo, s11, v2
	v_add_co_ci_u32_e64 v3, null, s14, v3, vcc_lo
	global_store_dwordx2 v[2:3], v[0:1], off
.LBB7_19:
	s_endpgm
	.section	.rodata,"a",@progbits
	.p2align	6, 0x0
	.amdhsa_kernel _ZL36rocblas_hemvn_kernel_upper_block_sumILi64Ei19rocblas_complex_numIfEPS1_S1_EviT1_lS3_lT2_lT0_lPT3_i
		.amdhsa_group_segment_fixed_size 0
		.amdhsa_private_segment_fixed_size 0
		.amdhsa_kernarg_size 344
		.amdhsa_user_sgpr_count 6
		.amdhsa_user_sgpr_private_segment_buffer 1
		.amdhsa_user_sgpr_dispatch_ptr 0
		.amdhsa_user_sgpr_queue_ptr 0
		.amdhsa_user_sgpr_kernarg_segment_ptr 1
		.amdhsa_user_sgpr_dispatch_id 0
		.amdhsa_user_sgpr_flat_scratch_init 0
		.amdhsa_user_sgpr_private_segment_size 0
		.amdhsa_wavefront_size32 1
		.amdhsa_uses_dynamic_stack 0
		.amdhsa_system_sgpr_private_segment_wavefront_offset 0
		.amdhsa_system_sgpr_workgroup_id_x 1
		.amdhsa_system_sgpr_workgroup_id_y 0
		.amdhsa_system_sgpr_workgroup_id_z 1
		.amdhsa_system_sgpr_workgroup_info 0
		.amdhsa_system_vgpr_workitem_id 0
		.amdhsa_next_free_vgpr 7
		.amdhsa_next_free_sgpr 24
		.amdhsa_reserve_vcc 1
		.amdhsa_reserve_flat_scratch 0
		.amdhsa_float_round_mode_32 0
		.amdhsa_float_round_mode_16_64 0
		.amdhsa_float_denorm_mode_32 3
		.amdhsa_float_denorm_mode_16_64 3
		.amdhsa_dx10_clamp 1
		.amdhsa_ieee_mode 1
		.amdhsa_fp16_overflow 0
		.amdhsa_workgroup_processor_mode 1
		.amdhsa_memory_ordered 1
		.amdhsa_forward_progress 1
		.amdhsa_shared_vgpr_count 0
		.amdhsa_exception_fp_ieee_invalid_op 0
		.amdhsa_exception_fp_denorm_src 0
		.amdhsa_exception_fp_ieee_div_zero 0
		.amdhsa_exception_fp_ieee_overflow 0
		.amdhsa_exception_fp_ieee_underflow 0
		.amdhsa_exception_fp_ieee_inexact 0
		.amdhsa_exception_int_div_zero 0
	.end_amdhsa_kernel
	.section	.text._ZL36rocblas_hemvn_kernel_upper_block_sumILi64Ei19rocblas_complex_numIfEPS1_S1_EviT1_lS3_lT2_lT0_lPT3_i,"axG",@progbits,_ZL36rocblas_hemvn_kernel_upper_block_sumILi64Ei19rocblas_complex_numIfEPS1_S1_EviT1_lS3_lT2_lT0_lPT3_i,comdat
.Lfunc_end7:
	.size	_ZL36rocblas_hemvn_kernel_upper_block_sumILi64Ei19rocblas_complex_numIfEPS1_S1_EviT1_lS3_lT2_lT0_lPT3_i, .Lfunc_end7-_ZL36rocblas_hemvn_kernel_upper_block_sumILi64Ei19rocblas_complex_numIfEPS1_S1_EviT1_lS3_lT2_lT0_lPT3_i
                                        ; -- End function
	.set _ZL36rocblas_hemvn_kernel_upper_block_sumILi64Ei19rocblas_complex_numIfEPS1_S1_EviT1_lS3_lT2_lT0_lPT3_i.num_vgpr, 7
	.set _ZL36rocblas_hemvn_kernel_upper_block_sumILi64Ei19rocblas_complex_numIfEPS1_S1_EviT1_lS3_lT2_lT0_lPT3_i.num_agpr, 0
	.set _ZL36rocblas_hemvn_kernel_upper_block_sumILi64Ei19rocblas_complex_numIfEPS1_S1_EviT1_lS3_lT2_lT0_lPT3_i.numbered_sgpr, 24
	.set _ZL36rocblas_hemvn_kernel_upper_block_sumILi64Ei19rocblas_complex_numIfEPS1_S1_EviT1_lS3_lT2_lT0_lPT3_i.num_named_barrier, 0
	.set _ZL36rocblas_hemvn_kernel_upper_block_sumILi64Ei19rocblas_complex_numIfEPS1_S1_EviT1_lS3_lT2_lT0_lPT3_i.private_seg_size, 0
	.set _ZL36rocblas_hemvn_kernel_upper_block_sumILi64Ei19rocblas_complex_numIfEPS1_S1_EviT1_lS3_lT2_lT0_lPT3_i.uses_vcc, 1
	.set _ZL36rocblas_hemvn_kernel_upper_block_sumILi64Ei19rocblas_complex_numIfEPS1_S1_EviT1_lS3_lT2_lT0_lPT3_i.uses_flat_scratch, 0
	.set _ZL36rocblas_hemvn_kernel_upper_block_sumILi64Ei19rocblas_complex_numIfEPS1_S1_EviT1_lS3_lT2_lT0_lPT3_i.has_dyn_sized_stack, 0
	.set _ZL36rocblas_hemvn_kernel_upper_block_sumILi64Ei19rocblas_complex_numIfEPS1_S1_EviT1_lS3_lT2_lT0_lPT3_i.has_recursion, 0
	.set _ZL36rocblas_hemvn_kernel_upper_block_sumILi64Ei19rocblas_complex_numIfEPS1_S1_EviT1_lS3_lT2_lT0_lPT3_i.has_indirect_call, 0
	.section	.AMDGPU.csdata,"",@progbits
; Kernel info:
; codeLenInByte = 708
; TotalNumSgprs: 26
; NumVgprs: 7
; ScratchSize: 0
; MemoryBound: 0
; FloatMode: 240
; IeeeMode: 1
; LDSByteSize: 0 bytes/workgroup (compile time only)
; SGPRBlocks: 0
; VGPRBlocks: 0
; NumSGPRsForWavesPerEU: 26
; NumVGPRsForWavesPerEU: 7
; Occupancy: 16
; WaveLimiterHint : 0
; COMPUTE_PGM_RSRC2:SCRATCH_EN: 0
; COMPUTE_PGM_RSRC2:USER_SGPR: 6
; COMPUTE_PGM_RSRC2:TRAP_HANDLER: 0
; COMPUTE_PGM_RSRC2:TGID_X_EN: 1
; COMPUTE_PGM_RSRC2:TGID_Y_EN: 0
; COMPUTE_PGM_RSRC2:TGID_Z_EN: 1
; COMPUTE_PGM_RSRC2:TIDIG_COMP_CNT: 0
	.section	.text._ZL26rocblas_hemvn_kernel_lowerILb1ELi64ELi4ELi33ELi32ELi16ElPK19rocblas_complex_numIfES3_PS1_EviT6_lT7_lT5_lS6_lS7_lS5_lT8_i,"axG",@progbits,_ZL26rocblas_hemvn_kernel_lowerILb1ELi64ELi4ELi33ELi32ELi16ElPK19rocblas_complex_numIfES3_PS1_EviT6_lT7_lT5_lS6_lS7_lS5_lT8_i,comdat
	.globl	_ZL26rocblas_hemvn_kernel_lowerILb1ELi64ELi4ELi33ELi32ELi16ElPK19rocblas_complex_numIfES3_PS1_EviT6_lT7_lT5_lS6_lS7_lS5_lT8_i ; -- Begin function _ZL26rocblas_hemvn_kernel_lowerILb1ELi64ELi4ELi33ELi32ELi16ElPK19rocblas_complex_numIfES3_PS1_EviT6_lT7_lT5_lS6_lS7_lS5_lT8_i
	.p2align	8
	.type	_ZL26rocblas_hemvn_kernel_lowerILb1ELi64ELi4ELi33ELi32ELi16ElPK19rocblas_complex_numIfES3_PS1_EviT6_lT7_lT5_lS6_lS7_lS5_lT8_i,@function
_ZL26rocblas_hemvn_kernel_lowerILb1ELi64ELi4ELi33ELi32ELi16ElPK19rocblas_complex_numIfES3_PS1_EviT6_lT7_lT5_lS6_lS7_lS5_lT8_i: ; @_ZL26rocblas_hemvn_kernel_lowerILb1ELi64ELi4ELi33ELi32ELi16ElPK19rocblas_complex_numIfES3_PS1_EviT6_lT7_lT5_lS6_lS7_lS5_lT8_i
; %bb.0:
	s_load_dwordx2 s[2:3], s[4:5], 0x84
	s_add_u32 s0, s4, 0x78
	s_addc_u32 s1, s5, 0
	s_waitcnt lgkmcnt(0)
	s_lshr_b32 s8, s2, 16
	s_and_b32 s2, s2, 0xffff
	s_and_b32 s3, s3, 0xffff
	s_mul_i32 s2, s8, s2
	s_mul_i32 s2, s2, s3
	s_cmpk_lg_i32 s2, 0x100
	s_cbranch_scc1 .LBB8_151
; %bb.1:
	s_load_dwordx16 s[8:23], s[4:5], 0x8
	s_waitcnt lgkmcnt(0)
	s_mul_i32 s2, s11, s7
	s_mul_hi_u32 s3, s10, s7
	s_add_i32 s3, s3, s2
	s_mul_i32 s2, s10, s7
	s_lshl_b64 s[2:3], s[2:3], 3
	s_add_u32 s2, s8, s2
	s_addc_u32 s3, s9, s3
	s_load_dwordx2 s[2:3], s[2:3], 0x0
	s_clause 0x1
	s_load_dwordx2 s[10:11], s[4:5], 0x68
	s_load_dwordx8 s[24:31], s[4:5], 0x48
	s_waitcnt lgkmcnt(0)
	s_or_b32 s2, s2, s3
	s_mov_b32 s3, -1
	s_bitset0_b32 s2, 31
	s_cmp_lg_u32 s2, 0
	s_cselect_b32 s2, -1, 0
	s_and_b32 vcc_lo, exec_lo, s2
	s_cbranch_vccnz .LBB8_3
; %bb.2:
	s_mul_i32 s3, s31, s7
	s_mul_hi_u32 s9, s30, s7
	s_mul_i32 s8, s30, s7
	s_add_i32 s9, s9, s3
	s_lshl_b64 s[8:9], s[8:9], 3
	s_add_u32 s8, s28, s8
	s_addc_u32 s9, s29, s9
	s_load_dwordx2 s[8:9], s[8:9], 0x0
	s_waitcnt lgkmcnt(0)
	v_cmp_neq_f32_e64 s3, s8, 1.0
	v_cmp_neq_f32_e64 s8, s9, 0
	s_or_b32 s3, s3, s8
.LBB8_3:
	s_andn2_b32 vcc_lo, exec_lo, s3
	s_cbranch_vccnz .LBB8_151
; %bb.4:
	s_andn2_b32 vcc_lo, exec_lo, s2
	s_cbranch_vccnz .LBB8_151
; %bb.5:
	s_mul_i32 s3, s27, s7
	s_mul_hi_u32 s8, s26, s7
	s_mul_i32 s2, s26, s7
	s_add_i32 s3, s8, s3
	s_load_dword s26, s[4:5], 0x0
	s_lshl_b64 s[2:3], s[2:3], 3
	s_load_dword s27, s[0:1], 0x0
	s_add_u32 s8, s20, s2
	s_addc_u32 s9, s21, s3
	s_lshl_b64 s[2:3], s[22:23], 3
	s_add_u32 s2, s8, s2
	s_addc_u32 s3, s9, s3
	s_lshl_b32 s20, s6, 6
	v_add_nc_u32_e32 v34, s20, v0
	v_ashrrev_i32_e32 v35, 31, v34
	v_mul_lo_u32 v4, s25, v34
	v_mad_u64_u32 v[2:3], null, s24, v34, 0
	s_waitcnt lgkmcnt(0)
	s_ashr_i32 s28, s26, 31
	v_mul_lo_u32 v5, s24, v35
	s_lshr_b32 s0, s28, 26
	s_add_i32 s4, s27, -1
	s_add_i32 s1, s26, s0
	v_cmp_ne_u32_e64 s0, 0, v1
	s_andn2_b32 s1, s1, 63
	s_sub_i32 s5, s26, s1
	v_add3_u32 v3, v3, v5, v4
	v_cmp_eq_u32_e64 s1, 0, v1
	s_cmp_eq_u32 s6, s4
	s_cselect_b32 s22, s5, 0
	v_lshlrev_b64 v[2:3], 3, v[2:3]
	v_add_co_u32 v18, vcc_lo, s2, v2
	v_add_co_ci_u32_e64 v19, null, s3, v3, vcc_lo
	s_mov_b32 s2, -1
	s_and_saveexec_b32 s3, s1
	s_cbranch_execz .LBB8_10
; %bb.6:
	v_cmp_le_i32_e32 vcc_lo, s22, v0
	s_cmp_lg_u32 s22, 0
	v_lshl_add_u32 v2, v0, 3, 0x2380
	s_cselect_b32 s4, -1, 0
	s_and_b32 s4, s4, vcc_lo
	s_and_saveexec_b32 s5, s4
	s_xor_b32 s4, exec_lo, s5
; %bb.7:
	v_mov_b32_e32 v3, 0
	v_mov_b32_e32 v4, v3
	ds_write_b64 v2, v[3:4]
                                        ; implicit-def: $vgpr2
; %bb.8:
	s_andn2_saveexec_b32 s4, s4
	s_cbranch_execz .LBB8_10
; %bb.9:
	global_load_dwordx2 v[3:4], v[18:19], off
	s_waitcnt vmcnt(0)
	ds_write_b64 v2, v[3:4]
.LBB8_10:
	s_or_b32 exec_lo, exec_lo, s3
	v_lshl_add_u32 v24, v1, 6, v0
	v_and_b32_e32 v2, 31, v0
	v_mov_b32_e32 v3, 0
	s_mul_i32 s3, s19, s7
	s_mul_hi_u32 s5, s18, s7
	v_lshrrev_b32_e32 v7, 5, v24
	s_mul_i32 s4, s18, s7
	s_add_i32 s5, s5, s3
	s_mul_hi_u32 s9, s16, s20
	s_lshl_b64 s[4:5], s[4:5], 3
	v_mad_u64_u32 v[3:4], null, s16, v7, v[2:3]
	s_add_u32 s3, s12, s4
	s_addc_u32 s8, s13, s5
	s_lshl_b64 s[4:5], s[14:15], 3
	s_mul_i32 s12, s17, s20
	s_add_u32 s3, s3, s4
	s_addc_u32 s8, s8, s5
	v_mad_u64_u32 v[4:5], null, s17, v7, v[4:5]
	s_ashr_i32 s21, s20, 31
	s_lshl_b64 s[4:5], s[20:21], 3
	s_mul_i32 s13, s16, s21
	s_add_u32 s3, s3, s4
	s_addc_u32 s8, s8, s5
	v_lshlrev_b64 v[20:21], 3, v[3:4]
	s_add_i32 s5, s9, s13
	s_mul_i32 s4, s16, s20
	s_add_i32 s5, s5, s12
	s_lshl_b64 s[12:13], s[4:5], 3
	v_add_co_u32 v3, vcc_lo, s3, v20
	v_add_co_ci_u32_e64 v4, null, s8, v21, vcc_lo
	s_cmp_lg_u32 s22, 0
	v_add_co_u32 v3, vcc_lo, v3, s12
	v_add_co_ci_u32_e64 v4, null, s13, v4, vcc_lo
	s_cselect_b32 s18, -1, 0
	s_cmp_eq_u32 s22, 0
	s_cselect_b32 s9, -1, 0
	s_and_b32 vcc_lo, exec_lo, s18
	s_cbranch_vccnz .LBB8_12
; %bb.11:
	s_lshl_b64 s[2:3], s[16:17], 6
	v_mul_u32_u24_e32 v14, 0x108, v7
	v_add_co_u32 v5, vcc_lo, v3, s2
	v_add_co_ci_u32_e64 v6, null, s3, v4, vcc_lo
	v_lshl_add_u32 v14, v2, 3, v14
	v_add_co_u32 v8, vcc_lo, v5, s2
	v_add_co_ci_u32_e64 v9, null, s3, v6, vcc_lo
	v_add_co_u32 v10, vcc_lo, v8, s2
	v_add_co_ci_u32_e64 v11, null, s3, v9, vcc_lo
	s_clause 0x3
	global_load_dwordx2 v[12:13], v[3:4], off
	global_load_dwordx2 v[5:6], v[5:6], off
	;; [unrolled: 1-line block ×4, first 2 shown]
	s_mov_b32 s2, 0
	s_waitcnt vmcnt(3)
	ds_write_b64 v14, v[12:13]
	s_waitcnt vmcnt(2)
	ds_write_b64 v14, v[5:6] offset:2112
	s_waitcnt vmcnt(1)
	ds_write_b64 v14, v[8:9] offset:4224
	;; [unrolled: 2-line block ×3, first 2 shown]
.LBB8_12:
	v_lshlrev_b32_e32 v8, 3, v2
	s_andn2_b32 vcc_lo, exec_lo, s2
	s_cbranch_vccnz .LBB8_30
; %bb.13:
	v_lshlrev_b32_e32 v9, 3, v2
	s_ashr_i32 s23, s22, 31
	v_cmp_le_i32_e64 s2, s22, v7
	s_lshl_b64 s[4:5], s[22:23], 3
	v_mul_u32_u24_e32 v10, 0x108, v7
	v_sub_co_u32 v5, vcc_lo, v3, v9
	v_subrev_co_ci_u32_e64 v6, null, 0, v4, vcc_lo
	v_add_co_u32 v5, vcc_lo, v5, s4
	v_add_co_ci_u32_e64 v6, null, s5, v6, vcc_lo
	v_add_co_u32 v5, vcc_lo, v5, -8
	v_add_co_ci_u32_e64 v6, null, -1, v6, vcc_lo
	v_cmp_gt_i32_e32 vcc_lo, s22, v2
	v_cndmask_b32_e32 v6, v6, v4, vcc_lo
	v_cndmask_b32_e32 v5, v5, v3, vcc_lo
	s_and_saveexec_b32 s3, s2
	s_xor_b32 s2, exec_lo, s3
	s_cbranch_execz .LBB8_15
; %bb.14:
	v_mov_b32_e32 v11, 0
	v_add_nc_u32_e32 v13, v8, v10
	v_mov_b32_e32 v12, v11
	ds_write_b64 v13, v[11:12]
.LBB8_15:
	s_andn2_saveexec_b32 s2, s2
	s_cbranch_execz .LBB8_17
; %bb.16:
	global_load_dwordx2 v[11:12], v[5:6], off
	v_add_nc_u32_e32 v13, v8, v10
	s_waitcnt vmcnt(0)
	ds_write_b64 v13, v[11:12]
.LBB8_17:
	s_or_b32 exec_lo, exec_lo, s2
	v_add_nc_u32_e32 v11, 8, v7
	v_cmp_le_i32_e64 s2, s22, v11
	s_and_saveexec_b32 s3, s2
	s_xor_b32 s2, exec_lo, s3
	s_cbranch_execz .LBB8_19
; %bb.18:
	v_mov_b32_e32 v11, 0
	v_add_nc_u32_e32 v13, v10, v8
	v_mov_b32_e32 v12, v11
	ds_write_b64 v13, v[11:12] offset:2112
.LBB8_19:
	s_andn2_saveexec_b32 s3, s2
	s_cbranch_execz .LBB8_21
; %bb.20:
	s_lshl_b64 s[14:15], s[16:17], 6
	v_add_nc_u32_e32 v13, v10, v8
	v_add_co_u32 v11, s2, v5, s14
	v_add_co_ci_u32_e64 v12, null, s15, v6, s2
	global_load_dwordx2 v[11:12], v[11:12], off
	s_waitcnt vmcnt(0)
	ds_write_b64 v13, v[11:12] offset:2112
.LBB8_21:
	s_or_b32 exec_lo, exec_lo, s3
	v_add_nc_u32_e32 v11, 16, v7
	v_cmp_le_i32_e64 s2, s22, v11
	s_and_saveexec_b32 s3, s2
	s_xor_b32 s2, exec_lo, s3
	s_cbranch_execz .LBB8_23
; %bb.22:
	v_mov_b32_e32 v11, 0
	v_add_nc_u32_e32 v13, v10, v8
	v_mov_b32_e32 v12, v11
	ds_write_b64 v13, v[11:12] offset:4224
.LBB8_23:
	s_andn2_saveexec_b32 s3, s2
	s_cbranch_execz .LBB8_25
; %bb.24:
	s_lshl_b64 s[14:15], s[16:17], 7
	v_add_nc_u32_e32 v13, v10, v8
	v_add_co_u32 v11, s2, v5, s14
	v_add_co_ci_u32_e64 v12, null, s15, v6, s2
	global_load_dwordx2 v[11:12], v[11:12], off
	s_waitcnt vmcnt(0)
	ds_write_b64 v13, v[11:12] offset:4224
.LBB8_25:
	s_or_b32 exec_lo, exec_lo, s3
	v_add_nc_u32_e32 v11, 24, v7
	v_cmp_le_i32_e64 s2, s22, v11
	s_and_saveexec_b32 s3, s2
	s_xor_b32 s2, exec_lo, s3
	s_cbranch_execz .LBB8_27
; %bb.26:
	v_mov_b32_e32 v11, 0
	v_add_nc_u32_e32 v10, v10, v8
	v_mov_b32_e32 v12, v11
	ds_write_b64 v10, v[11:12] offset:6336
                                        ; implicit-def: $vgpr10
.LBB8_27:
	s_andn2_saveexec_b32 s2, s2
	s_cbranch_execz .LBB8_29
; %bb.28:
	v_mad_u64_u32 v[11:12], null, 0xc0, s16, v[5:6]
	v_add_nc_u32_e32 v10, v10, v8
	v_mad_u64_u32 v[12:13], null, 0xc0, s17, v[12:13]
	global_load_dwordx2 v[11:12], v[11:12], off
	s_waitcnt vmcnt(0)
	ds_write_b64 v10, v[11:12] offset:6336
.LBB8_29:
	s_or_b32 exec_lo, exec_lo, s2
	v_add_co_u32 v5, s2, v5, v9
	v_add_co_ci_u32_e64 v6, null, 0, v6, s2
	v_sub_co_u32 v5, s2, v5, s4
	v_subrev_co_ci_u32_e64 v6, null, s5, v6, s2
	v_add_co_u32 v5, s2, v5, 8
	v_add_co_ci_u32_e64 v6, null, 0, v6, s2
	v_cndmask_b32_e32 v3, v5, v3, vcc_lo
	v_cndmask_b32_e32 v4, v6, v4, vcc_lo
.LBB8_30:
	v_lshlrev_b32_e32 v5, 2, v7
	v_mul_u32_u24_e32 v6, 0x108, v2
	s_mov_b32 s2, 0
	s_waitcnt lgkmcnt(0)
	s_barrier
	v_cmp_ge_u32_e64 s3, v5, v2
	buffer_gl0_inv
                                        ; implicit-def: $vgpr9
	s_and_saveexec_b32 s4, s3
	s_xor_b32 s4, exec_lo, s4
	s_cbranch_execz .LBB8_34
; %bb.31:
	s_mov_b32 s5, exec_lo
                                        ; implicit-def: $vgpr9
	v_cmpx_eq_u32_e64 v5, v2
	s_xor_b32 s5, exec_lo, s5
; %bb.32:
	v_add_nc_u32_e32 v9, v8, v6
	s_mov_b32 s2, exec_lo
; %bb.33:
	s_or_b32 exec_lo, exec_lo, s5
	s_and_b32 s2, s2, exec_lo
.LBB8_34:
	s_or_saveexec_b32 s4, s4
	v_lshl_or_b32 v14, v2, 8, v8
	v_mov_b32_e32 v10, 0
	v_mad_u32_u24 v12, 0x420, v7, v8
	s_xor_b32 exec_lo, exec_lo, s4
	s_cbranch_execz .LBB8_36
; %bb.35:
	ds_read_b64 v[15:16], v12
	v_lshl_add_u32 v9, v5, 3, v14
	s_or_b32 s2, s2, exec_lo
	s_waitcnt lgkmcnt(0)
	v_xor_b32_e32 v10, 0x80000000, v16
	ds_write_b32 v9, v15
.LBB8_36:
	s_or_b32 exec_lo, exec_lo, s4
	s_and_saveexec_b32 s4, s2
; %bb.37:
	ds_write_b32 v9, v10 offset:4
; %bb.38:
	s_or_b32 exec_lo, exec_lo, s4
	v_or_b32_e32 v9, 1, v5
	s_mov_b32 s2, 0
                                        ; implicit-def: $vgpr10
	v_cmp_ge_u32_e64 s4, v9, v2
	s_and_saveexec_b32 s5, s4
	s_xor_b32 s5, exec_lo, s5
	s_cbranch_execz .LBB8_42
; %bb.39:
	s_mov_b32 s8, exec_lo
                                        ; implicit-def: $vgpr10
	v_cmpx_eq_u32_e64 v9, v2
; %bb.40:
	v_add_nc_u32_e32 v10, v8, v6
	s_mov_b32 s2, exec_lo
; %bb.41:
	s_or_b32 exec_lo, exec_lo, s8
	s_and_b32 s2, s2, exec_lo
.LBB8_42:
	s_or_saveexec_b32 s5, s5
	v_mov_b32_e32 v11, 0
	v_mad_u32_u24 v13, 0x108, v9, v8
	s_xor_b32 exec_lo, exec_lo, s5
	s_cbranch_execz .LBB8_44
; %bb.43:
	ds_read_b64 v[15:16], v13
	v_lshl_add_u32 v17, v5, 3, v14
	s_or_b32 s2, s2, exec_lo
	v_add_nc_u32_e32 v10, 8, v17
	s_waitcnt lgkmcnt(0)
	v_xor_b32_e32 v11, 0x80000000, v16
	ds_write_b32 v17, v15 offset:8
.LBB8_44:
	s_or_b32 exec_lo, exec_lo, s5
	s_and_saveexec_b32 s5, s2
; %bb.45:
	ds_write_b32 v10, v11 offset:4
; %bb.46:
	s_or_b32 exec_lo, exec_lo, s5
	v_or_b32_e32 v10, 2, v5
	s_mov_b32 s2, 0
                                        ; implicit-def: $vgpr11
	v_cmp_ge_u32_e64 s5, v10, v2
	s_and_saveexec_b32 s8, s5
	s_xor_b32 s8, exec_lo, s8
	s_cbranch_execnz .LBB8_104
; %bb.47:
	s_or_saveexec_b32 s8, s8
	v_mov_b32_e32 v15, 0
	s_xor_b32 exec_lo, exec_lo, s8
	s_cbranch_execnz .LBB8_107
.LBB8_48:
	s_or_b32 exec_lo, exec_lo, s8
	s_and_saveexec_b32 s8, s2
.LBB8_49:
	ds_write_b32 v11, v15 offset:4
.LBB8_50:
	s_or_b32 exec_lo, exec_lo, s8
	v_or_b32_e32 v11, 3, v5
	s_mov_b32 s2, 0
                                        ; implicit-def: $vgpr15
	v_cmp_ge_u32_e64 s8, v11, v2
	s_and_saveexec_b32 s14, s8
	s_xor_b32 s14, exec_lo, s14
	s_cbranch_execnz .LBB8_108
; %bb.51:
	s_or_saveexec_b32 s14, s14
	v_mov_b32_e32 v16, 0
	s_xor_b32 exec_lo, exec_lo, s14
	s_cbranch_execnz .LBB8_111
.LBB8_52:
	s_or_b32 exec_lo, exec_lo, s14
	s_and_saveexec_b32 s14, s2
.LBB8_53:
	ds_write_b32 v15, v16 offset:4
.LBB8_54:
	s_or_b32 exec_lo, exec_lo, s14
	v_lshlrev_b32_e32 v15, 3, v5
	s_waitcnt lgkmcnt(0)
	s_barrier
	buffer_gl0_inv
	ds_read_b64 v[16:17], v12
	ds_read_b128 v[25:28], v15 offset:9088
	ds_read2_b64 v[29:32], v13 offset1:33
	ds_read_b128 v[36:39], v15 offset:9104
	ds_read_b64 v[12:13], v13 offset:528
	v_mul_u32_u24_e32 v14, 33, v2
	v_cmp_gt_u32_e64 s2, 32, v24
	s_waitcnt lgkmcnt(0)
	s_barrier
	buffer_gl0_inv
	v_mul_f32_e32 v22, v26, v17
	v_mul_f32_e32 v17, v25, v17
	;; [unrolled: 1-line block ×5, first 2 shown]
	v_fma_f32 v22, v25, v16, -v22
	v_fmac_f32_e32 v17, v26, v16
	v_mul_f32_e32 v32, v36, v32
	v_fma_f32 v23, v27, v29, -v23
	v_fmac_f32_e32 v30, v28, v29
	v_add_f32_e32 v22, 0, v22
	v_add_f32_e32 v17, 0, v17
	v_mul_f32_e32 v16, v39, v13
	v_mul_f32_e32 v13, v38, v13
	v_fma_f32 v26, v36, v31, -v33
	v_fmac_f32_e32 v32, v37, v31
	v_add_f32_e32 v22, v22, v23
	v_add_f32_e32 v17, v17, v30
	v_lshlrev_b32_e32 v25, 3, v14
	v_fma_f32 v14, v38, v12, -v16
	v_fmac_f32_e32 v13, v39, v12
	v_add_f32_e32 v12, v22, v26
	v_add_f32_e32 v16, v17, v32
	v_mov_b32_e32 v36, 0
	v_lshl_add_u32 v26, v7, 3, v25
	v_mov_b32_e32 v37, 0
	v_add_f32_e32 v12, v12, v14
	v_add_f32_e32 v13, v16, v13
	ds_write_b64 v26, v[12:13]
	s_waitcnt lgkmcnt(0)
	s_barrier
	buffer_gl0_inv
	s_and_saveexec_b32 s14, s2
	s_cbranch_execz .LBB8_56
; %bb.55:
	ds_read2_b64 v[27:30], v25 offset1:7
	ds_read2_b64 v[36:39], v25 offset0:1 offset1:2
	ds_read2_b64 v[40:43], v25 offset0:3 offset1:4
	;; [unrolled: 1-line block ×3, first 2 shown]
	s_waitcnt lgkmcnt(2)
	v_add_f32_e32 v12, v36, v27
	v_add_f32_e32 v13, v37, v28
	v_add_f32_e32 v12, v38, v12
	v_add_f32_e32 v13, v39, v13
	s_waitcnt lgkmcnt(1)
	v_add_f32_e32 v12, v12, v40
	v_add_f32_e32 v13, v13, v41
	v_add_f32_e32 v12, v12, v42
	v_add_f32_e32 v13, v13, v43
	;; [unrolled: 5-line block ×3, first 2 shown]
	v_add_f32_e32 v36, v12, v29
	v_add_f32_e32 v37, v13, v30
.LBB8_56:
	s_or_b32 exec_lo, exec_lo, s14
	s_lshl_b64 s[14:15], s[16:17], 8
	v_cndmask_b32_e64 v12, 0, 1, s9
	v_add_co_u32 v3, vcc_lo, v3, s14
	v_add_co_ci_u32_e64 v4, null, s15, v4, vcc_lo
	v_add_co_u32 v13, vcc_lo, 0x100, v3
	v_add_co_ci_u32_e64 v14, null, 0, v4, vcc_lo
	s_andn2_b32 vcc_lo, exec_lo, s9
	s_mov_b32 s9, -1
	s_barrier
	buffer_gl0_inv
	s_cbranch_vccnz .LBB8_58
; %bb.57:
	s_lshl_b64 s[14:15], s[16:17], 6
	v_mad_u32_u24 v31, 0x108, v7, v8
	v_add_co_u32 v16, vcc_lo, v3, s14
	v_add_co_ci_u32_e64 v17, null, s15, v4, vcc_lo
	s_mov_b32 s9, 0
	v_add_co_u32 v22, vcc_lo, v16, s14
	v_add_co_ci_u32_e64 v23, null, s15, v17, vcc_lo
	v_add_co_u32 v27, vcc_lo, v22, s14
	v_add_co_ci_u32_e64 v28, null, s15, v23, vcc_lo
	s_clause 0x3
	global_load_dwordx2 v[29:30], v[3:4], off offset:256
	global_load_dwordx2 v[16:17], v[16:17], off offset:256
	;; [unrolled: 1-line block ×4, first 2 shown]
	s_waitcnt vmcnt(3)
	ds_write_b64 v31, v[29:30]
	s_waitcnt vmcnt(2)
	ds_write_b64 v31, v[16:17] offset:2112
	s_waitcnt vmcnt(1)
	ds_write_b64 v31, v[22:23] offset:4224
	;; [unrolled: 2-line block ×3, first 2 shown]
.LBB8_58:
	s_andn2_b32 vcc_lo, exec_lo, s9
	s_cbranch_vccnz .LBB8_76
; %bb.59:
	v_lshlrev_b32_e32 v16, 3, v2
	s_ashr_i32 s23, s22, 31
	v_or_b32_e32 v17, 32, v2
	s_lshl_b64 s[14:15], s[22:23], 3
	s_sub_i32 s19, s22, 32
	v_sub_co_u32 v3, vcc_lo, v3, v16
	v_subrev_co_ci_u32_e64 v4, null, 0, v4, vcc_lo
	v_cmp_le_i32_e64 s9, s19, v7
	v_add_co_u32 v3, vcc_lo, v3, s14
	v_add_co_ci_u32_e64 v4, null, s15, v4, vcc_lo
	v_add_co_u32 v3, vcc_lo, v3, -8
	v_add_co_ci_u32_e64 v4, null, -1, v4, vcc_lo
	v_cmp_gt_i32_e32 vcc_lo, s22, v17
	v_mul_u32_u24_e32 v17, 0x108, v7
	v_cndmask_b32_e32 v4, v4, v14, vcc_lo
	v_cndmask_b32_e32 v3, v3, v13, vcc_lo
	s_and_saveexec_b32 s23, s9
	s_xor_b32 s9, exec_lo, s23
	s_cbranch_execz .LBB8_61
; %bb.60:
	v_mov_b32_e32 v22, 0
	v_add_nc_u32_e32 v27, v8, v17
	v_mov_b32_e32 v23, v22
	ds_write_b64 v27, v[22:23]
.LBB8_61:
	s_andn2_saveexec_b32 s9, s9
	s_cbranch_execz .LBB8_63
; %bb.62:
	global_load_dwordx2 v[22:23], v[3:4], off
	v_add_nc_u32_e32 v27, v8, v17
	s_waitcnt vmcnt(0)
	ds_write_b64 v27, v[22:23]
.LBB8_63:
	s_or_b32 exec_lo, exec_lo, s9
	v_add_nc_u32_e32 v22, 8, v7
	v_cmp_le_i32_e64 s9, s19, v22
	s_and_saveexec_b32 s23, s9
	s_xor_b32 s9, exec_lo, s23
	s_cbranch_execz .LBB8_65
; %bb.64:
	v_mov_b32_e32 v22, 0
	v_add_nc_u32_e32 v27, v17, v8
	v_mov_b32_e32 v23, v22
	ds_write_b64 v27, v[22:23] offset:2112
.LBB8_65:
	s_andn2_saveexec_b32 s23, s9
	s_cbranch_execz .LBB8_67
; %bb.66:
	s_lshl_b64 s[30:31], s[16:17], 6
	v_add_nc_u32_e32 v27, v17, v8
	v_add_co_u32 v22, s9, v3, s30
	v_add_co_ci_u32_e64 v23, null, s31, v4, s9
	global_load_dwordx2 v[22:23], v[22:23], off
	s_waitcnt vmcnt(0)
	ds_write_b64 v27, v[22:23] offset:2112
.LBB8_67:
	s_or_b32 exec_lo, exec_lo, s23
	v_add_nc_u32_e32 v22, 16, v7
	v_cmp_le_i32_e64 s9, s19, v22
	s_and_saveexec_b32 s23, s9
	s_xor_b32 s9, exec_lo, s23
	s_cbranch_execz .LBB8_69
; %bb.68:
	v_mov_b32_e32 v22, 0
	v_add_nc_u32_e32 v27, v17, v8
	v_mov_b32_e32 v23, v22
	ds_write_b64 v27, v[22:23] offset:4224
.LBB8_69:
	s_andn2_saveexec_b32 s23, s9
	s_cbranch_execz .LBB8_71
; %bb.70:
	s_lshl_b64 s[30:31], s[16:17], 7
	v_add_nc_u32_e32 v27, v17, v8
	v_add_co_u32 v22, s9, v3, s30
	v_add_co_ci_u32_e64 v23, null, s31, v4, s9
	global_load_dwordx2 v[22:23], v[22:23], off
	s_waitcnt vmcnt(0)
	ds_write_b64 v27, v[22:23] offset:4224
.LBB8_71:
	s_or_b32 exec_lo, exec_lo, s23
	v_add_nc_u32_e32 v22, 24, v7
	v_cmp_le_i32_e64 s9, s19, v22
	s_and_saveexec_b32 s19, s9
	s_xor_b32 s9, exec_lo, s19
	s_cbranch_execz .LBB8_73
; %bb.72:
	v_mov_b32_e32 v22, 0
	v_add_nc_u32_e32 v17, v17, v8
	v_mov_b32_e32 v23, v22
	ds_write_b64 v17, v[22:23] offset:6336
                                        ; implicit-def: $vgpr17
.LBB8_73:
	s_andn2_saveexec_b32 s9, s9
	s_cbranch_execz .LBB8_75
; %bb.74:
	v_mad_u64_u32 v[22:23], null, 0xc0, s16, v[3:4]
	v_add_nc_u32_e32 v17, v17, v8
	v_mad_u64_u32 v[27:28], null, 0xc0, s17, v[23:24]
	v_mov_b32_e32 v23, v27
	global_load_dwordx2 v[22:23], v[22:23], off
	s_waitcnt vmcnt(0)
	ds_write_b64 v17, v[22:23] offset:6336
.LBB8_75:
	s_or_b32 exec_lo, exec_lo, s9
	v_add_co_u32 v3, s9, v3, v16
	v_add_co_ci_u32_e64 v4, null, 0, v4, s9
	v_sub_co_u32 v3, s9, v3, s14
	v_subrev_co_ci_u32_e64 v4, null, s15, v4, s9
	v_add_co_u32 v3, s9, 0x108, v3
	v_add_co_ci_u32_e64 v4, null, 0, v4, s9
	v_cndmask_b32_e32 v13, v3, v13, vcc_lo
	v_cndmask_b32_e32 v14, v4, v14, vcc_lo
.LBB8_76:
	v_mul_u32_u24_e32 v3, 0x420, v7
	v_add_nc_u32_e32 v4, 0x2380, v15
	v_mul_u32_u24_e32 v15, 0x108, v9
	s_lshl_b64 s[14:15], s[16:17], 5
	s_mov_b32 s9, 0
	s_waitcnt lgkmcnt(0)
	s_barrier
	buffer_gl0_inv
                                        ; implicit-def: $vgpr16
	s_and_saveexec_b32 s19, s3
	s_xor_b32 s3, exec_lo, s19
	s_cbranch_execz .LBB8_80
; %bb.77:
	s_mov_b32 s19, exec_lo
                                        ; implicit-def: $vgpr16
	v_cmpx_eq_u32_e64 v5, v2
	s_xor_b32 s19, exec_lo, s19
; %bb.78:
	s_mov_b32 s9, exec_lo
	v_add_nc_u32_e32 v16, v8, v6
; %bb.79:
	s_or_b32 exec_lo, exec_lo, s19
	s_and_b32 s9, s9, exec_lo
.LBB8_80:
	s_or_saveexec_b32 s3, s3
	v_mov_b32_e32 v17, 0
	v_add_nc_u32_e32 v3, v8, v3
	s_xor_b32 exec_lo, exec_lo, s3
	s_cbranch_execz .LBB8_82
; %bb.81:
	ds_read_b64 v[22:23], v3
	v_lshl_add_u32 v16, v5, 3, v25
	s_or_b32 s9, s9, exec_lo
	s_waitcnt lgkmcnt(0)
	v_xor_b32_e32 v17, 0x80000000, v23
	ds_write_b32 v16, v22
.LBB8_82:
	s_or_b32 exec_lo, exec_lo, s3
	s_and_saveexec_b32 s3, s9
; %bb.83:
	ds_write_b32 v16, v17 offset:4
; %bb.84:
	s_or_b32 exec_lo, exec_lo, s3
	s_mov_b32 s3, 0
                                        ; implicit-def: $vgpr16
	s_and_saveexec_b32 s9, s4
	s_xor_b32 s4, exec_lo, s9
	s_cbranch_execz .LBB8_88
; %bb.85:
	s_mov_b32 s9, exec_lo
                                        ; implicit-def: $vgpr16
	v_cmpx_eq_u32_e64 v9, v2
; %bb.86:
	v_add_nc_u32_e32 v16, v8, v6
	s_mov_b32 s3, exec_lo
; %bb.87:
	s_or_b32 exec_lo, exec_lo, s9
	s_and_b32 s3, s3, exec_lo
.LBB8_88:
	s_or_saveexec_b32 s4, s4
	v_mov_b32_e32 v17, 0
	v_add_nc_u32_e32 v9, v8, v15
	s_xor_b32 exec_lo, exec_lo, s4
	s_cbranch_execz .LBB8_90
; %bb.89:
	ds_read_b64 v[15:16], v9
	v_lshl_add_u32 v22, v5, 3, v25
	s_or_b32 s3, s3, exec_lo
	s_waitcnt lgkmcnt(0)
	v_xor_b32_e32 v17, 0x80000000, v16
	v_add_nc_u32_e32 v16, 8, v22
	ds_write_b32 v22, v15 offset:8
.LBB8_90:
	s_or_b32 exec_lo, exec_lo, s4
	s_and_saveexec_b32 s4, s3
; %bb.91:
	ds_write_b32 v16, v17 offset:4
; %bb.92:
	s_or_b32 exec_lo, exec_lo, s4
	s_mov_b32 s3, 0
                                        ; implicit-def: $vgpr15
	s_and_saveexec_b32 s4, s5
	s_xor_b32 s4, exec_lo, s4
	s_cbranch_execnz .LBB8_112
; %bb.93:
	s_or_saveexec_b32 s4, s4
	v_mov_b32_e32 v10, 0
	s_xor_b32 exec_lo, exec_lo, s4
	s_cbranch_execnz .LBB8_115
.LBB8_94:
	s_or_b32 exec_lo, exec_lo, s4
	s_and_saveexec_b32 s4, s3
.LBB8_95:
	ds_write_b32 v15, v10 offset:4
.LBB8_96:
	s_or_b32 exec_lo, exec_lo, s4
	s_mov_b32 s3, 0
                                        ; implicit-def: $vgpr10
	s_and_saveexec_b32 s4, s8
	s_xor_b32 s4, exec_lo, s4
	s_cbranch_execnz .LBB8_116
; %bb.97:
	s_or_saveexec_b32 s4, s4
	v_mov_b32_e32 v6, 0
	s_xor_b32 exec_lo, exec_lo, s4
	s_cbranch_execnz .LBB8_119
.LBB8_98:
	s_or_b32 exec_lo, exec_lo, s4
	s_and_saveexec_b32 s4, s3
.LBB8_99:
	ds_write_b32 v10, v6 offset:4
.LBB8_100:
	s_or_b32 exec_lo, exec_lo, s4
	s_waitcnt lgkmcnt(0)
	s_barrier
	buffer_gl0_inv
	ds_read_b64 v[10:11], v3
	ds_read_b128 v[27:30], v4 offset:256
	ds_read2_b64 v[38:41], v9 offset1:33
	ds_read_b128 v[42:45], v4 offset:272
	ds_read_b64 v[15:16], v9 offset:528
	v_cmp_eq_u32_e64 s3, 1, v7
	s_waitcnt lgkmcnt(0)
	s_barrier
	buffer_gl0_inv
	v_mul_f32_e32 v3, v28, v11
	v_mul_f32_e32 v6, v27, v11
	;; [unrolled: 1-line block ×5, first 2 shown]
	v_fma_f32 v3, v27, v10, -v3
	v_fmac_f32_e32 v6, v28, v10
	v_mul_f32_e32 v22, v42, v41
	v_fma_f32 v9, v29, v38, -v9
	v_fmac_f32_e32 v11, v30, v38
	v_add_f32_e32 v3, 0, v3
	v_add_f32_e32 v6, 0, v6
	v_mul_f32_e32 v10, v45, v16
	v_mul_f32_e32 v16, v44, v16
	v_fma_f32 v17, v42, v40, -v17
	v_fmac_f32_e32 v22, v43, v40
	v_add_f32_e32 v3, v3, v9
	v_add_f32_e32 v6, v6, v11
	v_fma_f32 v9, v44, v15, -v10
	v_fmac_f32_e32 v16, v45, v15
	v_add_f32_e32 v3, v3, v17
	v_add_f32_e32 v6, v6, v22
	;; [unrolled: 1-line block ×4, first 2 shown]
	ds_write_b64 v26, v[9:10]
	s_waitcnt lgkmcnt(0)
	s_barrier
	buffer_gl0_inv
	s_and_saveexec_b32 s4, s3
	s_cbranch_execz .LBB8_102
; %bb.101:
	ds_read2_b64 v[27:30], v25 offset1:7
	ds_read2_b64 v[36:39], v25 offset0:1 offset1:2
	ds_read2_b64 v[40:43], v25 offset0:3 offset1:4
	;; [unrolled: 1-line block ×3, first 2 shown]
	s_waitcnt lgkmcnt(2)
	v_add_f32_e32 v3, v36, v27
	v_add_f32_e32 v6, v37, v28
	v_add_f32_e32 v3, v38, v3
	v_add_f32_e32 v6, v39, v6
	s_waitcnt lgkmcnt(1)
	v_add_f32_e32 v3, v3, v40
	v_add_f32_e32 v6, v6, v41
	v_add_f32_e32 v3, v3, v42
	v_add_f32_e32 v6, v6, v43
	s_waitcnt lgkmcnt(0)
	v_add_f32_e32 v3, v3, v44
	v_add_f32_e32 v6, v6, v45
	v_add_f32_e32 v3, v3, v46
	v_add_f32_e32 v6, v6, v47
	v_add_f32_e32 v36, v3, v29
	v_add_f32_e32 v37, v6, v30
.LBB8_102:
	s_or_b32 exec_lo, exec_lo, s4
	s_lshl_b64 s[4:5], s[14:15], 3
	v_cmp_ne_u32_e32 vcc_lo, 1, v12
	v_sub_co_u32 v22, s4, v13, s4
	v_subrev_co_ci_u32_e64 v23, null, s5, v14, s4
	s_barrier
	buffer_gl0_inv
	s_cbranch_vccnz .LBB8_120
; %bb.103:
	s_lshl_b64 s[4:5], s[16:17], 6
	global_load_dwordx2 v[12:13], v[22:23], off
	v_add_co_u32 v9, vcc_lo, v22, s4
	v_add_co_ci_u32_e64 v10, null, s5, v23, vcc_lo
	v_mul_u32_u24_e32 v6, 0x108, v7
	v_add_co_u32 v14, vcc_lo, v9, s4
	v_add_co_ci_u32_e64 v15, null, s5, v10, vcc_lo
	v_add_co_u32 v16, vcc_lo, v14, s4
	v_add_co_ci_u32_e64 v17, null, s5, v15, vcc_lo
	s_movk_i32 s4, 0x840
	s_clause 0x2
	global_load_dwordx2 v[27:28], v[9:10], off
	global_load_dwordx2 v[14:15], v[14:15], off
	;; [unrolled: 1-line block ×3, first 2 shown]
	v_mad_u32_u24 v9, 0x108, v7, v8
	v_mad_u32_u24 v11, 0x108, v7, s4
	s_movk_i32 s4, 0x18c0
	s_movk_i32 s5, 0x1080
	v_add_nc_u32_e32 v10, 16, v7
	v_mad_u32_u24 v3, 0x108, v7, s5
	v_add_nc_u32_e32 v29, v8, v11
	v_add_nc_u32_e32 v30, v8, v3
	s_waitcnt vmcnt(3)
	ds_write_b64 v9, v[12:13]
	v_mad_u32_u24 v13, 0x108, v7, s4
	v_add_nc_u32_e32 v9, 8, v7
	v_add_nc_u32_e32 v12, 24, v7
	s_waitcnt vmcnt(2)
	ds_write_b64 v29, v[27:28]
	s_waitcnt vmcnt(1)
	ds_write_b64 v30, v[14:15]
	v_add_nc_u32_e32 v31, v8, v13
	s_waitcnt vmcnt(0)
	ds_write_b64 v31, v[16:17]
	s_cbranch_execz .LBB8_121
	s_branch .LBB8_138
.LBB8_104:
	s_mov_b32 s14, exec_lo
                                        ; implicit-def: $vgpr11
	v_cmpx_eq_u32_e64 v10, v2
; %bb.105:
	v_add_nc_u32_e32 v11, v8, v6
	s_mov_b32 s2, exec_lo
; %bb.106:
	s_or_b32 exec_lo, exec_lo, s14
	s_and_b32 s2, s2, exec_lo
	s_or_saveexec_b32 s8, s8
	v_mov_b32_e32 v15, 0
	s_xor_b32 exec_lo, exec_lo, s8
	s_cbranch_execz .LBB8_48
.LBB8_107:
	v_mad_u32_u24 v11, 0x108, v10, v8
	v_lshl_add_u32 v22, v5, 3, v14
	s_or_b32 s2, s2, exec_lo
	ds_read_b64 v[16:17], v11
	v_add_nc_u32_e32 v11, 16, v22
	s_waitcnt lgkmcnt(0)
	v_xor_b32_e32 v15, 0x80000000, v17
	ds_write_b32 v22, v16 offset:16
	s_or_b32 exec_lo, exec_lo, s8
	s_and_saveexec_b32 s8, s2
	s_cbranch_execnz .LBB8_49
	s_branch .LBB8_50
.LBB8_108:
	s_mov_b32 s15, exec_lo
                                        ; implicit-def: $vgpr15
	v_cmpx_eq_u32_e64 v11, v2
; %bb.109:
	v_add_nc_u32_e32 v15, v8, v6
	s_mov_b32 s2, exec_lo
; %bb.110:
	s_or_b32 exec_lo, exec_lo, s15
	s_and_b32 s2, s2, exec_lo
                                        ; implicit-def: $vgpr14
	s_or_saveexec_b32 s14, s14
	v_mov_b32_e32 v16, 0
	s_xor_b32 exec_lo, exec_lo, s14
	s_cbranch_execz .LBB8_52
.LBB8_111:
	v_mad_u32_u24 v15, 0x108, v11, v8
	v_lshl_add_u32 v14, v5, 3, v14
	s_or_b32 s2, s2, exec_lo
	ds_read_b64 v[22:23], v15
	v_add_nc_u32_e32 v15, 24, v14
	s_waitcnt lgkmcnt(0)
	v_xor_b32_e32 v16, 0x80000000, v23
	ds_write_b32 v14, v22 offset:24
	s_or_b32 exec_lo, exec_lo, s14
	s_and_saveexec_b32 s14, s2
	s_cbranch_execnz .LBB8_53
	s_branch .LBB8_54
.LBB8_112:
	s_mov_b32 s5, exec_lo
                                        ; implicit-def: $vgpr15
	v_cmpx_eq_u32_e64 v10, v2
; %bb.113:
	v_add_nc_u32_e32 v15, v8, v6
	s_mov_b32 s3, exec_lo
; %bb.114:
	s_or_b32 exec_lo, exec_lo, s5
	s_and_b32 s3, s3, exec_lo
	s_or_saveexec_b32 s4, s4
	v_mov_b32_e32 v10, 0
	s_xor_b32 exec_lo, exec_lo, s4
	s_cbranch_execz .LBB8_94
.LBB8_115:
	ds_read_b64 v[16:17], v9 offset:264
	v_lshl_add_u32 v22, v5, 3, v25
	s_or_b32 s3, s3, exec_lo
	v_add_nc_u32_e32 v15, 16, v22
	s_waitcnt lgkmcnt(0)
	v_xor_b32_e32 v10, 0x80000000, v17
	ds_write_b32 v22, v16 offset:16
	s_or_b32 exec_lo, exec_lo, s4
	s_and_saveexec_b32 s4, s3
	s_cbranch_execnz .LBB8_95
	s_branch .LBB8_96
.LBB8_116:
	s_mov_b32 s5, exec_lo
                                        ; implicit-def: $vgpr10
	v_cmpx_eq_u32_e64 v11, v2
; %bb.117:
	v_add_nc_u32_e32 v10, v8, v6
	s_mov_b32 s3, exec_lo
; %bb.118:
	s_or_b32 exec_lo, exec_lo, s5
	s_and_b32 s3, s3, exec_lo
	s_or_saveexec_b32 s4, s4
	v_mov_b32_e32 v6, 0
	s_xor_b32 exec_lo, exec_lo, s4
	s_cbranch_execz .LBB8_98
.LBB8_119:
	ds_read_b64 v[15:16], v9 offset:528
	v_lshl_add_u32 v11, v5, 3, v25
	s_or_b32 s3, s3, exec_lo
	v_add_nc_u32_e32 v10, 24, v11
	s_waitcnt lgkmcnt(0)
	v_xor_b32_e32 v6, 0x80000000, v16
	ds_write_b32 v11, v15 offset:24
	s_or_b32 exec_lo, exec_lo, s4
	s_and_saveexec_b32 s4, s3
	s_cbranch_execnz .LBB8_99
	s_branch .LBB8_100
.LBB8_120:
                                        ; implicit-def: $vgpr6
                                        ; implicit-def: $vgpr9
                                        ; implicit-def: $vgpr11
                                        ; implicit-def: $vgpr10
                                        ; implicit-def: $vgpr3
                                        ; implicit-def: $vgpr12
                                        ; implicit-def: $vgpr13
.LBB8_121:
	v_lshlrev_b32_e32 v11, 3, v2
	s_ashr_i32 s23, s22, 31
	v_or_b32_e32 v2, 32, v2
	s_lshl_b64 s[8:9], s[22:23], 3
	v_cmp_le_i32_e64 s4, s22, v7
	v_sub_co_u32 v3, vcc_lo, v22, v11
	v_subrev_co_ci_u32_e64 v6, null, 0, v23, vcc_lo
	v_add_co_u32 v3, vcc_lo, v3, s8
	v_add_co_ci_u32_e64 v6, null, s9, v6, vcc_lo
	v_add_co_u32 v9, vcc_lo, 0xfffffef8, v3
	v_add_co_ci_u32_e64 v3, null, -1, v6, vcc_lo
	v_cmp_gt_i32_e32 vcc_lo, s22, v2
	v_mul_u32_u24_e32 v6, 0x108, v7
	v_cndmask_b32_e32 v3, v3, v23, vcc_lo
	v_cndmask_b32_e32 v2, v9, v22, vcc_lo
	s_and_saveexec_b32 s5, s4
	s_xor_b32 s4, exec_lo, s5
	s_cbranch_execz .LBB8_123
; %bb.122:
	v_mov_b32_e32 v9, 0
	v_add_nc_u32_e32 v12, v8, v6
	v_mov_b32_e32 v10, v9
	ds_write_b64 v12, v[9:10]
.LBB8_123:
	s_andn2_saveexec_b32 s4, s4
	s_cbranch_execz .LBB8_125
; %bb.124:
	global_load_dwordx2 v[9:10], v[2:3], off
	v_add_nc_u32_e32 v12, v8, v6
	s_waitcnt vmcnt(0)
	ds_write_b64 v12, v[9:10]
.LBB8_125:
	s_or_b32 exec_lo, exec_lo, s4
	v_add_nc_u32_e32 v9, 8, v7
	v_cmp_le_i32_e64 s4, s22, v9
	s_and_saveexec_b32 s5, s4
	s_xor_b32 s4, exec_lo, s5
	s_cbranch_execz .LBB8_127
; %bb.126:
	v_mov_b32_e32 v12, 0
	v_add_nc_u32_e32 v10, v6, v8
	v_mov_b32_e32 v13, v12
	ds_write_b64 v10, v[12:13] offset:2112
.LBB8_127:
	s_andn2_saveexec_b32 s5, s4
	s_cbranch_execz .LBB8_129
; %bb.128:
	s_lshl_b64 s[14:15], s[16:17], 6
	v_add_nc_u32_e32 v10, v6, v8
	v_add_co_u32 v12, s4, v2, s14
	v_add_co_ci_u32_e64 v13, null, s15, v3, s4
	global_load_dwordx2 v[12:13], v[12:13], off
	s_waitcnt vmcnt(0)
	ds_write_b64 v10, v[12:13] offset:2112
.LBB8_129:
	s_or_b32 exec_lo, exec_lo, s5
	v_add_nc_u32_e32 v10, 16, v7
	v_cmp_le_i32_e64 s4, s22, v10
	s_and_saveexec_b32 s5, s4
	s_xor_b32 s4, exec_lo, s5
	s_cbranch_execz .LBB8_131
; %bb.130:
	v_mov_b32_e32 v12, 0
	v_add_nc_u32_e32 v14, v6, v8
	v_mov_b32_e32 v13, v12
	ds_write_b64 v14, v[12:13] offset:4224
.LBB8_131:
	s_andn2_saveexec_b32 s5, s4
	s_cbranch_execz .LBB8_133
; %bb.132:
	s_lshl_b64 s[14:15], s[16:17], 7
	v_add_nc_u32_e32 v14, v6, v8
	v_add_co_u32 v12, s4, v2, s14
	v_add_co_ci_u32_e64 v13, null, s15, v3, s4
	global_load_dwordx2 v[12:13], v[12:13], off
	s_waitcnt vmcnt(0)
	ds_write_b64 v14, v[12:13] offset:4224
.LBB8_133:
	s_or_b32 exec_lo, exec_lo, s5
	v_add_nc_u32_e32 v12, 24, v7
                                        ; implicit-def: $vgpr13
	v_cmp_le_i32_e64 s4, s22, v12
	s_and_saveexec_b32 s5, s4
	s_xor_b32 s4, exec_lo, s5
	s_cbranch_execz .LBB8_135
; %bb.134:
	v_add_nc_u32_e32 v13, 0x18c0, v6
	v_mov_b32_e32 v14, 0
	v_add_nc_u32_e32 v16, v8, v13
	v_mov_b32_e32 v15, v14
	ds_write_b64 v16, v[14:15]
.LBB8_135:
	s_andn2_saveexec_b32 s4, s4
	s_cbranch_execz .LBB8_137
; %bb.136:
	v_mad_u64_u32 v[13:14], null, 0xc0, s16, v[2:3]
	v_mad_u64_u32 v[14:15], null, 0xc0, s17, v[14:15]
	global_load_dwordx2 v[14:15], v[13:14], off
	v_add_nc_u32_e32 v13, 0x18c0, v6
	v_add_nc_u32_e32 v16, v8, v13
	s_waitcnt vmcnt(0)
	ds_write_b64 v16, v[14:15]
.LBB8_137:
	s_or_b32 exec_lo, exec_lo, s4
	v_add_co_u32 v2, s4, v2, v11
	v_add_co_ci_u32_e64 v3, null, 0, v3, s4
	v_add_nc_u32_e32 v11, 0x840, v6
	v_sub_co_u32 v2, s4, v2, s8
	v_subrev_co_ci_u32_e64 v3, null, s9, v3, s4
	v_add_co_u32 v2, s4, 0x108, v2
	v_add_co_ci_u32_e64 v3, null, 0, v3, s4
	v_cndmask_b32_e32 v22, v2, v22, vcc_lo
	v_cndmask_b32_e32 v23, v3, v23, vcc_lo
	v_add_nc_u32_e32 v3, 0x1080, v6
.LBB8_138:
	v_add_nc_u32_e32 v2, v8, v6
	v_lshlrev_b32_e32 v6, 3, v7
	v_add_nc_u32_e32 v7, v8, v11
	v_lshlrev_b32_e32 v9, 3, v9
	v_add_nc_u32_e32 v3, v8, v3
	s_waitcnt lgkmcnt(0)
	s_barrier
	buffer_gl0_inv
	v_lshlrev_b32_e32 v10, 3, v10
	v_add_nc_u32_e32 v8, v8, v13
	v_lshlrev_b32_e32 v11, 3, v12
	ds_read_b64 v[27:28], v2
	ds_read_b64 v[29:30], v6 offset:9088
	ds_read_b64 v[31:32], v7
	ds_read_b64 v[38:39], v9 offset:9088
	;; [unrolled: 2-line block ×3, first 2 shown]
	ds_read2_b32 v[44:45], v8 offset1:1
	ds_read_b64 v[46:47], v11 offset:9088
	v_lshl_add_u32 v6, v5, 3, v25
	ds_read_b128 v[10:13], v4 offset:256
	ds_read_b128 v[2:5], v4 offset:272
	ds_read2_b64 v[14:17], v6 offset1:1
	ds_read2_b64 v[6:9], v6 offset0:2 offset1:3
	s_waitcnt lgkmcnt(0)
	s_barrier
	buffer_gl0_inv
	v_mul_f32_e32 v33, v30, v28
	v_mul_f32_e32 v28, v29, v28
	;; [unrolled: 1-line block ×5, first 2 shown]
	v_fma_f32 v29, v29, v27, -v33
	v_fmac_f32_e32 v28, v30, v27
	v_mul_f32_e32 v27, v42, v41
	v_fma_f32 v30, v38, v31, -v48
	v_fmac_f32_e32 v32, v39, v31
	v_add_f32_e32 v29, 0, v29
	v_add_f32_e32 v28, 0, v28
	v_mul_f32_e32 v50, v47, v45
	v_mul_f32_e32 v31, v46, v45
	v_fma_f32 v33, v42, v40, -v49
	v_fmac_f32_e32 v27, v43, v40
	v_add_f32_e32 v29, v29, v30
	v_add_f32_e32 v28, v28, v32
	v_fma_f32 v30, v46, v44, -v50
	v_fmac_f32_e32 v31, v47, v44
	v_add_f32_e32 v29, v29, v33
	v_add_f32_e32 v28, v28, v27
	;; [unrolled: 1-line block ×4, first 2 shown]
	ds_write_b64 v26, v[27:28]
	s_waitcnt lgkmcnt(0)
	s_barrier
	buffer_gl0_inv
	s_and_saveexec_b32 s4, s3
	s_cbranch_execz .LBB8_140
; %bb.139:
	ds_read2_b64 v[27:30], v25 offset1:1
	ds_read2_b64 v[38:41], v25 offset0:2 offset1:3
	ds_read2_b64 v[42:45], v25 offset0:4 offset1:5
	s_waitcnt lgkmcnt(2)
	v_add_f32_e32 v27, v36, v27
	v_add_f32_e32 v28, v37, v28
	;; [unrolled: 1-line block ×4, first 2 shown]
	ds_read2_b64 v[27:30], v25 offset0:6 offset1:7
	s_waitcnt lgkmcnt(2)
	v_add_f32_e32 v31, v31, v38
	v_add_f32_e32 v32, v32, v39
	v_add_f32_e32 v31, v31, v40
	v_add_f32_e32 v32, v32, v41
	s_waitcnt lgkmcnt(1)
	v_add_f32_e32 v31, v31, v42
	v_add_f32_e32 v32, v32, v43
	v_add_f32_e32 v31, v31, v44
	v_add_f32_e32 v32, v32, v45
	;; [unrolled: 5-line block ×3, first 2 shown]
.LBB8_140:
	s_or_b32 exec_lo, exec_lo, s4
	v_mul_f32_e32 v27, v15, v11
	v_mul_f32_e32 v15, v15, v10
	;; [unrolled: 1-line block ×5, first 2 shown]
	v_fmac_f32_e32 v27, v14, v10
	v_fma_f32 v10, v14, v11, -v15
	v_mul_f32_e32 v7, v7, v2
	v_fmac_f32_e32 v28, v16, v12
	v_fma_f32 v13, v16, v13, -v17
	v_add_f32_e32 v12, 0, v27
	v_add_f32_e32 v10, 0, v10
	v_mul_f32_e32 v11, v9, v5
	v_mul_f32_e32 v9, v9, v4
	v_fmac_f32_e32 v29, v6, v2
	v_add_f32_e32 v2, v12, v28
	v_fma_f32 v3, v6, v3, -v7
	v_add_f32_e32 v6, v10, v13
	v_fmac_f32_e32 v11, v8, v4
	v_fma_f32 v4, v8, v5, -v9
	v_add_f32_e32 v2, v2, v29
	v_add_f32_e32 v3, v6, v3
	s_barrier
	buffer_gl0_inv
	v_add_f32_e32 v2, v2, v11
	v_add_f32_e32 v3, v3, v4
	ds_write_b64 v26, v[2:3]
	s_waitcnt lgkmcnt(0)
	s_barrier
	buffer_gl0_inv
	s_and_saveexec_b32 s3, s2
	s_cbranch_execz .LBB8_142
; %bb.141:
	ds_read2_b64 v[2:5], v25 offset1:1
	ds_read2_b64 v[6:9], v25 offset0:2 offset1:3
	ds_read2_b64 v[10:13], v25 offset0:4 offset1:5
	s_waitcnt lgkmcnt(2)
	v_add_f32_e32 v2, v36, v2
	v_add_f32_e32 v3, v37, v3
	;; [unrolled: 1-line block ×4, first 2 shown]
	ds_read2_b64 v[2:5], v25 offset0:6 offset1:7
	s_waitcnt lgkmcnt(2)
	v_add_f32_e32 v6, v14, v6
	v_add_f32_e32 v7, v15, v7
	v_add_f32_e32 v6, v6, v8
	v_add_f32_e32 v7, v7, v9
	s_waitcnt lgkmcnt(1)
	v_add_f32_e32 v6, v6, v10
	v_add_f32_e32 v7, v7, v11
	v_add_f32_e32 v6, v6, v12
	v_add_f32_e32 v7, v7, v13
	;; [unrolled: 5-line block ×3, first 2 shown]
.LBB8_142:
	s_or_b32 exec_lo, exec_lo, s3
	s_mul_hi_u32 s2, s26, s7
	s_mul_i32 s28, s28, s7
	s_mul_i32 s3, s26, s7
	s_add_i32 s2, s2, s28
	s_mul_hi_u32 s5, s3, s27
	s_mul_i32 s4, s2, s27
	s_mul_i32 s2, s3, s27
	s_add_i32 s3, s5, s4
	s_mul_i32 s4, s26, s6
	s_lshl_b64 s[2:3], s[2:3], 3
	v_cmp_le_i32_e32 vcc_lo, s22, v0
	s_add_u32 s7, s10, s2
	s_addc_u32 s8, s11, s3
	s_ashr_i32 s5, s4, 31
	v_lshlrev_b32_e32 v74, 3, v0
	s_lshl_b64 s[2:3], s[4:5], 3
	s_add_u32 s7, s7, s2
	s_addc_u32 s8, s8, s3
	s_and_b32 vcc_lo, s18, vcc_lo
	s_cmp_lt_i32 s6, 1
	s_barrier
	buffer_gl0_inv
	s_cbranch_scc1 .LBB8_149
; %bb.143:
	v_lshlrev_b32_e32 v4, 2, v1
	v_sub_co_u32 v6, s2, v22, s12
	v_subrev_co_ci_u32_e64 v7, null, s13, v23, s2
	v_mad_u64_u32 v[2:3], null, s16, v4, 0
	v_sub_co_u32 v6, s2, v6, v20
	v_sub_co_ci_u32_e64 v7, null, v7, v21, s2
	s_ashr_i32 s23, s22, 31
	s_mul_i32 s3, s24, s21
	v_mad_u64_u32 v[3:4], null, s17, v4, v[3:4]
	s_lshl_b64 s[10:11], s[22:23], 3
	v_lshrrev_b32_e32 v4, 4, v24
	s_mul_hi_u32 s5, s24, s20
	v_and_b32_e32 v5, 15, v0
	s_mul_i32 s9, s25, s20
	s_add_i32 s3, s5, s3
	v_lshlrev_b64 v[2:3], 3, v[2:3]
	s_mul_i32 s4, s24, s20
	s_add_i32 s5, s3, s9
	v_or_b32_e32 v8, 0x78, v74
	s_lshl_b64 s[4:5], s[4:5], 3
	v_mov_b32_e32 v39, 0
	v_add_co_u32 v2, s2, v6, v2
	v_add_co_ci_u32_e64 v3, null, v7, v3, s2
	v_add_nc_u32_e32 v77, 0x2180, v74
	v_add_co_u32 v6, s2, v2, s10
	v_add_co_ci_u32_e64 v7, null, s11, v3, s2
	v_add_co_u32 v2, s2, v2, v74
	v_add_co_ci_u32_e64 v3, null, 0, v3, s2
	v_add_co_u32 v6, s2, 0xfffffef8, v6
	v_add_co_ci_u32_e64 v7, null, -1, v7, s2
	v_add_co_u32 v2, s2, 0xffffff00, v2
	v_add_co_ci_u32_e64 v3, null, -1, v3, s2
	v_sub_co_u32 v75, s2, v18, s4
	v_cndmask_b32_e32 v2, v2, v6, vcc_lo
	v_cndmask_b32_e32 v3, v3, v7, vcc_lo
	v_and_b32_e32 v6, 48, v0
	v_lshlrev_b32_e32 v7, 5, v4
	v_mul_i32_i24_e32 v4, 0xffffffe8, v4
	v_subrev_co_ci_u32_e64 v76, null, s5, v19, s2
	v_lshlrev_b32_e32 v6, 3, v6
	v_mad_u32_u24 v81, 0x218, v5, v7
	v_lshl_add_u32 v78, v1, 5, 0x2180
	v_add_nc_u32_e32 v79, 0x2380, v74
	v_mad_u32_u24 v80, 0x860, v1, v74
	v_cmp_gt_u32_e64 s2, 64, v24
	v_mad_u32_u24 v82, 0x218, v5, v6
	v_mad_u32_u24 v83, 0x218, v5, v8
	v_add_nc_u32_e32 v84, v81, v4
	s_mul_i32 s3, s17, 0x68
	s_mul_hi_u32 s9, s16, 0x68
	s_lshl_b64 s[4:5], s[16:17], 3
	s_add_i32 s9, s9, s3
	s_mul_i32 s10, s16, 0x68
	s_mov_b32 s11, 0
	s_branch .LBB8_145
.LBB8_144:                              ;   in Loop: Header=BB8_145 Depth=1
	s_or_b32 exec_lo, exec_lo, s12
	v_mul_f32_e32 v38, v41, v3
	v_mul_f32_e32 v3, v40, v3
	;; [unrolled: 1-line block ×5, first 2 shown]
	v_fma_f32 v38, v40, v2, -v38
	v_fmac_f32_e32 v3, v41, v2
	v_fma_f32 v44, v44, v4, -v85
	v_mul_f32_e32 v7, v46, v7
	v_mul_f32_e32 v40, v43, v9
	v_add_f32_e32 v36, v36, v38
	v_fma_f32 v2, v46, v6, -v86
	v_fmac_f32_e32 v5, v45, v4
	v_add_f32_e32 v3, v37, v3
	v_mul_f32_e32 v9, v42, v9
	v_add_f32_e32 v36, v36, v44
	v_mul_f32_e32 v38, v55, v15
	v_fma_f32 v4, v42, v8, -v40
	v_fmac_f32_e32 v7, v47, v6
	v_add_f32_e32 v3, v3, v5
	v_add_f32_e32 v2, v36, v2
	v_mul_f32_e32 v15, v54, v15
	v_mul_f32_e32 v41, v53, v17
	v_fma_f32 v5, v54, v14, -v38
	v_fmac_f32_e32 v9, v43, v8
	v_add_f32_e32 v2, v2, v4
	v_add_f32_e32 v3, v3, v7
	v_mul_f32_e32 v17, v52, v17
	v_mul_f32_e32 v4, v51, v11
	v_fma_f32 v6, v52, v16, -v41
	v_add_f32_e32 v2, v2, v5
	v_fmac_f32_e32 v15, v55, v14
	v_add_f32_e32 v3, v3, v9
	v_mul_f32_e32 v5, v49, v13
	v_fma_f32 v4, v50, v10, -v4
	v_add_f32_e32 v2, v2, v6
	v_mul_f32_e32 v6, v50, v11
	v_fmac_f32_e32 v17, v53, v16
	v_add_f32_e32 v3, v3, v15
	v_fma_f32 v5, v48, v12, -v5
	v_add_f32_e32 v2, v2, v4
	v_mul_f32_e32 v4, v63, v23
	v_fmac_f32_e32 v6, v51, v10
	v_add_f32_e32 v3, v3, v17
	v_mul_f32_e32 v7, v48, v13
	v_add_f32_e32 v2, v2, v5
	v_fma_f32 v4, v62, v22, -v4
	v_mul_f32_e32 v5, v61, v25
	v_add_f32_e32 v3, v3, v6
	v_fmac_f32_e32 v7, v49, v12
	v_mul_f32_e32 v6, v62, v23
	v_add_f32_e32 v2, v2, v4
	v_fma_f32 v4, v60, v24, -v5
	v_mul_f32_e32 v5, v59, v19
	v_add_f32_e32 v3, v3, v7
	v_fmac_f32_e32 v6, v63, v22
	;; [unrolled: 6-line block ×6, first 2 shown]
	v_mul_f32_e32 v7, v67, v27
	v_add_f32_e32 v2, v2, v4
	v_mul_f32_e32 v4, v66, v27
	v_fmac_f32_e32 v5, v71, v32
	v_add_f32_e32 v3, v3, v6
	v_fma_f32 v6, v66, v26, -v7
	v_mul_f32_e32 v7, v69, v29
	v_mul_f32_e32 v8, v68, v29
	v_fmac_f32_e32 v4, v67, v26
	v_add_f32_e32 v3, v3, v5
	v_add_f32_e32 v2, v2, v6
	v_fma_f32 v5, v68, v28, -v7
	v_fmac_f32_e32 v8, v69, v28
	s_add_i32 s6, s6, -1
	v_add_f32_e32 v3, v3, v4
	s_add_i32 s11, s11, 64
	v_add_f32_e32 v36, v2, v5
	v_add_co_u32 v2, s3, v64, s10
	v_add_f32_e32 v37, v3, v8
	v_add_co_ci_u32_e64 v3, null, s9, v65, s3
	s_cmp_eq_u32 s6, 0
	s_waitcnt_vscnt null, 0x0
	s_barrier
	buffer_gl0_inv
	s_cbranch_scc1 .LBB8_149
.LBB8_145:                              ; =>This Inner Loop Header: Depth=1
	s_and_saveexec_b32 s12, s1
	s_cbranch_execz .LBB8_147
; %bb.146:                              ;   in Loop: Header=BB8_145 Depth=1
	s_mul_i32 s3, s25, s11
	s_mul_hi_u32 s13, s24, s11
	s_mul_i32 s14, s24, s11
	s_add_i32 s15, s13, s3
	s_lshl_b64 s[14:15], s[14:15], 3
	v_add_co_u32 v4, s3, v75, s14
	v_add_co_ci_u32_e64 v5, null, s15, v76, s3
	global_load_dwordx2 v[4:5], v[4:5], off
	s_waitcnt vmcnt(0)
	ds_write_b64 v77, v[4:5]
.LBB8_147:                              ;   in Loop: Header=BB8_145 Depth=1
	s_or_b32 exec_lo, exec_lo, s12
	v_add_co_u32 v4, s3, v2, s4
	v_add_co_ci_u32_e64 v5, null, s5, v3, s3
	s_waitcnt lgkmcnt(0)
	s_barrier
	buffer_gl0_inv
	s_clause 0x1
	global_load_dwordx2 v[40:41], v[2:3], off
	global_load_dwordx2 v[44:45], v[4:5], off
	v_add_co_u32 v2, s3, v4, s4
	v_add_co_ci_u32_e64 v3, null, s5, v5, s3
	v_add_co_u32 v10, s3, v2, s4
	v_add_co_ci_u32_e64 v11, null, s5, v3, s3
	s_clause 0x1
	global_load_dwordx2 v[46:47], v[2:3], off
	global_load_dwordx2 v[42:43], v[10:11], off
	ds_read_b64 v[12:13], v79
	ds_read_b128 v[2:5], v78
	ds_read_b128 v[6:9], v78 offset:16
	v_add_co_u32 v10, s3, v10, s10
	v_add_co_ci_u32_e64 v11, null, s9, v11, s3
	v_add_co_u32 v18, s3, v10, s4
	v_add_co_ci_u32_e64 v19, null, s5, v11, s3
	s_waitcnt vmcnt(3) lgkmcnt(2)
	v_mul_f32_e32 v14, v41, v13
	v_mul_f32_e32 v15, v41, v12
	s_waitcnt vmcnt(2)
	v_mul_f32_e32 v16, v45, v13
	v_mul_f32_e32 v17, v45, v12
	v_fmac_f32_e32 v14, v40, v12
	v_fma_f32 v15, v40, v13, -v15
	v_fmac_f32_e32 v16, v44, v12
	v_fma_f32 v17, v44, v13, -v17
	s_waitcnt vmcnt(1)
	v_mul_f32_e32 v20, v47, v13
	s_waitcnt vmcnt(0)
	v_mul_f32_e32 v22, v43, v13
	v_mul_f32_e32 v21, v47, v12
	;; [unrolled: 1-line block ×3, first 2 shown]
	v_fmac_f32_e32 v20, v46, v12
	v_fmac_f32_e32 v22, v42, v12
	v_add_co_u32 v12, s3, v18, s4
	v_fma_f32 v21, v46, v13, -v21
	v_fma_f32 v23, v42, v13, -v23
	v_add_co_ci_u32_e64 v13, null, s5, v19, s3
	ds_write2_b64 v80, v[14:15], v[16:17] offset1:67
	ds_write2_b64 v80, v[20:21], v[22:23] offset0:134 offset1:201
	s_waitcnt lgkmcnt(0)
	s_barrier
	buffer_gl0_inv
	ds_read2_b64 v[85:88], v81 offset1:1
	ds_read2_b64 v[89:92], v81 offset0:2 offset1:3
	s_waitcnt lgkmcnt(0)
	s_barrier
	buffer_gl0_inv
	global_load_dwordx2 v[54:55], v[10:11], off
	v_add_co_u32 v10, s3, v12, s4
	v_add_co_ci_u32_e64 v11, null, s5, v13, s3
	s_clause 0x2
	global_load_dwordx2 v[52:53], v[18:19], off
	global_load_dwordx2 v[50:51], v[12:13], off
	global_load_dwordx2 v[48:49], v[10:11], off
	ds_read_b64 v[12:13], v79
	v_add_co_u32 v18, s3, v10, s10
	v_add_co_ci_u32_e64 v19, null, s9, v11, s3
	v_add_co_u32 v20, s3, v18, s4
	v_add_co_ci_u32_e64 v21, null, s5, v19, s3
	v_add_f32_e32 v38, 0, v85
	v_add_co_u32 v22, s3, v20, s4
	v_add_co_ci_u32_e64 v23, null, s5, v21, s3
	v_add_f32_e32 v85, 0, v86
	v_add_co_u32 v32, s3, v22, s4
	v_add_co_ci_u32_e64 v33, null, s5, v23, s3
	v_add_f32_e32 v85, v85, v88
	v_add_f32_e32 v38, v38, v87
	v_add_f32_e32 v90, v85, v90
	;; [unrolled: 1-line block ×5, first 2 shown]
	s_waitcnt vmcnt(3) lgkmcnt(0)
	v_mul_f32_e32 v24, v55, v13
	v_mul_f32_e32 v10, v55, v12
	s_waitcnt vmcnt(2)
	v_mul_f32_e32 v26, v53, v13
	v_mul_f32_e32 v11, v53, v12
	s_waitcnt vmcnt(1)
	;; [unrolled: 3-line block ×3, first 2 shown]
	v_mul_f32_e32 v30, v49, v13
	v_mul_f32_e32 v15, v49, v12
	v_fmac_f32_e32 v24, v54, v12
	v_fma_f32 v25, v54, v13, -v10
	v_fmac_f32_e32 v26, v52, v12
	v_fma_f32 v27, v52, v13, -v11
	;; [unrolled: 2-line block ×4, first 2 shown]
	ds_read_b128 v[14:17], v78 offset:128
	ds_read_b128 v[10:13], v78 offset:144
	ds_write2_b64 v80, v[24:25], v[26:27] offset1:67
	ds_write2_b64 v80, v[28:29], v[30:31] offset0:134 offset1:201
	s_waitcnt lgkmcnt(0)
	s_barrier
	buffer_gl0_inv
	ds_read2_b64 v[93:96], v81 offset1:1
	ds_read2_b64 v[97:100], v81 offset0:2 offset1:3
	s_waitcnt lgkmcnt(0)
	s_barrier
	buffer_gl0_inv
	s_clause 0x2
	global_load_dwordx2 v[62:63], v[18:19], off
	global_load_dwordx2 v[60:61], v[20:21], off
	;; [unrolled: 1-line block ×4, first 2 shown]
	ds_read_b64 v[18:19], v79
	v_add_co_u32 v26, s3, v32, s10
	v_add_co_ci_u32_e64 v27, null, s9, v33, s3
	v_add_co_u32 v28, s3, v26, s4
	v_add_co_ci_u32_e64 v29, null, s5, v27, s3
	v_add_co_u32 v68, s3, v28, s4
	v_add_co_ci_u32_e64 v69, null, s5, v29, s3
	v_add_f32_e32 v93, 0, v93
	v_add_f32_e32 v94, 0, v94
	;; [unrolled: 1-line block ×7, first 2 shown]
	s_waitcnt vmcnt(3) lgkmcnt(0)
	v_mul_f32_e32 v20, v63, v18
	v_mul_f32_e32 v30, v63, v19
	s_waitcnt vmcnt(2)
	v_mul_f32_e32 v21, v61, v18
	v_mul_f32_e32 v32, v61, v19
	s_waitcnt vmcnt(1)
	v_mul_f32_e32 v22, v59, v18
	s_waitcnt vmcnt(0)
	v_mul_f32_e32 v23, v57, v18
	v_mul_f32_e32 v64, v59, v19
	;; [unrolled: 1-line block ×3, first 2 shown]
	v_fma_f32 v31, v62, v19, -v20
	v_fma_f32 v33, v60, v19, -v21
	v_fmac_f32_e32 v30, v62, v18
	v_fmac_f32_e32 v32, v60, v18
	v_fma_f32 v65, v58, v19, -v22
	v_fma_f32 v67, v56, v19, -v23
	v_fmac_f32_e32 v64, v58, v18
	v_fmac_f32_e32 v66, v56, v18
	ds_read_b128 v[22:25], v78 offset:256
	ds_read_b128 v[18:21], v78 offset:272
	ds_write2_b64 v80, v[30:31], v[32:33] offset1:67
	ds_write2_b64 v80, v[64:65], v[66:67] offset0:134 offset1:201
	v_add_co_u32 v64, s3, v68, s4
	v_add_co_ci_u32_e64 v65, null, s5, v69, s3
	s_waitcnt lgkmcnt(0)
	s_barrier
	buffer_gl0_inv
	ds_read2_b64 v[101:104], v81 offset1:1
	ds_read2_b64 v[105:108], v81 offset0:2 offset1:3
	s_waitcnt lgkmcnt(0)
	s_barrier
	buffer_gl0_inv
	global_load_dwordx2 v[72:73], v[26:27], off
	global_load_dwordx2 v[70:71], v[28:29], off
	;; [unrolled: 1-line block ×4, first 2 shown]
	ds_read_b64 v[26:27], v79
	v_add_f32_e32 v92, 0, v101
	v_add_f32_e32 v93, 0, v102
	;; [unrolled: 1-line block ×7, first 2 shown]
	s_waitcnt vmcnt(2) lgkmcnt(0)
	v_mul_f32_e32 v29, v71, v26
	v_mul_f32_e32 v28, v73, v26
	;; [unrolled: 1-line block ×4, first 2 shown]
	s_waitcnt vmcnt(1)
	v_mul_f32_e32 v30, v67, v26
	v_mul_f32_e32 v113, v67, v27
	s_waitcnt vmcnt(0)
	v_mul_f32_e32 v31, v69, v26
	v_mul_f32_e32 v115, v69, v27
	v_fma_f32 v110, v72, v27, -v28
	v_fma_f32 v112, v70, v27, -v29
	v_fmac_f32_e32 v109, v72, v26
	v_fmac_f32_e32 v111, v70, v26
	v_fma_f32 v114, v66, v27, -v30
	v_fma_f32 v116, v68, v27, -v31
	v_fmac_f32_e32 v113, v66, v26
	v_fmac_f32_e32 v115, v68, v26
	ds_read_b128 v[30:33], v78 offset:384
	ds_read_b128 v[26:29], v78 offset:400
	ds_write2_b64 v80, v[109:110], v[111:112] offset1:67
	ds_write2_b64 v80, v[113:114], v[115:116] offset0:134 offset1:201
	s_waitcnt lgkmcnt(0)
	s_barrier
	buffer_gl0_inv
	ds_read2_b64 v[109:112], v81 offset1:1
	ds_read2_b64 v[85:88], v81 offset0:2 offset1:3
	s_waitcnt lgkmcnt(0)
	s_barrier
	buffer_gl0_inv
	v_add_f32_e32 v94, 0, v109
	v_add_f32_e32 v95, 0, v110
	;; [unrolled: 1-line block ×10, first 2 shown]
	ds_write2_b64 v84, v[89:90], v[91:92] offset1:16
	ds_write2_b64 v84, v[85:86], v[87:88] offset0:32 offset1:48
	s_waitcnt lgkmcnt(0)
	s_barrier
	buffer_gl0_inv
	s_and_saveexec_b32 s12, s2
	s_cbranch_execz .LBB8_144
; %bb.148:                              ;   in Loop: Header=BB8_145 Depth=1
	ds_read_b64 v[97:98], v82
	ds_read2_b64 v[85:88], v82 offset0:1 offset1:2
	ds_read2_b64 v[89:92], v82 offset0:3 offset1:4
	;; [unrolled: 1-line block ×3, first 2 shown]
	s_waitcnt lgkmcnt(2)
	v_add_f32_e32 v38, v85, v97
	v_add_f32_e32 v85, v86, v98
	v_add_f32_e32 v38, v87, v38
	v_add_f32_e32 v97, v88, v85
	ds_read2_b64 v[85:88], v82 offset0:7 offset1:8
	s_waitcnt lgkmcnt(2)
	v_add_f32_e32 v38, v38, v89
	v_add_f32_e32 v89, v97, v90
	v_add_f32_e32 v38, v38, v91
	v_add_f32_e32 v97, v89, v92
	ds_read2_b64 v[89:92], v82 offset0:9 offset1:10
	;; [unrolled: 6-line block ×4, first 2 shown]
	s_waitcnt lgkmcnt(2)
	v_add_f32_e32 v38, v38, v89
	v_add_f32_e32 v89, v97, v90
	;; [unrolled: 1-line block ×4, first 2 shown]
	ds_read_b64 v[89:90], v83
	s_waitcnt lgkmcnt(2)
	v_add_f32_e32 v38, v38, v93
	v_add_f32_e32 v91, v91, v94
	;; [unrolled: 1-line block ×4, first 2 shown]
	s_waitcnt lgkmcnt(1)
	v_add_f32_e32 v85, v38, v85
	v_add_f32_e32 v86, v91, v86
	v_add_nc_u32_e32 v38, s11, v0
	v_add_f32_e32 v87, v85, v87
	v_add_f32_e32 v88, v86, v88
	v_lshlrev_b64 v[85:86], 3, v[38:39]
	s_waitcnt lgkmcnt(0)
	v_add_f32_e32 v87, v87, v89
	v_add_f32_e32 v88, v88, v90
	v_add_co_u32 v85, s3, s7, v85
	v_add_co_ci_u32_e64 v86, null, s8, v86, s3
	global_store_dwordx2 v[85:86], v[87:88], off
	s_branch .LBB8_144
.LBB8_149:
	v_mad_u32_u24 v0, 0x218, v1, v74
	s_nor_b32 s0, s0, vcc_lo
	ds_write_b64 v0, v[36:37]
	s_waitcnt lgkmcnt(0)
	s_barrier
	buffer_gl0_inv
	s_and_saveexec_b32 s1, s0
	s_cbranch_execz .LBB8_151
; %bb.150:
	ds_read2_b64 v[0:3], v74 offset1:67
	ds_read2_b64 v[4:7], v74 offset0:134 offset1:201
	s_waitcnt lgkmcnt(1)
	v_add_f32_e32 v0, v2, v0
	v_add_f32_e32 v1, v3, v1
	s_waitcnt lgkmcnt(0)
	v_add_f32_e32 v2, v4, v0
	v_add_f32_e32 v3, v5, v1
	v_lshlrev_b64 v[0:1], 3, v[34:35]
	v_add_f32_e32 v2, v2, v6
	v_add_f32_e32 v3, v3, v7
	v_add_co_u32 v0, vcc_lo, s7, v0
	v_add_co_ci_u32_e64 v1, null, s8, v1, vcc_lo
	global_store_dwordx2 v[0:1], v[2:3], off
.LBB8_151:
	s_endpgm
	.section	.rodata,"a",@progbits
	.p2align	6, 0x0
	.amdhsa_kernel _ZL26rocblas_hemvn_kernel_lowerILb1ELi64ELi4ELi33ELi32ELi16ElPK19rocblas_complex_numIfES3_PS1_EviT6_lT7_lT5_lS6_lS7_lS5_lT8_i
		.amdhsa_group_segment_fixed_size 9600
		.amdhsa_private_segment_fixed_size 0
		.amdhsa_kernarg_size 376
		.amdhsa_user_sgpr_count 6
		.amdhsa_user_sgpr_private_segment_buffer 1
		.amdhsa_user_sgpr_dispatch_ptr 0
		.amdhsa_user_sgpr_queue_ptr 0
		.amdhsa_user_sgpr_kernarg_segment_ptr 1
		.amdhsa_user_sgpr_dispatch_id 0
		.amdhsa_user_sgpr_flat_scratch_init 0
		.amdhsa_user_sgpr_private_segment_size 0
		.amdhsa_wavefront_size32 1
		.amdhsa_uses_dynamic_stack 0
		.amdhsa_system_sgpr_private_segment_wavefront_offset 0
		.amdhsa_system_sgpr_workgroup_id_x 1
		.amdhsa_system_sgpr_workgroup_id_y 0
		.amdhsa_system_sgpr_workgroup_id_z 1
		.amdhsa_system_sgpr_workgroup_info 0
		.amdhsa_system_vgpr_workitem_id 1
		.amdhsa_next_free_vgpr 117
		.amdhsa_next_free_sgpr 32
		.amdhsa_reserve_vcc 1
		.amdhsa_reserve_flat_scratch 0
		.amdhsa_float_round_mode_32 0
		.amdhsa_float_round_mode_16_64 0
		.amdhsa_float_denorm_mode_32 3
		.amdhsa_float_denorm_mode_16_64 3
		.amdhsa_dx10_clamp 1
		.amdhsa_ieee_mode 1
		.amdhsa_fp16_overflow 0
		.amdhsa_workgroup_processor_mode 1
		.amdhsa_memory_ordered 1
		.amdhsa_forward_progress 1
		.amdhsa_shared_vgpr_count 0
		.amdhsa_exception_fp_ieee_invalid_op 0
		.amdhsa_exception_fp_denorm_src 0
		.amdhsa_exception_fp_ieee_div_zero 0
		.amdhsa_exception_fp_ieee_overflow 0
		.amdhsa_exception_fp_ieee_underflow 0
		.amdhsa_exception_fp_ieee_inexact 0
		.amdhsa_exception_int_div_zero 0
	.end_amdhsa_kernel
	.section	.text._ZL26rocblas_hemvn_kernel_lowerILb1ELi64ELi4ELi33ELi32ELi16ElPK19rocblas_complex_numIfES3_PS1_EviT6_lT7_lT5_lS6_lS7_lS5_lT8_i,"axG",@progbits,_ZL26rocblas_hemvn_kernel_lowerILb1ELi64ELi4ELi33ELi32ELi16ElPK19rocblas_complex_numIfES3_PS1_EviT6_lT7_lT5_lS6_lS7_lS5_lT8_i,comdat
.Lfunc_end8:
	.size	_ZL26rocblas_hemvn_kernel_lowerILb1ELi64ELi4ELi33ELi32ELi16ElPK19rocblas_complex_numIfES3_PS1_EviT6_lT7_lT5_lS6_lS7_lS5_lT8_i, .Lfunc_end8-_ZL26rocblas_hemvn_kernel_lowerILb1ELi64ELi4ELi33ELi32ELi16ElPK19rocblas_complex_numIfES3_PS1_EviT6_lT7_lT5_lS6_lS7_lS5_lT8_i
                                        ; -- End function
	.set _ZL26rocblas_hemvn_kernel_lowerILb1ELi64ELi4ELi33ELi32ELi16ElPK19rocblas_complex_numIfES3_PS1_EviT6_lT7_lT5_lS6_lS7_lS5_lT8_i.num_vgpr, 117
	.set _ZL26rocblas_hemvn_kernel_lowerILb1ELi64ELi4ELi33ELi32ELi16ElPK19rocblas_complex_numIfES3_PS1_EviT6_lT7_lT5_lS6_lS7_lS5_lT8_i.num_agpr, 0
	.set _ZL26rocblas_hemvn_kernel_lowerILb1ELi64ELi4ELi33ELi32ELi16ElPK19rocblas_complex_numIfES3_PS1_EviT6_lT7_lT5_lS6_lS7_lS5_lT8_i.numbered_sgpr, 32
	.set _ZL26rocblas_hemvn_kernel_lowerILb1ELi64ELi4ELi33ELi32ELi16ElPK19rocblas_complex_numIfES3_PS1_EviT6_lT7_lT5_lS6_lS7_lS5_lT8_i.num_named_barrier, 0
	.set _ZL26rocblas_hemvn_kernel_lowerILb1ELi64ELi4ELi33ELi32ELi16ElPK19rocblas_complex_numIfES3_PS1_EviT6_lT7_lT5_lS6_lS7_lS5_lT8_i.private_seg_size, 0
	.set _ZL26rocblas_hemvn_kernel_lowerILb1ELi64ELi4ELi33ELi32ELi16ElPK19rocblas_complex_numIfES3_PS1_EviT6_lT7_lT5_lS6_lS7_lS5_lT8_i.uses_vcc, 1
	.set _ZL26rocblas_hemvn_kernel_lowerILb1ELi64ELi4ELi33ELi32ELi16ElPK19rocblas_complex_numIfES3_PS1_EviT6_lT7_lT5_lS6_lS7_lS5_lT8_i.uses_flat_scratch, 0
	.set _ZL26rocblas_hemvn_kernel_lowerILb1ELi64ELi4ELi33ELi32ELi16ElPK19rocblas_complex_numIfES3_PS1_EviT6_lT7_lT5_lS6_lS7_lS5_lT8_i.has_dyn_sized_stack, 0
	.set _ZL26rocblas_hemvn_kernel_lowerILb1ELi64ELi4ELi33ELi32ELi16ElPK19rocblas_complex_numIfES3_PS1_EviT6_lT7_lT5_lS6_lS7_lS5_lT8_i.has_recursion, 0
	.set _ZL26rocblas_hemvn_kernel_lowerILb1ELi64ELi4ELi33ELi32ELi16ElPK19rocblas_complex_numIfES3_PS1_EviT6_lT7_lT5_lS6_lS7_lS5_lT8_i.has_indirect_call, 0
	.section	.AMDGPU.csdata,"",@progbits
; Kernel info:
; codeLenInByte = 8396
; TotalNumSgprs: 34
; NumVgprs: 117
; ScratchSize: 0
; MemoryBound: 1
; FloatMode: 240
; IeeeMode: 1
; LDSByteSize: 9600 bytes/workgroup (compile time only)
; SGPRBlocks: 0
; VGPRBlocks: 14
; NumSGPRsForWavesPerEU: 34
; NumVGPRsForWavesPerEU: 117
; Occupancy: 8
; WaveLimiterHint : 0
; COMPUTE_PGM_RSRC2:SCRATCH_EN: 0
; COMPUTE_PGM_RSRC2:USER_SGPR: 6
; COMPUTE_PGM_RSRC2:TRAP_HANDLER: 0
; COMPUTE_PGM_RSRC2:TGID_X_EN: 1
; COMPUTE_PGM_RSRC2:TGID_Y_EN: 0
; COMPUTE_PGM_RSRC2:TGID_Z_EN: 1
; COMPUTE_PGM_RSRC2:TIDIG_COMP_CNT: 1
	.section	.text._ZL36rocblas_hemvn_kernel_lower_block_sumILi64ElPK19rocblas_complex_numIfEPS1_S1_EviT1_lS5_lT2_lT0_lPT3_i,"axG",@progbits,_ZL36rocblas_hemvn_kernel_lower_block_sumILi64ElPK19rocblas_complex_numIfEPS1_S1_EviT1_lS5_lT2_lT0_lPT3_i,comdat
	.globl	_ZL36rocblas_hemvn_kernel_lower_block_sumILi64ElPK19rocblas_complex_numIfEPS1_S1_EviT1_lS5_lT2_lT0_lPT3_i ; -- Begin function _ZL36rocblas_hemvn_kernel_lower_block_sumILi64ElPK19rocblas_complex_numIfEPS1_S1_EviT1_lS5_lT2_lT0_lPT3_i
	.p2align	8
	.type	_ZL36rocblas_hemvn_kernel_lower_block_sumILi64ElPK19rocblas_complex_numIfEPS1_S1_EviT1_lS5_lT2_lT0_lPT3_i,@function
_ZL36rocblas_hemvn_kernel_lower_block_sumILi64ElPK19rocblas_complex_numIfEPS1_S1_EviT1_lS5_lT2_lT0_lPT3_i: ; @_ZL36rocblas_hemvn_kernel_lower_block_sumILi64ElPK19rocblas_complex_numIfEPS1_S1_EviT1_lS5_lT2_lT0_lPT3_i
; %bb.0:
	s_load_dwordx8 s[8:15], s[4:5], 0x8
	s_waitcnt lgkmcnt(0)
	s_mul_i32 s1, s11, s7
	s_mul_hi_u32 s2, s10, s7
	s_mul_i32 s0, s10, s7
	s_add_i32 s1, s2, s1
	s_mul_i32 s2, s15, s7
	s_lshl_b64 s[0:1], s[0:1], 3
	s_add_u32 s0, s8, s0
	s_addc_u32 s1, s9, s1
	s_load_dwordx2 s[10:11], s[0:1], 0x0
	s_mul_hi_u32 s1, s14, s7
	s_mul_i32 s0, s14, s7
	s_add_i32 s1, s1, s2
	s_lshl_b64 s[0:1], s[0:1], 3
	s_add_u32 s0, s12, s0
	s_addc_u32 s1, s13, s1
	s_load_dwordx2 s[8:9], s[0:1], 0x0
	s_waitcnt lgkmcnt(0)
	s_or_b32 s0, s10, s11
	s_bitset0_b32 s0, 31
	s_cmp_eq_u32 s0, 0
	s_cselect_b32 s13, -1, 0
	s_cmp_lg_u32 s0, 0
	s_mov_b32 s0, -1
	s_cbranch_scc1 .LBB9_2
; %bb.1:
	v_cmp_neq_f32_e64 s0, s8, 1.0
	v_cmp_neq_f32_e64 s1, s9, 0
	s_or_b32 s0, s0, s1
.LBB9_2:
	s_andn2_b32 vcc_lo, exec_lo, s0
	s_cbranch_vccnz .LBB9_19
; %bb.3:
	s_clause 0x3
	s_load_dwordx2 s[14:15], s[4:5], 0x40
	s_load_dwordx2 s[16:17], s[4:5], 0x28
	s_load_dwordx4 s[0:3], s[4:5], 0x30
	s_load_dword s12, s[4:5], 0x0
	v_lshl_or_b32 v0, s6, 6, v0
	s_waitcnt lgkmcnt(0)
	s_mul_i32 s15, s15, s7
	s_mul_hi_u32 s18, s14, s7
	s_mul_i32 s14, s14, s7
	s_add_i32 s15, s18, s15
	s_lshl_b64 s[14:15], s[14:15], 3
	s_add_u32 s16, s16, s14
	s_addc_u32 s17, s17, s15
	s_lshl_b64 s[14:15], s[0:1], 3
	v_cmp_gt_i32_e64 s0, s12, v0
	s_add_u32 s14, s16, s14
	s_addc_u32 s15, s17, s15
	s_andn2_b32 vcc_lo, exec_lo, s13
	s_mov_b32 s1, -1
	s_cbranch_vccnz .LBB9_9
; %bb.4:
	s_and_saveexec_b32 s1, s0
	s_cbranch_execz .LBB9_8
; %bb.5:
	v_ashrrev_i32_e32 v1, 31, v0
	v_mul_lo_u32 v3, s3, v0
	v_cmp_neq_f32_e64 s0, s8, 0
	v_cmp_neq_f32_e64 s13, s9, 0
	v_mul_lo_u32 v4, s2, v1
	v_mad_u64_u32 v[1:2], null, s2, v0, 0
	s_or_b32 s0, s0, s13
	s_andn2_b32 vcc_lo, exec_lo, s0
	v_add3_u32 v2, v2, v4, v3
	v_mov_b32_e32 v3, 0
	v_mov_b32_e32 v4, 0
	v_lshlrev_b64 v[1:2], 3, v[1:2]
	s_cbranch_vccnz .LBB9_7
; %bb.6:
	v_add_co_u32 v3, vcc_lo, s14, v1
	v_add_co_ci_u32_e64 v4, null, s15, v2, vcc_lo
	global_load_dwordx2 v[5:6], v[3:4], off
	s_waitcnt vmcnt(0)
	v_mul_f32_e32 v3, s9, v6
	v_mul_f32_e32 v4, s8, v6
	v_fma_f32 v3, v5, s8, -v3
	v_fmac_f32_e32 v4, s9, v5
.LBB9_7:
	v_add_co_u32 v1, vcc_lo, s14, v1
	v_add_co_ci_u32_e64 v2, null, s15, v2, vcc_lo
	global_store_dwordx2 v[1:2], v[3:4], off
.LBB9_8:
	s_or_b32 exec_lo, exec_lo, s1
	s_mov_b32 s1, 0
.LBB9_9:
	s_andn2_b32 vcc_lo, exec_lo, s1
	s_cbranch_vccnz .LBB9_19
; %bb.10:
	s_mov_b32 s0, exec_lo
	v_cmpx_gt_i32_e64 s12, v0
	s_cbranch_execz .LBB9_19
; %bb.11:
	s_load_dword s16, s[4:5], 0x58
	v_mov_b32_e32 v3, 0
	v_mov_b32_e32 v4, 0
	s_waitcnt lgkmcnt(0)
	s_cmp_ge_i32 s6, s16
	s_cbranch_scc1 .LBB9_14
; %bb.12:
	s_load_dwordx2 s[0:1], s[4:5], 0x48
	v_mad_u64_u32 v[1:2], null, s12, s6, v[0:1]
	s_ashr_i32 s13, s12, 31
	s_mul_hi_u32 s4, s12, s7
	s_mul_i32 s5, s13, s7
	s_mul_i32 s7, s12, s7
	s_add_i32 s4, s4, s5
	s_mul_hi_u32 s5, s7, s16
	v_ashrrev_i32_e32 v2, 31, v1
	s_mul_i32 s17, s4, s16
	s_mul_i32 s4, s7, s16
	s_add_i32 s5, s5, s17
	v_mov_b32_e32 v3, 0
	v_lshlrev_b64 v[1:2], 3, v[1:2]
	s_lshl_b64 s[4:5], s[4:5], 3
	v_mov_b32_e32 v4, 0
	s_waitcnt lgkmcnt(0)
	s_add_u32 s0, s0, s4
	s_addc_u32 s1, s1, s5
	v_add_co_u32 v1, vcc_lo, s0, v1
	v_add_co_ci_u32_e64 v2, null, s1, v2, vcc_lo
	s_lshl_b64 s[0:1], s[12:13], 3
	v_add_co_u32 v1, vcc_lo, v1, 4
	v_add_co_ci_u32_e64 v2, null, 0, v2, vcc_lo
.LBB9_13:                               ; =>This Inner Loop Header: Depth=1
	global_load_dwordx2 v[5:6], v[1:2], off offset:-4
	v_add_co_u32 v1, vcc_lo, v1, s0
	v_add_co_ci_u32_e64 v2, null, s1, v2, vcc_lo
	s_add_i32 s6, s6, 1
	s_cmp_ge_i32 s6, s16
	s_waitcnt vmcnt(0)
	v_add_f32_e32 v4, v4, v5
	v_add_f32_e32 v3, v3, v6
	s_cbranch_scc0 .LBB9_13
.LBB9_14:
	v_ashrrev_i32_e32 v1, 31, v0
	v_mul_f32_e32 v7, s11, v3
	v_mul_f32_e32 v2, s10, v3
	v_cmp_neq_f32_e64 s0, s8, 0
	v_cmp_neq_f32_e64 s1, s9, 0
	v_mul_lo_u32 v5, s3, v0
	v_mul_lo_u32 v6, s2, v1
	v_fma_f32 v1, v4, s10, -v7
	v_fmac_f32_e32 v2, s11, v4
	s_or_b32 s0, s0, s1
	s_andn2_b32 vcc_lo, exec_lo, s0
	s_mov_b32 s0, 0
	s_cbranch_vccz .LBB9_16
; %bb.15:
	v_mad_u64_u32 v[3:4], null, s2, v0, 0
	v_add3_u32 v4, v4, v6, v5
	s_andn2_b32 vcc_lo, exec_lo, s0
	s_cbranch_vccz .LBB9_17
	s_branch .LBB9_18
.LBB9_16:
                                        ; implicit-def: $vgpr3_vgpr4
.LBB9_17:
	v_mad_u64_u32 v[3:4], null, s2, v0, 0
	v_add3_u32 v4, v4, v6, v5
	v_lshlrev_b64 v[5:6], 3, v[3:4]
	v_add_co_u32 v5, vcc_lo, s14, v5
	v_add_co_ci_u32_e64 v6, null, s15, v6, vcc_lo
	global_load_dwordx2 v[5:6], v[5:6], off
	s_waitcnt vmcnt(0)
	v_mul_f32_e32 v0, s9, v6
	v_mul_f32_e32 v6, s8, v6
	v_fma_f32 v0, v5, s8, -v0
	v_fmac_f32_e32 v6, s9, v5
	v_add_f32_e32 v1, v1, v0
	v_add_f32_e32 v2, v2, v6
.LBB9_18:
	v_lshlrev_b64 v[3:4], 3, v[3:4]
	v_add_co_u32 v3, vcc_lo, s14, v3
	v_add_co_ci_u32_e64 v4, null, s15, v4, vcc_lo
	global_store_dwordx2 v[3:4], v[1:2], off
.LBB9_19:
	s_endpgm
	.section	.rodata,"a",@progbits
	.p2align	6, 0x0
	.amdhsa_kernel _ZL36rocblas_hemvn_kernel_lower_block_sumILi64ElPK19rocblas_complex_numIfEPS1_S1_EviT1_lS5_lT2_lT0_lPT3_i
		.amdhsa_group_segment_fixed_size 0
		.amdhsa_private_segment_fixed_size 0
		.amdhsa_kernarg_size 344
		.amdhsa_user_sgpr_count 6
		.amdhsa_user_sgpr_private_segment_buffer 1
		.amdhsa_user_sgpr_dispatch_ptr 0
		.amdhsa_user_sgpr_queue_ptr 0
		.amdhsa_user_sgpr_kernarg_segment_ptr 1
		.amdhsa_user_sgpr_dispatch_id 0
		.amdhsa_user_sgpr_flat_scratch_init 0
		.amdhsa_user_sgpr_private_segment_size 0
		.amdhsa_wavefront_size32 1
		.amdhsa_uses_dynamic_stack 0
		.amdhsa_system_sgpr_private_segment_wavefront_offset 0
		.amdhsa_system_sgpr_workgroup_id_x 1
		.amdhsa_system_sgpr_workgroup_id_y 0
		.amdhsa_system_sgpr_workgroup_id_z 1
		.amdhsa_system_sgpr_workgroup_info 0
		.amdhsa_system_vgpr_workitem_id 0
		.amdhsa_next_free_vgpr 8
		.amdhsa_next_free_sgpr 19
		.amdhsa_reserve_vcc 1
		.amdhsa_reserve_flat_scratch 0
		.amdhsa_float_round_mode_32 0
		.amdhsa_float_round_mode_16_64 0
		.amdhsa_float_denorm_mode_32 3
		.amdhsa_float_denorm_mode_16_64 3
		.amdhsa_dx10_clamp 1
		.amdhsa_ieee_mode 1
		.amdhsa_fp16_overflow 0
		.amdhsa_workgroup_processor_mode 1
		.amdhsa_memory_ordered 1
		.amdhsa_forward_progress 1
		.amdhsa_shared_vgpr_count 0
		.amdhsa_exception_fp_ieee_invalid_op 0
		.amdhsa_exception_fp_denorm_src 0
		.amdhsa_exception_fp_ieee_div_zero 0
		.amdhsa_exception_fp_ieee_overflow 0
		.amdhsa_exception_fp_ieee_underflow 0
		.amdhsa_exception_fp_ieee_inexact 0
		.amdhsa_exception_int_div_zero 0
	.end_amdhsa_kernel
	.section	.text._ZL36rocblas_hemvn_kernel_lower_block_sumILi64ElPK19rocblas_complex_numIfEPS1_S1_EviT1_lS5_lT2_lT0_lPT3_i,"axG",@progbits,_ZL36rocblas_hemvn_kernel_lower_block_sumILi64ElPK19rocblas_complex_numIfEPS1_S1_EviT1_lS5_lT2_lT0_lPT3_i,comdat
.Lfunc_end9:
	.size	_ZL36rocblas_hemvn_kernel_lower_block_sumILi64ElPK19rocblas_complex_numIfEPS1_S1_EviT1_lS5_lT2_lT0_lPT3_i, .Lfunc_end9-_ZL36rocblas_hemvn_kernel_lower_block_sumILi64ElPK19rocblas_complex_numIfEPS1_S1_EviT1_lS5_lT2_lT0_lPT3_i
                                        ; -- End function
	.set _ZL36rocblas_hemvn_kernel_lower_block_sumILi64ElPK19rocblas_complex_numIfEPS1_S1_EviT1_lS5_lT2_lT0_lPT3_i.num_vgpr, 8
	.set _ZL36rocblas_hemvn_kernel_lower_block_sumILi64ElPK19rocblas_complex_numIfEPS1_S1_EviT1_lS5_lT2_lT0_lPT3_i.num_agpr, 0
	.set _ZL36rocblas_hemvn_kernel_lower_block_sumILi64ElPK19rocblas_complex_numIfEPS1_S1_EviT1_lS5_lT2_lT0_lPT3_i.numbered_sgpr, 19
	.set _ZL36rocblas_hemvn_kernel_lower_block_sumILi64ElPK19rocblas_complex_numIfEPS1_S1_EviT1_lS5_lT2_lT0_lPT3_i.num_named_barrier, 0
	.set _ZL36rocblas_hemvn_kernel_lower_block_sumILi64ElPK19rocblas_complex_numIfEPS1_S1_EviT1_lS5_lT2_lT0_lPT3_i.private_seg_size, 0
	.set _ZL36rocblas_hemvn_kernel_lower_block_sumILi64ElPK19rocblas_complex_numIfEPS1_S1_EviT1_lS5_lT2_lT0_lPT3_i.uses_vcc, 1
	.set _ZL36rocblas_hemvn_kernel_lower_block_sumILi64ElPK19rocblas_complex_numIfEPS1_S1_EviT1_lS5_lT2_lT0_lPT3_i.uses_flat_scratch, 0
	.set _ZL36rocblas_hemvn_kernel_lower_block_sumILi64ElPK19rocblas_complex_numIfEPS1_S1_EviT1_lS5_lT2_lT0_lPT3_i.has_dyn_sized_stack, 0
	.set _ZL36rocblas_hemvn_kernel_lower_block_sumILi64ElPK19rocblas_complex_numIfEPS1_S1_EviT1_lS5_lT2_lT0_lPT3_i.has_recursion, 0
	.set _ZL36rocblas_hemvn_kernel_lower_block_sumILi64ElPK19rocblas_complex_numIfEPS1_S1_EviT1_lS5_lT2_lT0_lPT3_i.has_indirect_call, 0
	.section	.AMDGPU.csdata,"",@progbits
; Kernel info:
; codeLenInByte = 860
; TotalNumSgprs: 21
; NumVgprs: 8
; ScratchSize: 0
; MemoryBound: 0
; FloatMode: 240
; IeeeMode: 1
; LDSByteSize: 0 bytes/workgroup (compile time only)
; SGPRBlocks: 0
; VGPRBlocks: 0
; NumSGPRsForWavesPerEU: 21
; NumVGPRsForWavesPerEU: 8
; Occupancy: 16
; WaveLimiterHint : 0
; COMPUTE_PGM_RSRC2:SCRATCH_EN: 0
; COMPUTE_PGM_RSRC2:USER_SGPR: 6
; COMPUTE_PGM_RSRC2:TRAP_HANDLER: 0
; COMPUTE_PGM_RSRC2:TGID_X_EN: 1
; COMPUTE_PGM_RSRC2:TGID_Y_EN: 0
; COMPUTE_PGM_RSRC2:TGID_Z_EN: 1
; COMPUTE_PGM_RSRC2:TIDIG_COMP_CNT: 0
	.section	.text._ZL26rocblas_hemvn_kernel_lowerILb1ELi64ELi4ELi33ELi32ELi16EiPK19rocblas_complex_numIfES3_PS1_EviT6_lT7_lT5_lS6_lS7_lS5_lT8_i,"axG",@progbits,_ZL26rocblas_hemvn_kernel_lowerILb1ELi64ELi4ELi33ELi32ELi16EiPK19rocblas_complex_numIfES3_PS1_EviT6_lT7_lT5_lS6_lS7_lS5_lT8_i,comdat
	.globl	_ZL26rocblas_hemvn_kernel_lowerILb1ELi64ELi4ELi33ELi32ELi16EiPK19rocblas_complex_numIfES3_PS1_EviT6_lT7_lT5_lS6_lS7_lS5_lT8_i ; -- Begin function _ZL26rocblas_hemvn_kernel_lowerILb1ELi64ELi4ELi33ELi32ELi16EiPK19rocblas_complex_numIfES3_PS1_EviT6_lT7_lT5_lS6_lS7_lS5_lT8_i
	.p2align	8
	.type	_ZL26rocblas_hemvn_kernel_lowerILb1ELi64ELi4ELi33ELi32ELi16EiPK19rocblas_complex_numIfES3_PS1_EviT6_lT7_lT5_lS6_lS7_lS5_lT8_i,@function
_ZL26rocblas_hemvn_kernel_lowerILb1ELi64ELi4ELi33ELi32ELi16EiPK19rocblas_complex_numIfES3_PS1_EviT6_lT7_lT5_lS6_lS7_lS5_lT8_i: ; @_ZL26rocblas_hemvn_kernel_lowerILb1ELi64ELi4ELi33ELi32ELi16EiPK19rocblas_complex_numIfES3_PS1_EviT6_lT7_lT5_lS6_lS7_lS5_lT8_i
; %bb.0:
	s_load_dwordx2 s[2:3], s[4:5], 0x84
	s_add_u32 s0, s4, 0x78
	s_addc_u32 s1, s5, 0
	s_waitcnt lgkmcnt(0)
	s_lshr_b32 s8, s2, 16
	s_and_b32 s2, s2, 0xffff
	s_and_b32 s3, s3, 0xffff
	s_mul_i32 s2, s8, s2
	s_mul_i32 s2, s2, s3
	s_cmpk_lg_i32 s2, 0x100
	s_cbranch_scc1 .LBB10_151
; %bb.1:
	s_load_dwordx8 s[12:19], s[4:5], 0x8
	v_mov_b32_e32 v2, v1
	s_waitcnt lgkmcnt(0)
	s_mul_i32 s2, s15, s7
	s_mul_hi_u32 s3, s14, s7
	s_add_i32 s3, s3, s2
	s_mul_i32 s2, s14, s7
	s_lshl_b64 s[2:3], s[2:3], 3
	s_add_u32 s2, s12, s2
	s_addc_u32 s3, s13, s3
	s_load_dwordx2 s[2:3], s[2:3], 0x0
	s_load_dwordx8 s[8:15], s[4:5], 0x50
	s_waitcnt lgkmcnt(0)
	s_or_b32 s2, s2, s3
	s_mov_b32 s3, -1
	s_bitset0_b32 s2, 31
	s_cmp_lg_u32 s2, 0
	s_cselect_b32 s2, -1, 0
	s_and_b32 vcc_lo, exec_lo, s2
	s_cbranch_vccnz .LBB10_3
; %bb.2:
	s_mul_i32 s3, s13, s7
	s_mul_hi_u32 s13, s12, s7
	s_mul_i32 s12, s12, s7
	s_add_i32 s13, s13, s3
	s_lshl_b64 s[12:13], s[12:13], 3
	s_add_u32 s10, s10, s12
	s_addc_u32 s11, s11, s13
	s_load_dwordx2 s[10:11], s[10:11], 0x0
	s_waitcnt lgkmcnt(0)
	v_cmp_neq_f32_e64 s3, s10, 1.0
	v_cmp_neq_f32_e64 s10, s11, 0
	s_or_b32 s3, s3, s10
.LBB10_3:
	s_andn2_b32 vcc_lo, exec_lo, s3
	s_cbranch_vccnz .LBB10_151
; %bb.4:
	s_andn2_b32 vcc_lo, exec_lo, s2
	s_cbranch_vccnz .LBB10_151
; %bb.5:
	s_clause 0x2
	s_load_dwordx4 s[20:23], s[4:5], 0x30
	s_load_dwordx2 s[2:3], s[4:5], 0x40
	s_load_dword s24, s[4:5], 0x48
	s_mul_i32 s9, s9, s7
	s_mul_hi_u32 s10, s8, s7
	s_mul_i32 s8, s8, s7
	s_add_i32 s9, s10, s9
	s_load_dword s25, s[4:5], 0x0
	s_lshl_b64 s[8:9], s[8:9], 3
	s_load_dword s26, s[0:1], 0x0
	s_waitcnt lgkmcnt(0)
	s_add_u32 s8, s22, s8
	s_addc_u32 s9, s23, s9
	s_lshl_b64 s[2:3], s[2:3], 3
	s_add_u32 s2, s8, s2
	s_addc_u32 s3, s9, s3
	s_lshl_b32 s10, s6, 6
	s_ashr_i32 s27, s25, 31
	v_add_nc_u32_e32 v35, s10, v0
	s_lshr_b32 s0, s27, 26
	s_add_i32 s8, s26, -1
	s_add_i32 s1, s25, s0
	v_cmp_ne_u32_e64 s0, 0, v2
	v_mul_lo_u32 v3, s24, v35
	s_andn2_b32 s1, s1, 63
	s_sub_i32 s9, s25, s1
	v_cmp_eq_u32_e64 s1, 0, v2
	s_cmp_eq_u32 s6, s8
	s_cselect_b32 s12, s9, 0
	v_ashrrev_i32_e32 v4, 31, v3
	v_lshlrev_b64 v[3:4], 3, v[3:4]
	v_add_co_u32 v19, vcc_lo, s2, v3
	v_add_co_ci_u32_e64 v20, null, s3, v4, vcc_lo
	s_mov_b32 s2, -1
	s_and_saveexec_b32 s3, s1
	s_cbranch_execz .LBB10_10
; %bb.6:
	v_cmp_le_i32_e32 vcc_lo, s12, v0
	s_cmp_lg_u32 s12, 0
	v_lshl_add_u32 v1, v0, 3, 0x2380
	s_cselect_b32 s8, -1, 0
	s_and_b32 s8, s8, vcc_lo
	s_and_saveexec_b32 s9, s8
	s_xor_b32 s8, exec_lo, s9
; %bb.7:
	v_mov_b32_e32 v3, 0
	v_mov_b32_e32 v4, v3
	ds_write_b64 v1, v[3:4]
                                        ; implicit-def: $vgpr1
; %bb.8:
	s_andn2_saveexec_b32 s8, s8
	s_cbranch_execz .LBB10_10
; %bb.9:
	global_load_dwordx2 v[3:4], v[19:20], off
	s_waitcnt vmcnt(0)
	ds_write_b64 v1, v[3:4]
.LBB10_10:
	s_or_b32 exec_lo, exec_lo, s3
	s_load_dword s22, s[4:5], 0x28
	v_lshl_add_u32 v25, v2, 6, v0
	v_and_b32_e32 v1, 31, v0
	s_mul_i32 s3, s21, s7
	s_mul_hi_u32 s5, s20, s7
	s_mul_i32 s4, s20, s7
	v_lshrrev_b32_e32 v7, 5, v25
	s_add_i32 s5, s5, s3
	s_lshl_b64 s[4:5], s[4:5], 3
	s_add_u32 s3, s16, s4
	s_addc_u32 s8, s17, s5
	s_lshl_b64 s[4:5], s[18:19], 3
	s_add_u32 s3, s3, s4
	s_addc_u32 s8, s8, s5
	s_ashr_i32 s11, s10, 31
	s_lshl_b64 s[4:5], s[10:11], 3
	s_waitcnt lgkmcnt(0)
	v_mad_u64_u32 v[3:4], null, s22, v7, v[1:2]
	s_add_u32 s3, s3, s4
	s_mul_i32 s4, s22, s10
	s_addc_u32 s8, s8, s5
	s_ashr_i32 s5, s4, 31
	s_lshl_b64 s[16:17], s[4:5], 3
	v_ashrrev_i32_e32 v4, 31, v3
	s_cmp_lg_u32 s12, 0
	s_cselect_b32 s11, -1, 0
	s_cmp_eq_u32 s12, 0
	v_lshlrev_b64 v[21:22], 3, v[3:4]
	s_cselect_b32 s9, -1, 0
	v_add_co_u32 v3, vcc_lo, s3, v21
	v_add_co_ci_u32_e64 v4, null, s8, v22, vcc_lo
	v_add_co_u32 v3, vcc_lo, v3, s16
	v_add_co_ci_u32_e64 v4, null, s17, v4, vcc_lo
	s_and_b32 vcc_lo, exec_lo, s11
	s_cbranch_vccnz .LBB10_12
; %bb.11:
	s_lshl_b32 s2, s22, 3
	s_ashr_i32 s23, s22, 31
	s_ashr_i32 s3, s2, 31
	v_mul_u32_u24_e32 v14, 0x108, v7
	s_lshl_b64 s[2:3], s[2:3], 3
	v_add_co_u32 v5, vcc_lo, v3, s2
	v_add_co_ci_u32_e64 v6, null, s3, v4, vcc_lo
	s_lshl_b64 s[2:3], s[22:23], 6
	v_lshl_add_u32 v14, v1, 3, v14
	v_add_co_u32 v8, vcc_lo, v5, s2
	v_add_co_ci_u32_e64 v9, null, s3, v6, vcc_lo
	v_add_co_u32 v10, vcc_lo, v8, s2
	v_add_co_ci_u32_e64 v11, null, s3, v9, vcc_lo
	s_clause 0x3
	global_load_dwordx2 v[12:13], v[3:4], off
	global_load_dwordx2 v[5:6], v[5:6], off
	;; [unrolled: 1-line block ×4, first 2 shown]
	s_mov_b32 s2, 0
	s_waitcnt vmcnt(3)
	ds_write_b64 v14, v[12:13]
	s_waitcnt vmcnt(2)
	ds_write_b64 v14, v[5:6] offset:2112
	s_waitcnt vmcnt(1)
	ds_write_b64 v14, v[8:9] offset:4224
	s_waitcnt vmcnt(0)
	ds_write_b64 v14, v[10:11] offset:6336
.LBB10_12:
	v_lshlrev_b32_e32 v8, 3, v1
	s_andn2_b32 vcc_lo, exec_lo, s2
	s_cbranch_vccnz .LBB10_30
; %bb.13:
	v_sub_co_u32 v5, vcc_lo, v3, v8
	s_ashr_i32 s13, s12, 31
	v_subrev_co_ci_u32_e64 v6, null, 0, v4, vcc_lo
	s_lshl_b64 s[4:5], s[12:13], 3
	v_cmp_le_i32_e64 s2, s12, v7
	v_add_co_u32 v5, vcc_lo, v5, s4
	v_add_co_ci_u32_e64 v6, null, s5, v6, vcc_lo
	v_mul_u32_u24_e32 v9, 0x108, v7
	v_add_co_u32 v5, vcc_lo, v5, -8
	v_add_co_ci_u32_e64 v6, null, -1, v6, vcc_lo
	v_cmp_gt_i32_e32 vcc_lo, s12, v1
	v_cndmask_b32_e32 v6, v6, v4, vcc_lo
	v_cndmask_b32_e32 v5, v5, v3, vcc_lo
	s_and_saveexec_b32 s3, s2
	s_xor_b32 s2, exec_lo, s3
	s_cbranch_execz .LBB10_15
; %bb.14:
	v_mov_b32_e32 v10, 0
	v_add_nc_u32_e32 v12, v8, v9
	v_mov_b32_e32 v11, v10
	ds_write_b64 v12, v[10:11]
.LBB10_15:
	s_andn2_saveexec_b32 s2, s2
	s_cbranch_execz .LBB10_17
; %bb.16:
	global_load_dwordx2 v[10:11], v[5:6], off
	v_add_nc_u32_e32 v12, v8, v9
	s_waitcnt vmcnt(0)
	ds_write_b64 v12, v[10:11]
.LBB10_17:
	s_or_b32 exec_lo, exec_lo, s2
	v_add_nc_u32_e32 v10, 8, v7
	v_cmp_le_i32_e64 s2, s12, v10
	s_and_saveexec_b32 s3, s2
	s_xor_b32 s2, exec_lo, s3
	s_cbranch_execz .LBB10_19
; %bb.18:
	v_mov_b32_e32 v10, 0
	v_add_nc_u32_e32 v12, v9, v8
	v_mov_b32_e32 v11, v10
	ds_write_b64 v12, v[10:11] offset:2112
.LBB10_19:
	s_andn2_saveexec_b32 s3, s2
	s_cbranch_execz .LBB10_21
; %bb.20:
	s_lshl_b32 s18, s22, 3
	v_add_nc_u32_e32 v12, v9, v8
	s_ashr_i32 s19, s18, 31
	s_lshl_b64 s[18:19], s[18:19], 3
	v_add_co_u32 v10, s2, v5, s18
	v_add_co_ci_u32_e64 v11, null, s19, v6, s2
	global_load_dwordx2 v[10:11], v[10:11], off
	s_waitcnt vmcnt(0)
	ds_write_b64 v12, v[10:11] offset:2112
.LBB10_21:
	s_or_b32 exec_lo, exec_lo, s3
	v_add_nc_u32_e32 v10, 16, v7
	v_cmp_le_i32_e64 s2, s12, v10
	s_and_saveexec_b32 s3, s2
	s_xor_b32 s2, exec_lo, s3
	s_cbranch_execz .LBB10_23
; %bb.22:
	v_mov_b32_e32 v10, 0
	v_add_nc_u32_e32 v12, v9, v8
	v_mov_b32_e32 v11, v10
	ds_write_b64 v12, v[10:11] offset:4224
.LBB10_23:
	s_andn2_saveexec_b32 s3, s2
	s_cbranch_execz .LBB10_25
; %bb.24:
	s_lshl_b32 s18, s22, 4
	v_add_nc_u32_e32 v12, v9, v8
	s_ashr_i32 s19, s18, 31
	s_lshl_b64 s[18:19], s[18:19], 3
	v_add_co_u32 v10, s2, v5, s18
	v_add_co_ci_u32_e64 v11, null, s19, v6, s2
	global_load_dwordx2 v[10:11], v[10:11], off
	s_waitcnt vmcnt(0)
	ds_write_b64 v12, v[10:11] offset:4224
.LBB10_25:
	s_or_b32 exec_lo, exec_lo, s3
	v_add_nc_u32_e32 v10, 24, v7
	v_cmp_le_i32_e64 s2, s12, v10
	s_and_saveexec_b32 s3, s2
	s_xor_b32 s2, exec_lo, s3
	s_cbranch_execz .LBB10_27
; %bb.26:
	v_mov_b32_e32 v10, 0
	v_add_nc_u32_e32 v9, v9, v8
	v_mov_b32_e32 v11, v10
	ds_write_b64 v9, v[10:11] offset:6336
                                        ; implicit-def: $vgpr9
.LBB10_27:
	s_andn2_saveexec_b32 s3, s2
	s_cbranch_execz .LBB10_29
; %bb.28:
	s_mul_i32 s18, s22, 24
	v_add_nc_u32_e32 v9, v9, v8
	s_ashr_i32 s19, s18, 31
	s_lshl_b64 s[18:19], s[18:19], 3
	v_add_co_u32 v10, s2, v5, s18
	v_add_co_ci_u32_e64 v11, null, s19, v6, s2
	global_load_dwordx2 v[10:11], v[10:11], off
	s_waitcnt vmcnt(0)
	ds_write_b64 v9, v[10:11] offset:6336
.LBB10_29:
	s_or_b32 exec_lo, exec_lo, s3
	v_add_co_u32 v5, s2, v5, v8
	v_add_co_ci_u32_e64 v6, null, 0, v6, s2
	v_sub_co_u32 v5, s2, v5, s4
	v_subrev_co_ci_u32_e64 v6, null, s5, v6, s2
	v_add_co_u32 v5, s2, v5, 8
	v_add_co_ci_u32_e64 v6, null, 0, v6, s2
	v_cndmask_b32_e32 v3, v5, v3, vcc_lo
	v_cndmask_b32_e32 v4, v6, v4, vcc_lo
.LBB10_30:
	v_lshlrev_b32_e32 v5, 2, v7
	v_mul_u32_u24_e32 v6, 0x108, v1
	s_mov_b32 s2, 0
	s_waitcnt lgkmcnt(0)
	s_barrier
	v_cmp_ge_u32_e64 s3, v5, v1
	buffer_gl0_inv
                                        ; implicit-def: $vgpr10
	s_and_saveexec_b32 s4, s3
	s_xor_b32 s4, exec_lo, s4
	s_cbranch_execz .LBB10_34
; %bb.31:
	s_mov_b32 s5, exec_lo
                                        ; implicit-def: $vgpr10
	v_cmpx_eq_u32_e64 v5, v1
	s_xor_b32 s5, exec_lo, s5
; %bb.32:
	v_add_nc_u32_e32 v10, v8, v6
	s_mov_b32 s2, exec_lo
; %bb.33:
	s_or_b32 exec_lo, exec_lo, s5
	s_and_b32 s2, s2, exec_lo
.LBB10_34:
	s_or_saveexec_b32 s4, s4
	v_lshl_or_b32 v9, v1, 8, v8
	v_mov_b32_e32 v11, 0
	v_mad_u32_u24 v13, 0x420, v7, v8
	s_xor_b32 exec_lo, exec_lo, s4
	s_cbranch_execz .LBB10_36
; %bb.35:
	ds_read_b64 v[14:15], v13
	v_lshl_add_u32 v10, v5, 3, v9
	s_or_b32 s2, s2, exec_lo
	s_waitcnt lgkmcnt(0)
	v_xor_b32_e32 v11, 0x80000000, v15
	ds_write_b32 v10, v14
.LBB10_36:
	s_or_b32 exec_lo, exec_lo, s4
	s_and_saveexec_b32 s4, s2
; %bb.37:
	ds_write_b32 v10, v11 offset:4
; %bb.38:
	s_or_b32 exec_lo, exec_lo, s4
	v_or_b32_e32 v10, 1, v5
	s_mov_b32 s2, 0
                                        ; implicit-def: $vgpr11
	v_cmp_ge_u32_e64 s4, v10, v1
	s_and_saveexec_b32 s5, s4
	s_xor_b32 s5, exec_lo, s5
	s_cbranch_execz .LBB10_42
; %bb.39:
	s_mov_b32 s8, exec_lo
                                        ; implicit-def: $vgpr11
	v_cmpx_eq_u32_e64 v10, v1
; %bb.40:
	v_add_nc_u32_e32 v11, v8, v6
	s_mov_b32 s2, exec_lo
; %bb.41:
	s_or_b32 exec_lo, exec_lo, s8
	s_and_b32 s2, s2, exec_lo
.LBB10_42:
	s_or_saveexec_b32 s5, s5
	v_mov_b32_e32 v12, 0
	v_mad_u32_u24 v14, 0x108, v10, v8
	s_xor_b32 exec_lo, exec_lo, s5
	s_cbranch_execz .LBB10_44
; %bb.43:
	ds_read_b64 v[15:16], v14
	v_lshl_add_u32 v17, v5, 3, v9
	s_or_b32 s2, s2, exec_lo
	v_add_nc_u32_e32 v11, 8, v17
	s_waitcnt lgkmcnt(0)
	v_xor_b32_e32 v12, 0x80000000, v16
	ds_write_b32 v17, v15 offset:8
.LBB10_44:
	s_or_b32 exec_lo, exec_lo, s5
	s_and_saveexec_b32 s5, s2
; %bb.45:
	ds_write_b32 v11, v12 offset:4
; %bb.46:
	s_or_b32 exec_lo, exec_lo, s5
	v_or_b32_e32 v11, 2, v5
	s_mov_b32 s2, 0
                                        ; implicit-def: $vgpr12
	v_cmp_ge_u32_e64 s5, v11, v1
	s_and_saveexec_b32 s8, s5
	s_xor_b32 s8, exec_lo, s8
	s_cbranch_execnz .LBB10_104
; %bb.47:
	s_or_saveexec_b32 s8, s8
	v_mov_b32_e32 v15, 0
	s_xor_b32 exec_lo, exec_lo, s8
	s_cbranch_execnz .LBB10_107
.LBB10_48:
	s_or_b32 exec_lo, exec_lo, s8
	s_and_saveexec_b32 s8, s2
.LBB10_49:
	ds_write_b32 v12, v15 offset:4
.LBB10_50:
	s_or_b32 exec_lo, exec_lo, s8
	v_or_b32_e32 v12, 3, v5
	s_mov_b32 s2, 0
                                        ; implicit-def: $vgpr15
	v_cmp_ge_u32_e64 s8, v12, v1
	s_and_saveexec_b32 s13, s8
	s_xor_b32 s13, exec_lo, s13
	s_cbranch_execnz .LBB10_108
; %bb.51:
	s_or_saveexec_b32 s13, s13
	v_mov_b32_e32 v16, 0
	s_xor_b32 exec_lo, exec_lo, s13
	s_cbranch_execnz .LBB10_111
.LBB10_52:
	s_or_b32 exec_lo, exec_lo, s13
	s_and_saveexec_b32 s13, s2
.LBB10_53:
	ds_write_b32 v15, v16 offset:4
.LBB10_54:
	s_or_b32 exec_lo, exec_lo, s13
	v_lshlrev_b32_e32 v9, 3, v5
	s_waitcnt lgkmcnt(0)
	s_barrier
	buffer_gl0_inv
	ds_read_b64 v[23:24], v13
	ds_read_b128 v[15:18], v9 offset:9088
	ds_read2_b64 v[26:29], v14 offset1:33
	ds_read_b128 v[30:33], v9 offset:9104
	ds_read_b64 v[13:14], v14 offset:528
	v_mul_u32_u24_e32 v34, 33, v1
	v_cmp_gt_u32_e64 s2, 32, v25
	s_waitcnt lgkmcnt(0)
	s_barrier
	buffer_gl0_inv
	v_mul_f32_e32 v36, v16, v24
	v_mul_f32_e32 v24, v15, v24
	;; [unrolled: 1-line block ×5, first 2 shown]
	v_fma_f32 v15, v15, v23, -v36
	v_fmac_f32_e32 v24, v16, v23
	v_mul_f32_e32 v29, v30, v29
	v_fma_f32 v17, v17, v26, -v37
	v_fmac_f32_e32 v27, v18, v26
	v_add_f32_e32 v15, 0, v15
	v_add_f32_e32 v18, 0, v24
	v_mul_f32_e32 v16, v33, v14
	v_mul_f32_e32 v14, v32, v14
	v_fma_f32 v23, v30, v28, -v38
	v_fmac_f32_e32 v29, v31, v28
	v_add_f32_e32 v15, v15, v17
	v_add_f32_e32 v17, v18, v27
	v_lshlrev_b32_e32 v26, 3, v34
	v_fma_f32 v16, v32, v13, -v16
	v_fmac_f32_e32 v14, v33, v13
	v_add_f32_e32 v13, v15, v23
	v_add_f32_e32 v15, v17, v29
	v_mov_b32_e32 v36, 0
	v_lshl_add_u32 v27, v7, 3, v26
	v_mov_b32_e32 v37, 0
	v_add_f32_e32 v13, v13, v16
	v_add_f32_e32 v14, v15, v14
	ds_write_b64 v27, v[13:14]
	s_waitcnt lgkmcnt(0)
	s_barrier
	buffer_gl0_inv
	s_and_saveexec_b32 s13, s2
	s_cbranch_execz .LBB10_56
; %bb.55:
	ds_read2_b64 v[13:16], v26 offset1:7
	ds_read2_b64 v[28:31], v26 offset0:1 offset1:2
	ds_read2_b64 v[36:39], v26 offset0:3 offset1:4
	;; [unrolled: 1-line block ×3, first 2 shown]
	s_waitcnt lgkmcnt(2)
	v_add_f32_e32 v13, v28, v13
	v_add_f32_e32 v14, v29, v14
	v_add_f32_e32 v13, v30, v13
	v_add_f32_e32 v14, v31, v14
	s_waitcnt lgkmcnt(1)
	v_add_f32_e32 v13, v13, v36
	v_add_f32_e32 v14, v14, v37
	v_add_f32_e32 v13, v13, v38
	v_add_f32_e32 v14, v14, v39
	s_waitcnt lgkmcnt(0)
	v_add_f32_e32 v13, v13, v40
	v_add_f32_e32 v14, v14, v41
	v_add_f32_e32 v13, v13, v42
	v_add_f32_e32 v14, v14, v43
	v_add_f32_e32 v36, v13, v15
	v_add_f32_e32 v37, v14, v16
.LBB10_56:
	s_or_b32 exec_lo, exec_lo, s13
	s_lshl_b32 s18, s22, 5
	v_cndmask_b32_e64 v13, 0, 1, s9
	s_ashr_i32 s19, s18, 31
	s_lshl_b64 s[18:19], s[18:19], 3
	s_barrier
	v_add_co_u32 v3, vcc_lo, v3, s18
	v_add_co_ci_u32_e64 v4, null, s19, v4, vcc_lo
	buffer_gl0_inv
	v_add_co_u32 v14, vcc_lo, 0x100, v3
	v_add_co_ci_u32_e64 v15, null, 0, v4, vcc_lo
	s_andn2_b32 vcc_lo, exec_lo, s9
	s_mov_b32 s9, -1
	s_cbranch_vccnz .LBB10_58
; %bb.57:
	s_lshl_b32 s20, s22, 3
	s_ashr_i32 s23, s22, 31
	s_ashr_i32 s21, s20, 31
	v_mad_u32_u24 v18, 0x108, v7, v8
	s_lshl_b64 s[20:21], s[20:21], 3
	s_mov_b32 s9, 0
	v_add_co_u32 v16, vcc_lo, v3, s20
	v_add_co_ci_u32_e64 v17, null, s21, v4, vcc_lo
	s_lshl_b64 s[20:21], s[22:23], 6
	v_add_co_u32 v23, vcc_lo, v16, s20
	v_add_co_ci_u32_e64 v24, null, s21, v17, vcc_lo
	v_add_co_u32 v28, vcc_lo, v23, s20
	v_add_co_ci_u32_e64 v29, null, s21, v24, vcc_lo
	s_clause 0x3
	global_load_dwordx2 v[30:31], v[3:4], off offset:256
	global_load_dwordx2 v[16:17], v[16:17], off offset:256
	;; [unrolled: 1-line block ×4, first 2 shown]
	s_waitcnt vmcnt(3)
	ds_write_b64 v18, v[30:31]
	s_waitcnt vmcnt(2)
	ds_write_b64 v18, v[16:17] offset:2112
	s_waitcnt vmcnt(1)
	ds_write_b64 v18, v[23:24] offset:4224
	;; [unrolled: 2-line block ×3, first 2 shown]
.LBB10_58:
	s_andn2_b32 vcc_lo, exec_lo, s9
	s_cbranch_vccnz .LBB10_76
; %bb.59:
	v_sub_co_u32 v3, vcc_lo, v3, v8
	s_ashr_i32 s13, s12, 31
	v_subrev_co_ci_u32_e64 v4, null, 0, v4, vcc_lo
	s_lshl_b64 s[20:21], s[12:13], 3
	v_or_b32_e32 v16, 32, v1
	v_add_co_u32 v3, vcc_lo, v3, s20
	v_add_co_ci_u32_e64 v4, null, s21, v4, vcc_lo
	s_sub_i32 s13, s12, 32
	v_add_co_u32 v3, vcc_lo, v3, -8
	v_add_co_ci_u32_e64 v4, null, -1, v4, vcc_lo
	v_cmp_gt_i32_e32 vcc_lo, s12, v16
	v_cmp_le_i32_e64 s9, s13, v7
	v_mul_u32_u24_e32 v16, 0x108, v7
	v_cndmask_b32_e32 v4, v4, v15, vcc_lo
	v_cndmask_b32_e32 v3, v3, v14, vcc_lo
	s_and_saveexec_b32 s23, s9
	s_xor_b32 s9, exec_lo, s23
	s_cbranch_execz .LBB10_61
; %bb.60:
	v_mov_b32_e32 v17, 0
	v_add_nc_u32_e32 v23, v8, v16
	v_mov_b32_e32 v18, v17
	ds_write_b64 v23, v[17:18]
.LBB10_61:
	s_andn2_saveexec_b32 s9, s9
	s_cbranch_execz .LBB10_63
; %bb.62:
	global_load_dwordx2 v[17:18], v[3:4], off
	v_add_nc_u32_e32 v23, v8, v16
	s_waitcnt vmcnt(0)
	ds_write_b64 v23, v[17:18]
.LBB10_63:
	s_or_b32 exec_lo, exec_lo, s9
	v_add_nc_u32_e32 v17, 8, v7
	v_cmp_le_i32_e64 s9, s13, v17
	s_and_saveexec_b32 s23, s9
	s_xor_b32 s9, exec_lo, s23
	s_cbranch_execz .LBB10_65
; %bb.64:
	v_mov_b32_e32 v17, 0
	v_add_nc_u32_e32 v23, v16, v8
	v_mov_b32_e32 v18, v17
	ds_write_b64 v23, v[17:18] offset:2112
.LBB10_65:
	s_andn2_saveexec_b32 s23, s9
	s_cbranch_execz .LBB10_67
; %bb.66:
	s_lshl_b32 s28, s22, 3
	v_add_nc_u32_e32 v23, v16, v8
	s_ashr_i32 s29, s28, 31
	s_lshl_b64 s[28:29], s[28:29], 3
	v_add_co_u32 v17, s9, v3, s28
	v_add_co_ci_u32_e64 v18, null, s29, v4, s9
	global_load_dwordx2 v[17:18], v[17:18], off
	s_waitcnt vmcnt(0)
	ds_write_b64 v23, v[17:18] offset:2112
.LBB10_67:
	s_or_b32 exec_lo, exec_lo, s23
	v_add_nc_u32_e32 v17, 16, v7
	v_cmp_le_i32_e64 s9, s13, v17
	s_and_saveexec_b32 s23, s9
	s_xor_b32 s9, exec_lo, s23
	s_cbranch_execz .LBB10_69
; %bb.68:
	v_mov_b32_e32 v17, 0
	v_add_nc_u32_e32 v23, v16, v8
	v_mov_b32_e32 v18, v17
	ds_write_b64 v23, v[17:18] offset:4224
.LBB10_69:
	s_andn2_saveexec_b32 s23, s9
	s_cbranch_execz .LBB10_71
; %bb.70:
	s_lshl_b32 s28, s22, 4
	v_add_nc_u32_e32 v23, v16, v8
	s_ashr_i32 s29, s28, 31
	s_lshl_b64 s[28:29], s[28:29], 3
	v_add_co_u32 v17, s9, v3, s28
	v_add_co_ci_u32_e64 v18, null, s29, v4, s9
	global_load_dwordx2 v[17:18], v[17:18], off
	s_waitcnt vmcnt(0)
	ds_write_b64 v23, v[17:18] offset:4224
.LBB10_71:
	s_or_b32 exec_lo, exec_lo, s23
	v_add_nc_u32_e32 v17, 24, v7
	v_cmp_le_i32_e64 s9, s13, v17
	s_and_saveexec_b32 s13, s9
	s_xor_b32 s9, exec_lo, s13
	s_cbranch_execz .LBB10_73
; %bb.72:
	v_mov_b32_e32 v17, 0
	v_add_nc_u32_e32 v16, v16, v8
	v_mov_b32_e32 v18, v17
	ds_write_b64 v16, v[17:18] offset:6336
                                        ; implicit-def: $vgpr16
.LBB10_73:
	s_andn2_saveexec_b32 s13, s9
	s_cbranch_execz .LBB10_75
; %bb.74:
	s_mul_i32 s28, s22, 24
	v_add_nc_u32_e32 v16, v16, v8
	s_ashr_i32 s29, s28, 31
	s_lshl_b64 s[28:29], s[28:29], 3
	v_add_co_u32 v17, s9, v3, s28
	v_add_co_ci_u32_e64 v18, null, s29, v4, s9
	global_load_dwordx2 v[17:18], v[17:18], off
	s_waitcnt vmcnt(0)
	ds_write_b64 v16, v[17:18] offset:6336
.LBB10_75:
	s_or_b32 exec_lo, exec_lo, s13
	v_add_co_u32 v3, s9, v3, v8
	v_add_co_ci_u32_e64 v4, null, 0, v4, s9
	v_sub_co_u32 v3, s9, v3, s20
	v_subrev_co_ci_u32_e64 v4, null, s21, v4, s9
	v_add_co_u32 v3, s9, 0x108, v3
	v_add_co_ci_u32_e64 v4, null, 0, v4, s9
	v_cndmask_b32_e32 v14, v3, v14, vcc_lo
	v_cndmask_b32_e32 v15, v4, v15, vcc_lo
.LBB10_76:
	v_mul_u32_u24_e32 v3, 0x420, v7
	v_add_nc_u32_e32 v9, 0x2380, v9
	v_mul_u32_u24_e32 v4, 0x108, v10
	s_mov_b32 s9, 0
	s_waitcnt lgkmcnt(0)
	s_barrier
	buffer_gl0_inv
                                        ; implicit-def: $vgpr16
	s_and_saveexec_b32 s13, s3
	s_xor_b32 s3, exec_lo, s13
	s_cbranch_execz .LBB10_80
; %bb.77:
	s_mov_b32 s13, exec_lo
                                        ; implicit-def: $vgpr16
	v_cmpx_eq_u32_e64 v5, v1
	s_xor_b32 s13, exec_lo, s13
; %bb.78:
	s_mov_b32 s9, exec_lo
	v_add_nc_u32_e32 v16, v8, v6
; %bb.79:
	s_or_b32 exec_lo, exec_lo, s13
	s_and_b32 s9, s9, exec_lo
.LBB10_80:
	s_or_saveexec_b32 s3, s3
	v_mov_b32_e32 v17, 0
	v_add_nc_u32_e32 v3, v8, v3
	s_xor_b32 exec_lo, exec_lo, s3
	s_cbranch_execz .LBB10_82
; %bb.81:
	ds_read_b64 v[23:24], v3
	v_lshl_add_u32 v16, v5, 3, v26
	s_or_b32 s9, s9, exec_lo
	s_waitcnt lgkmcnt(0)
	v_xor_b32_e32 v17, 0x80000000, v24
	ds_write_b32 v16, v23
.LBB10_82:
	s_or_b32 exec_lo, exec_lo, s3
	s_and_saveexec_b32 s3, s9
; %bb.83:
	ds_write_b32 v16, v17 offset:4
; %bb.84:
	s_or_b32 exec_lo, exec_lo, s3
	s_mov_b32 s3, 0
                                        ; implicit-def: $vgpr16
	s_and_saveexec_b32 s9, s4
	s_xor_b32 s4, exec_lo, s9
	s_cbranch_execz .LBB10_88
; %bb.85:
	s_mov_b32 s9, exec_lo
                                        ; implicit-def: $vgpr16
	v_cmpx_eq_u32_e64 v10, v1
; %bb.86:
	v_add_nc_u32_e32 v16, v8, v6
	s_mov_b32 s3, exec_lo
; %bb.87:
	s_or_b32 exec_lo, exec_lo, s9
	s_and_b32 s3, s3, exec_lo
.LBB10_88:
	s_or_saveexec_b32 s4, s4
	v_mov_b32_e32 v10, 0
	v_add_nc_u32_e32 v4, v8, v4
	s_xor_b32 exec_lo, exec_lo, s4
	s_cbranch_execz .LBB10_90
; %bb.89:
	ds_read_b64 v[17:18], v4
	v_lshl_add_u32 v23, v5, 3, v26
	s_or_b32 s3, s3, exec_lo
	v_add_nc_u32_e32 v16, 8, v23
	s_waitcnt lgkmcnt(0)
	v_xor_b32_e32 v10, 0x80000000, v18
	ds_write_b32 v23, v17 offset:8
.LBB10_90:
	s_or_b32 exec_lo, exec_lo, s4
	s_and_saveexec_b32 s4, s3
; %bb.91:
	ds_write_b32 v16, v10 offset:4
; %bb.92:
	s_or_b32 exec_lo, exec_lo, s4
	s_mov_b32 s3, 0
                                        ; implicit-def: $vgpr10
	s_and_saveexec_b32 s4, s5
	s_xor_b32 s4, exec_lo, s4
	s_cbranch_execnz .LBB10_112
; %bb.93:
	s_or_saveexec_b32 s4, s4
	v_mov_b32_e32 v11, 0
	s_xor_b32 exec_lo, exec_lo, s4
	s_cbranch_execnz .LBB10_115
.LBB10_94:
	s_or_b32 exec_lo, exec_lo, s4
	s_and_saveexec_b32 s4, s3
.LBB10_95:
	ds_write_b32 v10, v11 offset:4
.LBB10_96:
	s_or_b32 exec_lo, exec_lo, s4
	s_mov_b32 s3, 0
                                        ; implicit-def: $vgpr10
	s_and_saveexec_b32 s4, s8
	s_xor_b32 s4, exec_lo, s4
	s_cbranch_execnz .LBB10_116
; %bb.97:
	s_or_saveexec_b32 s4, s4
	v_mov_b32_e32 v6, 0
	s_xor_b32 exec_lo, exec_lo, s4
	s_cbranch_execnz .LBB10_119
.LBB10_98:
	s_or_b32 exec_lo, exec_lo, s4
	s_and_saveexec_b32 s4, s3
.LBB10_99:
	ds_write_b32 v10, v6 offset:4
.LBB10_100:
	s_or_b32 exec_lo, exec_lo, s4
	s_waitcnt lgkmcnt(0)
	s_barrier
	buffer_gl0_inv
	ds_read_b64 v[10:11], v3
	ds_read_b128 v[28:31], v9 offset:256
	ds_read2_b64 v[38:41], v4 offset1:33
	ds_read_b128 v[42:45], v9 offset:272
	ds_read_b64 v[3:4], v4 offset:528
	v_cmp_eq_u32_e64 s3, 1, v7
	s_waitcnt lgkmcnt(0)
	s_barrier
	buffer_gl0_inv
	v_mul_f32_e32 v6, v29, v11
	v_mul_f32_e32 v11, v28, v11
	;; [unrolled: 1-line block ×5, first 2 shown]
	v_fma_f32 v6, v28, v10, -v6
	v_fmac_f32_e32 v11, v29, v10
	v_mul_f32_e32 v18, v42, v41
	v_fma_f32 v12, v30, v38, -v12
	v_fmac_f32_e32 v16, v31, v38
	v_add_f32_e32 v6, 0, v6
	v_add_f32_e32 v11, 0, v11
	v_mul_f32_e32 v10, v45, v4
	v_mul_f32_e32 v4, v44, v4
	v_fma_f32 v17, v42, v40, -v17
	v_fmac_f32_e32 v18, v43, v40
	v_add_f32_e32 v6, v6, v12
	v_add_f32_e32 v11, v11, v16
	v_fma_f32 v10, v44, v3, -v10
	v_fmac_f32_e32 v4, v45, v3
	v_add_f32_e32 v3, v6, v17
	v_add_f32_e32 v6, v11, v18
	;; [unrolled: 1-line block ×4, first 2 shown]
	ds_write_b64 v27, v[3:4]
	s_waitcnt lgkmcnt(0)
	s_barrier
	buffer_gl0_inv
	s_and_saveexec_b32 s4, s3
	s_cbranch_execz .LBB10_102
; %bb.101:
	ds_read2_b64 v[28:31], v26 offset1:7
	ds_read2_b64 v[36:39], v26 offset0:1 offset1:2
	ds_read2_b64 v[40:43], v26 offset0:3 offset1:4
	;; [unrolled: 1-line block ×3, first 2 shown]
	s_waitcnt lgkmcnt(2)
	v_add_f32_e32 v3, v36, v28
	v_add_f32_e32 v4, v37, v29
	v_add_f32_e32 v3, v38, v3
	v_add_f32_e32 v4, v39, v4
	s_waitcnt lgkmcnt(1)
	v_add_f32_e32 v3, v3, v40
	v_add_f32_e32 v4, v4, v41
	v_add_f32_e32 v3, v3, v42
	v_add_f32_e32 v4, v4, v43
	;; [unrolled: 5-line block ×3, first 2 shown]
	v_add_f32_e32 v36, v3, v30
	v_add_f32_e32 v37, v4, v31
.LBB10_102:
	s_or_b32 exec_lo, exec_lo, s4
	v_cmp_ne_u32_e32 vcc_lo, 1, v13
	v_sub_co_u32 v23, s4, v14, s18
	v_subrev_co_ci_u32_e64 v24, null, s19, v15, s4
	s_barrier
	buffer_gl0_inv
	s_cbranch_vccnz .LBB10_120
; %bb.103:
	s_lshl_b32 s4, s22, 3
	s_ashr_i32 s23, s22, 31
	s_ashr_i32 s5, s4, 31
	global_load_dwordx2 v[10:11], v[23:24], off
	s_lshl_b64 s[4:5], s[4:5], 3
	v_mul_u32_u24_e32 v6, 0x108, v7
	v_add_co_u32 v3, vcc_lo, v23, s4
	v_add_co_ci_u32_e64 v4, null, s5, v24, vcc_lo
	s_lshl_b64 s[4:5], s[22:23], 6
	v_add_co_u32 v12, vcc_lo, v3, s4
	v_add_co_ci_u32_e64 v13, null, s5, v4, vcc_lo
	v_add_co_u32 v14, vcc_lo, v12, s4
	v_add_co_ci_u32_e64 v15, null, s5, v13, vcc_lo
	s_clause 0x2
	global_load_dwordx2 v[16:17], v[3:4], off
	global_load_dwordx2 v[28:29], v[12:13], off
	;; [unrolled: 1-line block ×3, first 2 shown]
	s_movk_i32 s4, 0x840
	s_movk_i32 s5, 0x1080
	v_mad_u32_u24 v4, 0x108, v7, s4
	s_movk_i32 s4, 0x18c0
	v_mad_u32_u24 v12, 0x108, v7, v8
	v_mad_u32_u24 v13, 0x108, v7, s4
	;; [unrolled: 1-line block ×3, first 2 shown]
	v_add_nc_u32_e32 v18, v8, v4
	v_add_nc_u32_e32 v31, v8, v13
	;; [unrolled: 1-line block ×3, first 2 shown]
	s_waitcnt vmcnt(3)
	ds_write_b64 v12, v[10:11]
	v_add_nc_u32_e32 v10, 8, v7
	v_add_nc_u32_e32 v11, 16, v7
	;; [unrolled: 1-line block ×3, first 2 shown]
	s_waitcnt vmcnt(2)
	ds_write_b64 v18, v[16:17]
	s_waitcnt vmcnt(1)
	ds_write_b64 v30, v[28:29]
	;; [unrolled: 2-line block ×3, first 2 shown]
	s_cbranch_execz .LBB10_121
	s_branch .LBB10_138
.LBB10_104:
	s_mov_b32 s13, exec_lo
                                        ; implicit-def: $vgpr12
	v_cmpx_eq_u32_e64 v11, v1
; %bb.105:
	v_add_nc_u32_e32 v12, v8, v6
	s_mov_b32 s2, exec_lo
; %bb.106:
	s_or_b32 exec_lo, exec_lo, s13
	s_and_b32 s2, s2, exec_lo
	s_or_saveexec_b32 s8, s8
	v_mov_b32_e32 v15, 0
	s_xor_b32 exec_lo, exec_lo, s8
	s_cbranch_execz .LBB10_48
.LBB10_107:
	v_mad_u32_u24 v12, 0x108, v11, v8
	v_lshl_add_u32 v18, v5, 3, v9
	s_or_b32 s2, s2, exec_lo
	ds_read_b64 v[16:17], v12
	v_add_nc_u32_e32 v12, 16, v18
	s_waitcnt lgkmcnt(0)
	v_xor_b32_e32 v15, 0x80000000, v17
	ds_write_b32 v18, v16 offset:16
	s_or_b32 exec_lo, exec_lo, s8
	s_and_saveexec_b32 s8, s2
	s_cbranch_execnz .LBB10_49
	s_branch .LBB10_50
.LBB10_108:
	s_mov_b32 s18, exec_lo
                                        ; implicit-def: $vgpr15
	v_cmpx_eq_u32_e64 v12, v1
; %bb.109:
	v_add_nc_u32_e32 v15, v8, v6
	s_mov_b32 s2, exec_lo
; %bb.110:
	s_or_b32 exec_lo, exec_lo, s18
	s_and_b32 s2, s2, exec_lo
                                        ; implicit-def: $vgpr9
	s_or_saveexec_b32 s13, s13
	v_mov_b32_e32 v16, 0
	s_xor_b32 exec_lo, exec_lo, s13
	s_cbranch_execz .LBB10_52
.LBB10_111:
	v_mad_u32_u24 v15, 0x108, v12, v8
	v_lshl_add_u32 v9, v5, 3, v9
	s_or_b32 s2, s2, exec_lo
	ds_read_b64 v[17:18], v15
	v_add_nc_u32_e32 v15, 24, v9
	s_waitcnt lgkmcnt(0)
	v_xor_b32_e32 v16, 0x80000000, v18
	ds_write_b32 v9, v17 offset:24
	s_or_b32 exec_lo, exec_lo, s13
	s_and_saveexec_b32 s13, s2
	s_cbranch_execnz .LBB10_53
	s_branch .LBB10_54
.LBB10_112:
	s_mov_b32 s5, exec_lo
                                        ; implicit-def: $vgpr10
	v_cmpx_eq_u32_e64 v11, v1
; %bb.113:
	v_add_nc_u32_e32 v10, v8, v6
	s_mov_b32 s3, exec_lo
; %bb.114:
	s_or_b32 exec_lo, exec_lo, s5
	s_and_b32 s3, s3, exec_lo
	s_or_saveexec_b32 s4, s4
	v_mov_b32_e32 v11, 0
	s_xor_b32 exec_lo, exec_lo, s4
	s_cbranch_execz .LBB10_94
.LBB10_115:
	ds_read_b64 v[16:17], v4 offset:264
	v_lshl_add_u32 v18, v5, 3, v26
	s_or_b32 s3, s3, exec_lo
	v_add_nc_u32_e32 v10, 16, v18
	s_waitcnt lgkmcnt(0)
	v_xor_b32_e32 v11, 0x80000000, v17
	ds_write_b32 v18, v16 offset:16
	s_or_b32 exec_lo, exec_lo, s4
	s_and_saveexec_b32 s4, s3
	s_cbranch_execnz .LBB10_95
	s_branch .LBB10_96
.LBB10_116:
	s_mov_b32 s5, exec_lo
                                        ; implicit-def: $vgpr10
	v_cmpx_eq_u32_e64 v12, v1
; %bb.117:
	v_add_nc_u32_e32 v10, v8, v6
	s_mov_b32 s3, exec_lo
; %bb.118:
	s_or_b32 exec_lo, exec_lo, s5
	s_and_b32 s3, s3, exec_lo
	s_or_saveexec_b32 s4, s4
	v_mov_b32_e32 v6, 0
	s_xor_b32 exec_lo, exec_lo, s4
	s_cbranch_execz .LBB10_98
.LBB10_119:
	ds_read_b64 v[11:12], v4 offset:528
	v_lshl_add_u32 v16, v5, 3, v26
	s_or_b32 s3, s3, exec_lo
	v_add_nc_u32_e32 v10, 24, v16
	s_waitcnt lgkmcnt(0)
	v_xor_b32_e32 v6, 0x80000000, v12
	ds_write_b32 v16, v11 offset:24
	s_or_b32 exec_lo, exec_lo, s4
	s_and_saveexec_b32 s4, s3
	s_cbranch_execnz .LBB10_99
	s_branch .LBB10_100
.LBB10_120:
                                        ; implicit-def: $vgpr6
                                        ; implicit-def: $vgpr10
                                        ; implicit-def: $vgpr4
                                        ; implicit-def: $vgpr11
                                        ; implicit-def: $vgpr3
                                        ; implicit-def: $vgpr12
                                        ; implicit-def: $vgpr13
.LBB10_121:
	v_sub_co_u32 v3, vcc_lo, v23, v8
	s_ashr_i32 s13, s12, 31
	v_subrev_co_ci_u32_e64 v4, null, 0, v24, vcc_lo
	s_lshl_b64 s[8:9], s[12:13], 3
	v_or_b32_e32 v1, 32, v1
	v_add_co_u32 v3, vcc_lo, v3, s8
	v_add_co_ci_u32_e64 v4, null, s9, v4, vcc_lo
	v_cmp_le_i32_e64 s4, s12, v7
	v_add_co_u32 v3, vcc_lo, 0xfffffef8, v3
	v_add_co_ci_u32_e64 v4, null, -1, v4, vcc_lo
	v_cmp_gt_i32_e32 vcc_lo, s12, v1
	v_mul_u32_u24_e32 v6, 0x108, v7
	v_cndmask_b32_e32 v4, v4, v24, vcc_lo
	v_cndmask_b32_e32 v3, v3, v23, vcc_lo
	s_and_saveexec_b32 s5, s4
	s_xor_b32 s4, exec_lo, s5
	s_cbranch_execz .LBB10_123
; %bb.122:
	v_mov_b32_e32 v10, 0
	v_add_nc_u32_e32 v1, v8, v6
	v_mov_b32_e32 v11, v10
	ds_write_b64 v1, v[10:11]
.LBB10_123:
	s_andn2_saveexec_b32 s4, s4
	s_cbranch_execz .LBB10_125
; %bb.124:
	global_load_dwordx2 v[10:11], v[3:4], off
	v_add_nc_u32_e32 v1, v8, v6
	s_waitcnt vmcnt(0)
	ds_write_b64 v1, v[10:11]
.LBB10_125:
	s_or_b32 exec_lo, exec_lo, s4
	v_add_nc_u32_e32 v10, 8, v7
	v_cmp_le_i32_e64 s4, s12, v10
	s_and_saveexec_b32 s5, s4
	s_xor_b32 s4, exec_lo, s5
	s_cbranch_execz .LBB10_127
; %bb.126:
	v_mov_b32_e32 v11, 0
	v_add_nc_u32_e32 v1, v6, v8
	v_mov_b32_e32 v12, v11
	ds_write_b64 v1, v[11:12] offset:2112
.LBB10_127:
	s_andn2_saveexec_b32 s5, s4
	s_cbranch_execz .LBB10_129
; %bb.128:
	s_lshl_b32 s18, s22, 3
	v_add_nc_u32_e32 v1, v6, v8
	s_ashr_i32 s19, s18, 31
	s_lshl_b64 s[18:19], s[18:19], 3
	v_add_co_u32 v11, s4, v3, s18
	v_add_co_ci_u32_e64 v12, null, s19, v4, s4
	global_load_dwordx2 v[11:12], v[11:12], off
	s_waitcnt vmcnt(0)
	ds_write_b64 v1, v[11:12] offset:2112
.LBB10_129:
	s_or_b32 exec_lo, exec_lo, s5
	v_add_nc_u32_e32 v11, 16, v7
	v_cmp_le_i32_e64 s4, s12, v11
	s_and_saveexec_b32 s5, s4
	s_xor_b32 s4, exec_lo, s5
	s_cbranch_execz .LBB10_131
; %bb.130:
	v_mov_b32_e32 v12, 0
	v_add_nc_u32_e32 v1, v6, v8
	v_mov_b32_e32 v13, v12
	ds_write_b64 v1, v[12:13] offset:4224
.LBB10_131:
	s_andn2_saveexec_b32 s5, s4
	s_cbranch_execz .LBB10_133
; %bb.132:
	s_lshl_b32 s18, s22, 4
	v_add_nc_u32_e32 v1, v6, v8
	s_ashr_i32 s19, s18, 31
	s_lshl_b64 s[18:19], s[18:19], 3
	v_add_co_u32 v12, s4, v3, s18
	v_add_co_ci_u32_e64 v13, null, s19, v4, s4
	global_load_dwordx2 v[12:13], v[12:13], off
	s_waitcnt vmcnt(0)
	ds_write_b64 v1, v[12:13] offset:4224
.LBB10_133:
	s_or_b32 exec_lo, exec_lo, s5
	v_add_nc_u32_e32 v12, 24, v7
                                        ; implicit-def: $vgpr13
	v_cmp_le_i32_e64 s4, s12, v12
	s_and_saveexec_b32 s5, s4
	s_xor_b32 s4, exec_lo, s5
	s_cbranch_execz .LBB10_135
; %bb.134:
	v_add_nc_u32_e32 v13, 0x18c0, v6
	v_mov_b32_e32 v14, 0
	v_add_nc_u32_e32 v1, v8, v13
	v_mov_b32_e32 v15, v14
	ds_write_b64 v1, v[14:15]
.LBB10_135:
	s_andn2_saveexec_b32 s5, s4
	s_cbranch_execz .LBB10_137
; %bb.136:
	s_mul_i32 s18, s22, 24
	s_ashr_i32 s19, s18, 31
	s_lshl_b64 s[18:19], s[18:19], 3
	v_add_co_u32 v13, s4, v3, s18
	v_add_co_ci_u32_e64 v14, null, s19, v4, s4
	global_load_dwordx2 v[14:15], v[13:14], off
	v_add_nc_u32_e32 v13, 0x18c0, v6
	v_add_nc_u32_e32 v1, v8, v13
	s_waitcnt vmcnt(0)
	ds_write_b64 v1, v[14:15]
.LBB10_137:
	s_or_b32 exec_lo, exec_lo, s5
	v_add_co_u32 v1, s4, v3, v8
	v_add_co_ci_u32_e64 v3, null, 0, v4, s4
	v_add_nc_u32_e32 v4, 0x840, v6
	v_sub_co_u32 v1, s4, v1, s8
	v_subrev_co_ci_u32_e64 v3, null, s9, v3, s4
	v_add_co_u32 v1, s4, 0x108, v1
	v_add_co_ci_u32_e64 v3, null, 0, v3, s4
	v_cndmask_b32_e32 v23, v1, v23, vcc_lo
	v_cndmask_b32_e32 v24, v3, v24, vcc_lo
	v_add_nc_u32_e32 v3, 0x1080, v6
.LBB10_138:
	v_add_nc_u32_e32 v1, v8, v6
	v_lshlrev_b32_e32 v6, 3, v7
	v_add_nc_u32_e32 v4, v8, v4
	v_lshlrev_b32_e32 v7, 3, v10
	v_add_nc_u32_e32 v3, v8, v3
	s_waitcnt lgkmcnt(0)
	s_barrier
	buffer_gl0_inv
	v_lshlrev_b32_e32 v10, 3, v11
	v_add_nc_u32_e32 v8, v8, v13
	v_lshlrev_b32_e32 v11, 3, v12
	ds_read_b64 v[28:29], v1
	ds_read_b64 v[30:31], v6 offset:9088
	ds_read_b64 v[32:33], v4
	ds_read_b64 v[38:39], v7 offset:9088
	;; [unrolled: 2-line block ×3, first 2 shown]
	ds_read2_b32 v[44:45], v8 offset1:1
	ds_read_b64 v[46:47], v11 offset:9088
	v_lshl_add_u32 v1, v5, 3, v26
	ds_read_b128 v[11:14], v9 offset:256
	ds_read_b128 v[3:6], v9 offset:272
	ds_read2_b64 v[15:18], v1 offset1:1
	ds_read2_b64 v[7:10], v1 offset0:2 offset1:3
	s_waitcnt lgkmcnt(0)
	s_barrier
	buffer_gl0_inv
	v_mul_f32_e32 v1, v31, v29
	v_mul_f32_e32 v29, v30, v29
	;; [unrolled: 1-line block ×5, first 2 shown]
	v_fma_f32 v1, v30, v28, -v1
	v_fmac_f32_e32 v29, v31, v28
	v_mul_f32_e32 v28, v42, v41
	v_fma_f32 v30, v38, v32, -v34
	v_fmac_f32_e32 v33, v39, v32
	v_add_f32_e32 v1, 0, v1
	v_add_f32_e32 v29, 0, v29
	v_mul_f32_e32 v49, v47, v45
	v_mul_f32_e32 v31, v46, v45
	v_fma_f32 v32, v42, v40, -v48
	v_fmac_f32_e32 v28, v43, v40
	v_add_f32_e32 v1, v1, v30
	v_add_f32_e32 v29, v29, v33
	v_fma_f32 v30, v46, v44, -v49
	v_fmac_f32_e32 v31, v47, v44
	v_add_f32_e32 v1, v1, v32
	v_add_f32_e32 v29, v29, v28
	;; [unrolled: 1-line block ×4, first 2 shown]
	ds_write_b64 v27, v[28:29]
	s_waitcnt lgkmcnt(0)
	s_barrier
	buffer_gl0_inv
	s_and_saveexec_b32 s4, s3
	s_cbranch_execz .LBB10_140
; %bb.139:
	ds_read2_b64 v[28:31], v26 offset1:1
	ds_read2_b64 v[38:41], v26 offset0:2 offset1:3
	ds_read2_b64 v[42:45], v26 offset0:4 offset1:5
	s_waitcnt lgkmcnt(2)
	v_add_f32_e32 v1, v36, v28
	v_add_f32_e32 v28, v37, v29
	;; [unrolled: 1-line block ×4, first 2 shown]
	ds_read2_b64 v[28:31], v26 offset0:6 offset1:7
	s_waitcnt lgkmcnt(2)
	v_add_f32_e32 v1, v1, v38
	v_add_f32_e32 v32, v32, v39
	v_add_f32_e32 v1, v1, v40
	v_add_f32_e32 v32, v32, v41
	s_waitcnt lgkmcnt(1)
	v_add_f32_e32 v1, v1, v42
	v_add_f32_e32 v32, v32, v43
	v_add_f32_e32 v1, v1, v44
	v_add_f32_e32 v32, v32, v45
	;; [unrolled: 5-line block ×3, first 2 shown]
.LBB10_140:
	s_or_b32 exec_lo, exec_lo, s4
	v_mul_f32_e32 v1, v16, v12
	v_mul_f32_e32 v16, v16, v11
	;; [unrolled: 1-line block ×5, first 2 shown]
	v_fmac_f32_e32 v1, v15, v11
	v_fma_f32 v11, v15, v12, -v16
	v_mul_f32_e32 v8, v8, v3
	v_fmac_f32_e32 v28, v17, v13
	v_fma_f32 v13, v17, v14, -v18
	v_add_f32_e32 v1, 0, v1
	v_add_f32_e32 v11, 0, v11
	v_mul_f32_e32 v12, v10, v6
	v_mul_f32_e32 v10, v10, v5
	v_fmac_f32_e32 v29, v7, v3
	v_add_f32_e32 v1, v1, v28
	v_fma_f32 v3, v7, v4, -v8
	v_add_f32_e32 v4, v11, v13
	v_fmac_f32_e32 v12, v9, v5
	v_fma_f32 v5, v9, v6, -v10
	v_add_f32_e32 v1, v1, v29
	v_add_f32_e32 v4, v4, v3
	s_barrier
	buffer_gl0_inv
	v_add_f32_e32 v3, v1, v12
	v_add_f32_e32 v4, v4, v5
	ds_write_b64 v27, v[3:4]
	s_waitcnt lgkmcnt(0)
	s_barrier
	buffer_gl0_inv
	s_and_saveexec_b32 s3, s2
	s_cbranch_execz .LBB10_142
; %bb.141:
	ds_read2_b64 v[3:6], v26 offset1:1
	ds_read2_b64 v[7:10], v26 offset0:2 offset1:3
	ds_read2_b64 v[11:14], v26 offset0:4 offset1:5
	s_waitcnt lgkmcnt(2)
	v_add_f32_e32 v1, v36, v3
	v_add_f32_e32 v3, v37, v4
	v_add_f32_e32 v1, v1, v5
	v_add_f32_e32 v15, v3, v6
	ds_read2_b64 v[3:6], v26 offset0:6 offset1:7
	s_waitcnt lgkmcnt(2)
	v_add_f32_e32 v1, v1, v7
	v_add_f32_e32 v7, v15, v8
	v_add_f32_e32 v1, v1, v9
	v_add_f32_e32 v7, v7, v10
	s_waitcnt lgkmcnt(1)
	v_add_f32_e32 v1, v1, v11
	v_add_f32_e32 v7, v7, v12
	v_add_f32_e32 v1, v1, v13
	v_add_f32_e32 v7, v7, v14
	;; [unrolled: 5-line block ×3, first 2 shown]
.LBB10_142:
	s_or_b32 exec_lo, exec_lo, s3
	s_mul_hi_u32 s2, s25, s7
	s_mul_i32 s27, s27, s7
	s_mul_i32 s3, s25, s7
	s_add_i32 s2, s2, s27
	s_mul_hi_u32 s5, s3, s26
	s_mul_i32 s4, s2, s26
	s_mul_i32 s2, s3, s26
	s_add_i32 s3, s5, s4
	s_mul_i32 s4, s25, s6
	s_lshl_b64 s[2:3], s[2:3], 3
	v_cmp_le_i32_e32 vcc_lo, s12, v0
	s_add_u32 s7, s14, s2
	s_addc_u32 s8, s15, s3
	s_ashr_i32 s5, s4, 31
	v_lshlrev_b32_e32 v72, 3, v0
	s_lshl_b64 s[2:3], s[4:5], 3
	s_add_u32 s7, s7, s2
	s_addc_u32 s14, s8, s3
	s_and_b32 vcc_lo, s11, vcc_lo
	s_cmp_lt_i32 s6, 1
	s_barrier
	buffer_gl0_inv
	s_cbranch_scc1 .LBB10_149
; %bb.143:
	v_mul_lo_u32 v1, v2, s22
	v_sub_co_u32 v7, s2, v23, s16
	v_subrev_co_ci_u32_e64 v8, null, s17, v24, s2
	s_ashr_i32 s13, s12, 31
	v_sub_co_u32 v7, s2, v7, v21
	v_lshl_add_u32 v3, v1, 2, v0
	v_sub_co_ci_u32_e64 v8, null, v8, v22, s2
	s_lshl_b64 s[8:9], s[12:13], 3
	v_lshrrev_b32_e32 v5, 4, v25
	v_ashrrev_i32_e32 v4, 31, v3
	v_and_b32_e32 v6, 15, v0
	s_mul_i32 s4, s24, s10
	v_mov_b32_e32 v1, 0
	s_ashr_i32 s5, s4, 31
	v_lshlrev_b64 v[3:4], 3, v[3:4]
	s_lshl_b64 s[4:5], s[4:5], 3
	v_add_nc_u32_e32 v75, 0x2180, v72
	v_lshl_add_u32 v76, v2, 5, 0x2180
	v_add_nc_u32_e32 v77, 0x2380, v72
	v_mad_u32_u24 v78, 0x860, v2, v72
	v_add_co_u32 v3, s2, v7, v3
	v_add_co_ci_u32_e64 v4, null, v8, v4, s2
	s_ashr_i32 s23, s22, 31
	v_sub_co_u32 v7, s2, v3, v72
	v_subrev_co_ci_u32_e64 v8, null, 0, v4, s2
	s_lshl_b32 s10, s24, 6
	v_add_co_u32 v7, s2, v7, s8
	v_add_co_ci_u32_e64 v8, null, s9, v8, s2
	v_add_co_u32 v3, s2, 0xffffff00, v3
	v_add_co_ci_u32_e64 v4, null, -1, v4, s2
	v_add_co_u32 v7, s2, 0xfffffef8, v7
	v_add_co_ci_u32_e64 v8, null, -1, v8, s2
	v_sub_co_u32 v73, s2, v19, s4
	v_cndmask_b32_e32 v3, v3, v7, vcc_lo
	v_cndmask_b32_e32 v4, v4, v8, vcc_lo
	v_and_b32_e32 v7, 48, v0
	v_lshlrev_b32_e32 v8, 5, v5
	v_mul_i32_i24_e32 v5, 0xffffffe8, v5
	v_subrev_co_ci_u32_e64 v74, null, s5, v20, s2
	v_lshlrev_b32_e32 v7, 3, v7
	v_mad_u32_u24 v79, 0x218, v6, v8
	v_or_b32_e32 v8, 0x78, v72
	v_cmp_gt_u32_e64 s2, 64, v25
	s_lshl_b64 s[4:5], s[22:23], 3
	v_mad_u32_u24 v80, 0x218, v6, v7
	v_add_nc_u32_e32 v82, v79, v5
	v_mad_u32_u24 v81, 0x218, v6, v8
	s_mul_hi_i32 s11, s22, 0x68
	s_mul_i32 s12, s22, 0x68
	s_mov_b32 s8, 0
	s_branch .LBB10_145
.LBB10_144:                             ;   in Loop: Header=BB10_145 Depth=1
	s_or_b32 exec_lo, exec_lo, s9
	v_mul_f32_e32 v83, v39, v4
	v_mul_f32_e32 v4, v38, v4
	;; [unrolled: 1-line block ×5, first 2 shown]
	v_fma_f32 v38, v38, v3, -v83
	v_fmac_f32_e32 v4, v39, v3
	v_fma_f32 v42, v42, v5, -v84
	v_mul_f32_e32 v8, v44, v8
	v_mul_f32_e32 v83, v41, v10
	v_add_f32_e32 v36, v36, v38
	v_fma_f32 v3, v44, v7, -v85
	v_fmac_f32_e32 v6, v43, v5
	v_add_f32_e32 v4, v37, v4
	v_mul_f32_e32 v10, v40, v10
	v_add_f32_e32 v36, v36, v42
	v_mul_f32_e32 v38, v53, v16
	v_fma_f32 v5, v40, v9, -v83
	v_fmac_f32_e32 v8, v45, v7
	v_add_f32_e32 v4, v4, v6
	v_add_f32_e32 v3, v36, v3
	v_mul_f32_e32 v16, v52, v16
	v_mul_f32_e32 v39, v51, v18
	v_fma_f32 v6, v52, v15, -v38
	v_fmac_f32_e32 v10, v41, v9
	v_add_f32_e32 v3, v3, v5
	v_add_f32_e32 v4, v4, v8
	v_mul_f32_e32 v18, v50, v18
	v_mul_f32_e32 v5, v49, v12
	v_fma_f32 v7, v50, v17, -v39
	v_add_f32_e32 v3, v3, v6
	v_fmac_f32_e32 v16, v53, v15
	v_add_f32_e32 v4, v4, v10
	v_mul_f32_e32 v6, v47, v14
	v_fma_f32 v5, v48, v11, -v5
	v_add_f32_e32 v3, v3, v7
	v_mul_f32_e32 v7, v48, v12
	v_fmac_f32_e32 v18, v51, v17
	v_add_f32_e32 v4, v4, v16
	v_fma_f32 v6, v46, v13, -v6
	v_add_f32_e32 v3, v3, v5
	v_mul_f32_e32 v5, v61, v24
	v_fmac_f32_e32 v7, v49, v11
	v_add_f32_e32 v4, v4, v18
	v_mul_f32_e32 v8, v46, v14
	v_add_f32_e32 v3, v3, v6
	v_fma_f32 v5, v60, v23, -v5
	v_mul_f32_e32 v6, v59, v26
	v_add_f32_e32 v4, v4, v7
	v_fmac_f32_e32 v8, v47, v13
	v_mul_f32_e32 v7, v60, v24
	v_add_f32_e32 v3, v3, v5
	v_fma_f32 v5, v58, v25, -v6
	v_mul_f32_e32 v6, v57, v20
	v_add_f32_e32 v4, v4, v8
	v_fmac_f32_e32 v7, v61, v23
	;; [unrolled: 6-line block ×6, first 2 shown]
	v_mul_f32_e32 v8, v65, v28
	v_add_f32_e32 v3, v3, v5
	v_mul_f32_e32 v5, v64, v28
	v_fmac_f32_e32 v6, v69, v33
	v_add_f32_e32 v4, v4, v7
	v_fma_f32 v7, v64, v27, -v8
	v_mul_f32_e32 v8, v67, v30
	v_mul_f32_e32 v9, v66, v30
	v_fmac_f32_e32 v5, v65, v27
	v_add_f32_e32 v4, v4, v6
	v_add_f32_e32 v3, v3, v7
	v_fma_f32 v6, v66, v29, -v8
	v_fmac_f32_e32 v9, v67, v29
	v_add_nc_u32_e32 v0, 64, v0
	v_add_f32_e32 v4, v4, v5
	s_add_i32 s6, s6, -1
	v_add_f32_e32 v36, v3, v6
	v_add_co_u32 v3, s3, v62, s12
	v_add_f32_e32 v37, v4, v9
	v_add_co_ci_u32_e64 v4, null, s11, v63, s3
	s_add_i32 s8, s8, s10
	s_cmp_eq_u32 s6, 0
	s_waitcnt_vscnt null, 0x0
	s_barrier
	buffer_gl0_inv
	s_cbranch_scc1 .LBB10_149
.LBB10_145:                             ; =>This Inner Loop Header: Depth=1
	s_and_saveexec_b32 s13, s1
	s_cbranch_execz .LBB10_147
; %bb.146:                              ;   in Loop: Header=BB10_145 Depth=1
	s_ashr_i32 s9, s8, 31
	s_lshl_b64 s[16:17], s[8:9], 3
	v_add_co_u32 v5, s3, v73, s16
	v_add_co_ci_u32_e64 v6, null, s17, v74, s3
	global_load_dwordx2 v[5:6], v[5:6], off
	s_waitcnt vmcnt(0)
	ds_write_b64 v75, v[5:6]
.LBB10_147:                             ;   in Loop: Header=BB10_145 Depth=1
	s_or_b32 exec_lo, exec_lo, s13
	v_add_co_u32 v5, s3, v3, s4
	v_add_co_ci_u32_e64 v6, null, s5, v4, s3
	s_waitcnt lgkmcnt(0)
	s_barrier
	buffer_gl0_inv
	s_clause 0x1
	global_load_dwordx2 v[38:39], v[3:4], off
	global_load_dwordx2 v[42:43], v[5:6], off
	v_add_co_u32 v3, s3, v5, s4
	v_add_co_ci_u32_e64 v4, null, s5, v6, s3
	v_add_co_u32 v11, s3, v3, s4
	v_add_co_ci_u32_e64 v12, null, s5, v4, s3
	s_clause 0x1
	global_load_dwordx2 v[44:45], v[3:4], off
	global_load_dwordx2 v[40:41], v[11:12], off
	ds_read_b64 v[13:14], v77
	ds_read_b128 v[3:6], v76
	ds_read_b128 v[7:10], v76 offset:16
	v_add_co_u32 v11, s3, v11, s12
	v_add_co_ci_u32_e64 v12, null, s11, v12, s3
	v_add_co_u32 v19, s3, v11, s4
	v_add_co_ci_u32_e64 v20, null, s5, v12, s3
	s_waitcnt vmcnt(3) lgkmcnt(2)
	v_mul_f32_e32 v15, v39, v14
	v_mul_f32_e32 v16, v39, v13
	s_waitcnt vmcnt(2)
	v_mul_f32_e32 v17, v43, v14
	v_mul_f32_e32 v18, v43, v13
	v_fmac_f32_e32 v15, v38, v13
	v_fma_f32 v16, v38, v14, -v16
	v_fmac_f32_e32 v17, v42, v13
	v_fma_f32 v18, v42, v14, -v18
	s_waitcnt vmcnt(1)
	v_mul_f32_e32 v21, v45, v14
	s_waitcnt vmcnt(0)
	v_mul_f32_e32 v23, v41, v14
	v_mul_f32_e32 v22, v45, v13
	;; [unrolled: 1-line block ×3, first 2 shown]
	v_fmac_f32_e32 v21, v44, v13
	v_fmac_f32_e32 v23, v40, v13
	v_add_co_u32 v13, s3, v19, s4
	v_fma_f32 v22, v44, v14, -v22
	v_fma_f32 v24, v40, v14, -v24
	v_add_co_ci_u32_e64 v14, null, s5, v20, s3
	ds_write2_b64 v78, v[15:16], v[17:18] offset1:67
	ds_write2_b64 v78, v[21:22], v[23:24] offset0:134 offset1:201
	s_waitcnt lgkmcnt(0)
	s_barrier
	buffer_gl0_inv
	ds_read2_b64 v[83:86], v79 offset1:1
	ds_read2_b64 v[87:90], v79 offset0:2 offset1:3
	s_waitcnt lgkmcnt(0)
	s_barrier
	buffer_gl0_inv
	global_load_dwordx2 v[52:53], v[11:12], off
	v_add_co_u32 v11, s3, v13, s4
	v_add_co_ci_u32_e64 v12, null, s5, v14, s3
	s_clause 0x2
	global_load_dwordx2 v[50:51], v[19:20], off
	global_load_dwordx2 v[48:49], v[13:14], off
	;; [unrolled: 1-line block ×3, first 2 shown]
	ds_read_b64 v[13:14], v77
	v_add_co_u32 v19, s3, v11, s12
	v_add_co_ci_u32_e64 v20, null, s11, v12, s3
	v_add_co_u32 v21, s3, v19, s4
	v_add_co_ci_u32_e64 v22, null, s5, v20, s3
	v_add_f32_e32 v83, 0, v83
	v_add_co_u32 v23, s3, v21, s4
	v_add_co_ci_u32_e64 v24, null, s5, v22, s3
	v_add_f32_e32 v84, 0, v84
	;; [unrolled: 3-line block ×3, first 2 shown]
	v_add_f32_e32 v84, v84, v86
	v_add_f32_e32 v87, v83, v87
	;; [unrolled: 1-line block ×5, first 2 shown]
	s_waitcnt vmcnt(3) lgkmcnt(0)
	v_mul_f32_e32 v25, v53, v14
	v_mul_f32_e32 v11, v53, v13
	s_waitcnt vmcnt(2)
	v_mul_f32_e32 v27, v51, v14
	v_mul_f32_e32 v12, v51, v13
	s_waitcnt vmcnt(1)
	;; [unrolled: 3-line block ×3, first 2 shown]
	v_mul_f32_e32 v31, v47, v14
	v_mul_f32_e32 v16, v47, v13
	v_fmac_f32_e32 v25, v52, v13
	v_fma_f32 v26, v52, v14, -v11
	v_fmac_f32_e32 v27, v50, v13
	v_fma_f32 v28, v50, v14, -v12
	;; [unrolled: 2-line block ×4, first 2 shown]
	ds_read_b128 v[15:18], v76 offset:128
	ds_read_b128 v[11:14], v76 offset:144
	ds_write2_b64 v78, v[25:26], v[27:28] offset1:67
	ds_write2_b64 v78, v[29:30], v[31:32] offset0:134 offset1:201
	s_waitcnt lgkmcnt(0)
	s_barrier
	buffer_gl0_inv
	ds_read2_b64 v[91:94], v79 offset1:1
	ds_read2_b64 v[95:98], v79 offset0:2 offset1:3
	s_waitcnt lgkmcnt(0)
	s_barrier
	buffer_gl0_inv
	s_clause 0x2
	global_load_dwordx2 v[60:61], v[19:20], off
	global_load_dwordx2 v[58:59], v[21:22], off
	;; [unrolled: 1-line block ×4, first 2 shown]
	ds_read_b64 v[19:20], v77
	v_add_co_u32 v27, s3, v33, s12
	v_add_co_ci_u32_e64 v28, null, s11, v34, s3
	v_add_co_u32 v29, s3, v27, s4
	v_add_co_ci_u32_e64 v30, null, s5, v28, s3
	;; [unrolled: 2-line block ×3, first 2 shown]
	v_add_f32_e32 v91, 0, v91
	v_add_f32_e32 v92, 0, v92
	;; [unrolled: 1-line block ×8, first 2 shown]
	s_waitcnt vmcnt(3) lgkmcnt(0)
	v_mul_f32_e32 v21, v61, v19
	v_mul_f32_e32 v31, v61, v20
	s_waitcnt vmcnt(2)
	v_mul_f32_e32 v22, v59, v19
	v_mul_f32_e32 v33, v59, v20
	s_waitcnt vmcnt(1)
	v_mul_f32_e32 v23, v57, v19
	s_waitcnt vmcnt(0)
	v_mul_f32_e32 v24, v55, v19
	v_mul_f32_e32 v62, v57, v20
	;; [unrolled: 1-line block ×3, first 2 shown]
	v_fma_f32 v32, v60, v20, -v21
	v_fma_f32 v34, v58, v20, -v22
	v_fmac_f32_e32 v31, v60, v19
	v_fmac_f32_e32 v33, v58, v19
	v_fma_f32 v63, v56, v20, -v23
	v_fma_f32 v65, v54, v20, -v24
	v_fmac_f32_e32 v62, v56, v19
	v_fmac_f32_e32 v64, v54, v19
	ds_read_b128 v[23:26], v76 offset:256
	ds_read_b128 v[19:22], v76 offset:272
	ds_write2_b64 v78, v[31:32], v[33:34] offset1:67
	ds_write2_b64 v78, v[62:63], v[64:65] offset0:134 offset1:201
	v_add_co_u32 v62, s3, v66, s4
	v_add_co_ci_u32_e64 v63, null, s5, v67, s3
	s_waitcnt lgkmcnt(0)
	s_barrier
	buffer_gl0_inv
	ds_read2_b64 v[99:102], v79 offset1:1
	ds_read2_b64 v[103:106], v79 offset0:2 offset1:3
	s_waitcnt lgkmcnt(0)
	s_barrier
	buffer_gl0_inv
	global_load_dwordx2 v[70:71], v[27:28], off
	global_load_dwordx2 v[68:69], v[29:30], off
	global_load_dwordx2 v[64:65], v[66:67], off
	global_load_dwordx2 v[66:67], v[62:63], off
	ds_read_b64 v[27:28], v77
	v_add_f32_e32 v91, 0, v99
	v_add_f32_e32 v92, 0, v100
	;; [unrolled: 1-line block ×6, first 2 shown]
	s_waitcnt vmcnt(2) lgkmcnt(0)
	v_mul_f32_e32 v30, v69, v27
	v_mul_f32_e32 v29, v71, v27
	;; [unrolled: 1-line block ×4, first 2 shown]
	s_waitcnt vmcnt(1)
	v_mul_f32_e32 v31, v65, v27
	v_mul_f32_e32 v111, v65, v28
	s_waitcnt vmcnt(0)
	v_mul_f32_e32 v32, v67, v27
	v_mul_f32_e32 v113, v67, v28
	v_fma_f32 v108, v70, v28, -v29
	v_fma_f32 v110, v68, v28, -v30
	v_fmac_f32_e32 v107, v70, v27
	v_fmac_f32_e32 v109, v68, v27
	v_fma_f32 v112, v64, v28, -v31
	v_fma_f32 v114, v66, v28, -v32
	v_fmac_f32_e32 v111, v64, v27
	v_fmac_f32_e32 v113, v66, v27
	ds_read_b128 v[31:34], v76 offset:384
	ds_read_b128 v[27:30], v76 offset:400
	ds_write2_b64 v78, v[107:108], v[109:110] offset1:67
	ds_write2_b64 v78, v[111:112], v[113:114] offset0:134 offset1:201
	s_waitcnt lgkmcnt(0)
	s_barrier
	buffer_gl0_inv
	ds_read2_b64 v[107:110], v79 offset1:1
	ds_read2_b64 v[83:86], v79 offset0:2 offset1:3
	s_waitcnt lgkmcnt(0)
	s_barrier
	buffer_gl0_inv
	v_add_f32_e32 v93, 0, v107
	v_add_f32_e32 v94, 0, v108
	;; [unrolled: 1-line block ×10, first 2 shown]
	ds_write2_b64 v82, v[87:88], v[89:90] offset1:16
	ds_write2_b64 v82, v[83:84], v[85:86] offset0:32 offset1:48
	s_waitcnt lgkmcnt(0)
	s_barrier
	buffer_gl0_inv
	s_and_saveexec_b32 s9, s2
	s_cbranch_execz .LBB10_144
; %bb.148:                              ;   in Loop: Header=BB10_145 Depth=1
	ds_read_b64 v[95:96], v80
	ds_read2_b64 v[83:86], v80 offset0:1 offset1:2
	ds_read2_b64 v[87:90], v80 offset0:3 offset1:4
	;; [unrolled: 1-line block ×3, first 2 shown]
	s_waitcnt lgkmcnt(2)
	v_add_f32_e32 v83, v83, v95
	v_add_f32_e32 v84, v84, v96
	v_add_f32_e32 v95, v85, v83
	v_add_f32_e32 v96, v86, v84
	ds_read2_b64 v[83:86], v80 offset0:7 offset1:8
	s_waitcnt lgkmcnt(2)
	v_add_f32_e32 v87, v95, v87
	v_add_f32_e32 v88, v96, v88
	v_add_f32_e32 v95, v87, v89
	v_add_f32_e32 v96, v88, v90
	ds_read2_b64 v[87:90], v80 offset0:9 offset1:10
	;; [unrolled: 6-line block ×4, first 2 shown]
	s_waitcnt lgkmcnt(2)
	v_add_f32_e32 v87, v95, v87
	v_add_f32_e32 v88, v96, v88
	;; [unrolled: 1-line block ×4, first 2 shown]
	ds_read_b64 v[87:88], v81
	s_waitcnt lgkmcnt(2)
	v_add_f32_e32 v89, v89, v91
	v_add_f32_e32 v90, v90, v92
	;; [unrolled: 1-line block ×4, first 2 shown]
	s_waitcnt lgkmcnt(1)
	v_add_f32_e32 v83, v89, v83
	v_add_f32_e32 v84, v90, v84
	;; [unrolled: 1-line block ×4, first 2 shown]
	v_lshlrev_b64 v[83:84], 3, v[0:1]
	s_waitcnt lgkmcnt(0)
	v_add_f32_e32 v85, v85, v87
	v_add_f32_e32 v86, v86, v88
	v_add_co_u32 v83, s3, s7, v83
	v_add_co_ci_u32_e64 v84, null, s14, v84, s3
	global_store_dwordx2 v[83:84], v[85:86], off
	s_branch .LBB10_144
.LBB10_149:
	v_mad_u32_u24 v0, 0x218, v2, v72
	s_nor_b32 s0, s0, vcc_lo
	ds_write_b64 v0, v[36:37]
	s_waitcnt lgkmcnt(0)
	s_barrier
	buffer_gl0_inv
	s_and_saveexec_b32 s1, s0
	s_cbranch_execz .LBB10_151
; %bb.150:
	ds_read2_b64 v[0:3], v72 offset1:67
	ds_read2_b64 v[4:7], v72 offset0:134 offset1:201
	v_ashrrev_i32_e32 v36, 31, v35
	s_waitcnt lgkmcnt(1)
	v_add_f32_e32 v0, v2, v0
	v_add_f32_e32 v1, v3, v1
	s_waitcnt lgkmcnt(0)
	v_add_f32_e32 v2, v4, v0
	v_add_f32_e32 v3, v5, v1
	v_lshlrev_b64 v[0:1], 3, v[35:36]
	v_add_f32_e32 v2, v2, v6
	v_add_f32_e32 v3, v3, v7
	v_add_co_u32 v0, vcc_lo, s7, v0
	v_add_co_ci_u32_e64 v1, null, s14, v1, vcc_lo
	global_store_dwordx2 v[0:1], v[2:3], off
.LBB10_151:
	s_endpgm
	.section	.rodata,"a",@progbits
	.p2align	6, 0x0
	.amdhsa_kernel _ZL26rocblas_hemvn_kernel_lowerILb1ELi64ELi4ELi33ELi32ELi16EiPK19rocblas_complex_numIfES3_PS1_EviT6_lT7_lT5_lS6_lS7_lS5_lT8_i
		.amdhsa_group_segment_fixed_size 9600
		.amdhsa_private_segment_fixed_size 0
		.amdhsa_kernarg_size 376
		.amdhsa_user_sgpr_count 6
		.amdhsa_user_sgpr_private_segment_buffer 1
		.amdhsa_user_sgpr_dispatch_ptr 0
		.amdhsa_user_sgpr_queue_ptr 0
		.amdhsa_user_sgpr_kernarg_segment_ptr 1
		.amdhsa_user_sgpr_dispatch_id 0
		.amdhsa_user_sgpr_flat_scratch_init 0
		.amdhsa_user_sgpr_private_segment_size 0
		.amdhsa_wavefront_size32 1
		.amdhsa_uses_dynamic_stack 0
		.amdhsa_system_sgpr_private_segment_wavefront_offset 0
		.amdhsa_system_sgpr_workgroup_id_x 1
		.amdhsa_system_sgpr_workgroup_id_y 0
		.amdhsa_system_sgpr_workgroup_id_z 1
		.amdhsa_system_sgpr_workgroup_info 0
		.amdhsa_system_vgpr_workitem_id 1
		.amdhsa_next_free_vgpr 115
		.amdhsa_next_free_sgpr 30
		.amdhsa_reserve_vcc 1
		.amdhsa_reserve_flat_scratch 0
		.amdhsa_float_round_mode_32 0
		.amdhsa_float_round_mode_16_64 0
		.amdhsa_float_denorm_mode_32 3
		.amdhsa_float_denorm_mode_16_64 3
		.amdhsa_dx10_clamp 1
		.amdhsa_ieee_mode 1
		.amdhsa_fp16_overflow 0
		.amdhsa_workgroup_processor_mode 1
		.amdhsa_memory_ordered 1
		.amdhsa_forward_progress 1
		.amdhsa_shared_vgpr_count 0
		.amdhsa_exception_fp_ieee_invalid_op 0
		.amdhsa_exception_fp_denorm_src 0
		.amdhsa_exception_fp_ieee_div_zero 0
		.amdhsa_exception_fp_ieee_overflow 0
		.amdhsa_exception_fp_ieee_underflow 0
		.amdhsa_exception_fp_ieee_inexact 0
		.amdhsa_exception_int_div_zero 0
	.end_amdhsa_kernel
	.section	.text._ZL26rocblas_hemvn_kernel_lowerILb1ELi64ELi4ELi33ELi32ELi16EiPK19rocblas_complex_numIfES3_PS1_EviT6_lT7_lT5_lS6_lS7_lS5_lT8_i,"axG",@progbits,_ZL26rocblas_hemvn_kernel_lowerILb1ELi64ELi4ELi33ELi32ELi16EiPK19rocblas_complex_numIfES3_PS1_EviT6_lT7_lT5_lS6_lS7_lS5_lT8_i,comdat
.Lfunc_end10:
	.size	_ZL26rocblas_hemvn_kernel_lowerILb1ELi64ELi4ELi33ELi32ELi16EiPK19rocblas_complex_numIfES3_PS1_EviT6_lT7_lT5_lS6_lS7_lS5_lT8_i, .Lfunc_end10-_ZL26rocblas_hemvn_kernel_lowerILb1ELi64ELi4ELi33ELi32ELi16EiPK19rocblas_complex_numIfES3_PS1_EviT6_lT7_lT5_lS6_lS7_lS5_lT8_i
                                        ; -- End function
	.set _ZL26rocblas_hemvn_kernel_lowerILb1ELi64ELi4ELi33ELi32ELi16EiPK19rocblas_complex_numIfES3_PS1_EviT6_lT7_lT5_lS6_lS7_lS5_lT8_i.num_vgpr, 115
	.set _ZL26rocblas_hemvn_kernel_lowerILb1ELi64ELi4ELi33ELi32ELi16EiPK19rocblas_complex_numIfES3_PS1_EviT6_lT7_lT5_lS6_lS7_lS5_lT8_i.num_agpr, 0
	.set _ZL26rocblas_hemvn_kernel_lowerILb1ELi64ELi4ELi33ELi32ELi16EiPK19rocblas_complex_numIfES3_PS1_EviT6_lT7_lT5_lS6_lS7_lS5_lT8_i.numbered_sgpr, 30
	.set _ZL26rocblas_hemvn_kernel_lowerILb1ELi64ELi4ELi33ELi32ELi16EiPK19rocblas_complex_numIfES3_PS1_EviT6_lT7_lT5_lS6_lS7_lS5_lT8_i.num_named_barrier, 0
	.set _ZL26rocblas_hemvn_kernel_lowerILb1ELi64ELi4ELi33ELi32ELi16EiPK19rocblas_complex_numIfES3_PS1_EviT6_lT7_lT5_lS6_lS7_lS5_lT8_i.private_seg_size, 0
	.set _ZL26rocblas_hemvn_kernel_lowerILb1ELi64ELi4ELi33ELi32ELi16EiPK19rocblas_complex_numIfES3_PS1_EviT6_lT7_lT5_lS6_lS7_lS5_lT8_i.uses_vcc, 1
	.set _ZL26rocblas_hemvn_kernel_lowerILb1ELi64ELi4ELi33ELi32ELi16EiPK19rocblas_complex_numIfES3_PS1_EviT6_lT7_lT5_lS6_lS7_lS5_lT8_i.uses_flat_scratch, 0
	.set _ZL26rocblas_hemvn_kernel_lowerILb1ELi64ELi4ELi33ELi32ELi16EiPK19rocblas_complex_numIfES3_PS1_EviT6_lT7_lT5_lS6_lS7_lS5_lT8_i.has_dyn_sized_stack, 0
	.set _ZL26rocblas_hemvn_kernel_lowerILb1ELi64ELi4ELi33ELi32ELi16EiPK19rocblas_complex_numIfES3_PS1_EviT6_lT7_lT5_lS6_lS7_lS5_lT8_i.has_recursion, 0
	.set _ZL26rocblas_hemvn_kernel_lowerILb1ELi64ELi4ELi33ELi32ELi16EiPK19rocblas_complex_numIfES3_PS1_EviT6_lT7_lT5_lS6_lS7_lS5_lT8_i.has_indirect_call, 0
	.section	.AMDGPU.csdata,"",@progbits
; Kernel info:
; codeLenInByte = 8444
; TotalNumSgprs: 32
; NumVgprs: 115
; ScratchSize: 0
; MemoryBound: 1
; FloatMode: 240
; IeeeMode: 1
; LDSByteSize: 9600 bytes/workgroup (compile time only)
; SGPRBlocks: 0
; VGPRBlocks: 14
; NumSGPRsForWavesPerEU: 32
; NumVGPRsForWavesPerEU: 115
; Occupancy: 8
; WaveLimiterHint : 1
; COMPUTE_PGM_RSRC2:SCRATCH_EN: 0
; COMPUTE_PGM_RSRC2:USER_SGPR: 6
; COMPUTE_PGM_RSRC2:TRAP_HANDLER: 0
; COMPUTE_PGM_RSRC2:TGID_X_EN: 1
; COMPUTE_PGM_RSRC2:TGID_Y_EN: 0
; COMPUTE_PGM_RSRC2:TGID_Z_EN: 1
; COMPUTE_PGM_RSRC2:TIDIG_COMP_CNT: 1
	.section	.text._ZL36rocblas_hemvn_kernel_lower_block_sumILi64EiPK19rocblas_complex_numIfEPS1_S1_EviT1_lS5_lT2_lT0_lPT3_i,"axG",@progbits,_ZL36rocblas_hemvn_kernel_lower_block_sumILi64EiPK19rocblas_complex_numIfEPS1_S1_EviT1_lS5_lT2_lT0_lPT3_i,comdat
	.globl	_ZL36rocblas_hemvn_kernel_lower_block_sumILi64EiPK19rocblas_complex_numIfEPS1_S1_EviT1_lS5_lT2_lT0_lPT3_i ; -- Begin function _ZL36rocblas_hemvn_kernel_lower_block_sumILi64EiPK19rocblas_complex_numIfEPS1_S1_EviT1_lS5_lT2_lT0_lPT3_i
	.p2align	8
	.type	_ZL36rocblas_hemvn_kernel_lower_block_sumILi64EiPK19rocblas_complex_numIfEPS1_S1_EviT1_lS5_lT2_lT0_lPT3_i,@function
_ZL36rocblas_hemvn_kernel_lower_block_sumILi64EiPK19rocblas_complex_numIfEPS1_S1_EviT1_lS5_lT2_lT0_lPT3_i: ; @_ZL36rocblas_hemvn_kernel_lower_block_sumILi64EiPK19rocblas_complex_numIfEPS1_S1_EviT1_lS5_lT2_lT0_lPT3_i
; %bb.0:
	s_load_dwordx8 s[8:15], s[4:5], 0x8
	s_waitcnt lgkmcnt(0)
	s_mul_i32 s1, s11, s7
	s_mul_hi_u32 s2, s10, s7
	s_mul_i32 s0, s10, s7
	s_add_i32 s1, s2, s1
	s_mul_i32 s2, s15, s7
	s_lshl_b64 s[0:1], s[0:1], 3
	s_add_u32 s0, s8, s0
	s_addc_u32 s1, s9, s1
	s_load_dwordx2 s[8:9], s[0:1], 0x0
	s_mul_hi_u32 s1, s14, s7
	s_mul_i32 s0, s14, s7
	s_add_i32 s1, s1, s2
	s_lshl_b64 s[0:1], s[0:1], 3
	s_add_u32 s0, s12, s0
	s_addc_u32 s1, s13, s1
	s_load_dwordx2 s[2:3], s[0:1], 0x0
	s_waitcnt lgkmcnt(0)
	s_or_b32 s0, s8, s9
	s_bitset0_b32 s0, 31
	s_cmp_eq_u32 s0, 0
	s_cselect_b32 s1, -1, 0
	s_cmp_lg_u32 s0, 0
	s_mov_b32 s0, -1
	s_cbranch_scc1 .LBB11_2
; %bb.1:
	v_cmp_neq_f32_e64 s0, s2, 1.0
	v_cmp_neq_f32_e64 s10, s3, 0
	s_or_b32 s0, s0, s10
.LBB11_2:
	s_andn2_b32 vcc_lo, exec_lo, s0
	s_cbranch_vccnz .LBB11_19
; %bb.3:
	s_clause 0x3
	s_load_dwordx2 s[12:13], s[4:5], 0x40
	s_load_dwordx4 s[16:19], s[4:5], 0x28
	s_load_dword s14, s[4:5], 0x38
	s_load_dword s10, s[4:5], 0x0
	v_lshl_or_b32 v0, s6, 6, v0
	s_waitcnt lgkmcnt(0)
	s_mul_i32 s0, s13, s7
	s_mul_hi_u32 s11, s12, s7
	s_mul_i32 s12, s12, s7
	s_add_i32 s13, s11, s0
	v_cmp_gt_i32_e64 s0, s10, v0
	s_lshl_b64 s[12:13], s[12:13], 3
	s_add_u32 s11, s16, s12
	s_addc_u32 s15, s17, s13
	s_lshl_b64 s[12:13], s[18:19], 3
	s_add_u32 s12, s11, s12
	s_addc_u32 s13, s15, s13
	s_andn2_b32 vcc_lo, exec_lo, s1
	s_mov_b32 s1, -1
	s_cbranch_vccnz .LBB11_9
; %bb.4:
	s_and_saveexec_b32 s1, s0
	s_cbranch_execz .LBB11_8
; %bb.5:
	v_mul_lo_u32 v1, s14, v0
	v_cmp_neq_f32_e64 s0, s2, 0
	v_cmp_neq_f32_e64 s11, s3, 0
	v_mov_b32_e32 v3, 0
	v_mov_b32_e32 v4, 0
	s_or_b32 s0, s0, s11
	v_ashrrev_i32_e32 v2, 31, v1
	s_andn2_b32 vcc_lo, exec_lo, s0
	v_lshlrev_b64 v[1:2], 3, v[1:2]
	s_cbranch_vccnz .LBB11_7
; %bb.6:
	v_add_co_u32 v3, vcc_lo, s12, v1
	v_add_co_ci_u32_e64 v4, null, s13, v2, vcc_lo
	global_load_dwordx2 v[5:6], v[3:4], off
	s_waitcnt vmcnt(0)
	v_mul_f32_e32 v3, s3, v6
	v_mul_f32_e32 v4, s2, v6
	v_fma_f32 v3, v5, s2, -v3
	v_fmac_f32_e32 v4, s3, v5
.LBB11_7:
	v_add_co_u32 v1, vcc_lo, s12, v1
	v_add_co_ci_u32_e64 v2, null, s13, v2, vcc_lo
	global_store_dwordx2 v[1:2], v[3:4], off
.LBB11_8:
	s_or_b32 exec_lo, exec_lo, s1
	s_mov_b32 s1, 0
.LBB11_9:
	s_andn2_b32 vcc_lo, exec_lo, s1
	s_cbranch_vccnz .LBB11_19
; %bb.10:
	s_mov_b32 s0, exec_lo
	v_cmpx_gt_i32_e64 s10, v0
	s_cbranch_execz .LBB11_19
; %bb.11:
	s_load_dword s15, s[4:5], 0x58
	v_mov_b32_e32 v3, 0
	v_mov_b32_e32 v4, 0
	s_waitcnt lgkmcnt(0)
	s_cmp_ge_i32 s6, s15
	s_cbranch_scc1 .LBB11_14
; %bb.12:
	s_load_dwordx2 s[0:1], s[4:5], 0x48
	v_mad_u64_u32 v[1:2], null, s10, s6, v[0:1]
	s_ashr_i32 s11, s10, 31
	s_mul_hi_u32 s4, s10, s7
	s_mul_i32 s5, s11, s7
	s_mul_i32 s7, s10, s7
	s_add_i32 s4, s4, s5
	s_mul_hi_u32 s5, s7, s15
	v_ashrrev_i32_e32 v2, 31, v1
	s_mul_i32 s16, s4, s15
	s_mul_i32 s4, s7, s15
	s_add_i32 s5, s5, s16
	v_mov_b32_e32 v3, 0
	v_lshlrev_b64 v[1:2], 3, v[1:2]
	s_lshl_b64 s[4:5], s[4:5], 3
	v_mov_b32_e32 v4, 0
	s_waitcnt lgkmcnt(0)
	s_add_u32 s0, s0, s4
	s_addc_u32 s1, s1, s5
	v_add_co_u32 v1, vcc_lo, s0, v1
	v_add_co_ci_u32_e64 v2, null, s1, v2, vcc_lo
	s_lshl_b64 s[0:1], s[10:11], 3
	v_add_co_u32 v1, vcc_lo, v1, 4
	v_add_co_ci_u32_e64 v2, null, 0, v2, vcc_lo
.LBB11_13:                              ; =>This Inner Loop Header: Depth=1
	global_load_dwordx2 v[5:6], v[1:2], off offset:-4
	v_add_co_u32 v1, vcc_lo, v1, s0
	v_add_co_ci_u32_e64 v2, null, s1, v2, vcc_lo
	s_add_i32 s6, s6, 1
	s_cmp_ge_i32 s6, s15
	s_waitcnt vmcnt(0)
	v_add_f32_e32 v4, v4, v5
	v_add_f32_e32 v3, v3, v6
	s_cbranch_scc0 .LBB11_13
.LBB11_14:
	v_mul_lo_u32 v2, s14, v0
	v_mul_f32_e32 v0, s9, v3
	v_mul_f32_e32 v1, s8, v3
	v_cmp_neq_f32_e64 s0, s2, 0
	v_cmp_neq_f32_e64 s1, s3, 0
	v_fma_f32 v0, v4, s8, -v0
	v_fmac_f32_e32 v1, s9, v4
	v_ashrrev_i32_e32 v3, 31, v2
	s_or_b32 s0, s0, s1
	s_andn2_b32 vcc_lo, exec_lo, s0
	s_mov_b32 s0, 0
	s_cbranch_vccnz .LBB11_16
; %bb.15:
	s_mov_b32 s0, -1
.LBB11_16:
	s_andn2_b32 vcc_lo, exec_lo, s0
	s_cbranch_vccnz .LBB11_18
; %bb.17:
	v_lshlrev_b64 v[4:5], 3, v[2:3]
	v_add_co_u32 v4, vcc_lo, s12, v4
	v_add_co_ci_u32_e64 v5, null, s13, v5, vcc_lo
	global_load_dwordx2 v[4:5], v[4:5], off
	s_waitcnt vmcnt(0)
	v_mul_f32_e32 v6, s3, v5
	v_mul_f32_e32 v5, s2, v5
	v_fma_f32 v6, v4, s2, -v6
	v_fmac_f32_e32 v5, s3, v4
	v_add_f32_e32 v0, v0, v6
	v_add_f32_e32 v1, v1, v5
.LBB11_18:
	v_lshlrev_b64 v[2:3], 3, v[2:3]
	v_add_co_u32 v2, vcc_lo, s12, v2
	v_add_co_ci_u32_e64 v3, null, s13, v3, vcc_lo
	global_store_dwordx2 v[2:3], v[0:1], off
.LBB11_19:
	s_endpgm
	.section	.rodata,"a",@progbits
	.p2align	6, 0x0
	.amdhsa_kernel _ZL36rocblas_hemvn_kernel_lower_block_sumILi64EiPK19rocblas_complex_numIfEPS1_S1_EviT1_lS5_lT2_lT0_lPT3_i
		.amdhsa_group_segment_fixed_size 0
		.amdhsa_private_segment_fixed_size 0
		.amdhsa_kernarg_size 344
		.amdhsa_user_sgpr_count 6
		.amdhsa_user_sgpr_private_segment_buffer 1
		.amdhsa_user_sgpr_dispatch_ptr 0
		.amdhsa_user_sgpr_queue_ptr 0
		.amdhsa_user_sgpr_kernarg_segment_ptr 1
		.amdhsa_user_sgpr_dispatch_id 0
		.amdhsa_user_sgpr_flat_scratch_init 0
		.amdhsa_user_sgpr_private_segment_size 0
		.amdhsa_wavefront_size32 1
		.amdhsa_uses_dynamic_stack 0
		.amdhsa_system_sgpr_private_segment_wavefront_offset 0
		.amdhsa_system_sgpr_workgroup_id_x 1
		.amdhsa_system_sgpr_workgroup_id_y 0
		.amdhsa_system_sgpr_workgroup_id_z 1
		.amdhsa_system_sgpr_workgroup_info 0
		.amdhsa_system_vgpr_workitem_id 0
		.amdhsa_next_free_vgpr 7
		.amdhsa_next_free_sgpr 20
		.amdhsa_reserve_vcc 1
		.amdhsa_reserve_flat_scratch 0
		.amdhsa_float_round_mode_32 0
		.amdhsa_float_round_mode_16_64 0
		.amdhsa_float_denorm_mode_32 3
		.amdhsa_float_denorm_mode_16_64 3
		.amdhsa_dx10_clamp 1
		.amdhsa_ieee_mode 1
		.amdhsa_fp16_overflow 0
		.amdhsa_workgroup_processor_mode 1
		.amdhsa_memory_ordered 1
		.amdhsa_forward_progress 1
		.amdhsa_shared_vgpr_count 0
		.amdhsa_exception_fp_ieee_invalid_op 0
		.amdhsa_exception_fp_denorm_src 0
		.amdhsa_exception_fp_ieee_div_zero 0
		.amdhsa_exception_fp_ieee_overflow 0
		.amdhsa_exception_fp_ieee_underflow 0
		.amdhsa_exception_fp_ieee_inexact 0
		.amdhsa_exception_int_div_zero 0
	.end_amdhsa_kernel
	.section	.text._ZL36rocblas_hemvn_kernel_lower_block_sumILi64EiPK19rocblas_complex_numIfEPS1_S1_EviT1_lS5_lT2_lT0_lPT3_i,"axG",@progbits,_ZL36rocblas_hemvn_kernel_lower_block_sumILi64EiPK19rocblas_complex_numIfEPS1_S1_EviT1_lS5_lT2_lT0_lPT3_i,comdat
.Lfunc_end11:
	.size	_ZL36rocblas_hemvn_kernel_lower_block_sumILi64EiPK19rocblas_complex_numIfEPS1_S1_EviT1_lS5_lT2_lT0_lPT3_i, .Lfunc_end11-_ZL36rocblas_hemvn_kernel_lower_block_sumILi64EiPK19rocblas_complex_numIfEPS1_S1_EviT1_lS5_lT2_lT0_lPT3_i
                                        ; -- End function
	.set _ZL36rocblas_hemvn_kernel_lower_block_sumILi64EiPK19rocblas_complex_numIfEPS1_S1_EviT1_lS5_lT2_lT0_lPT3_i.num_vgpr, 7
	.set _ZL36rocblas_hemvn_kernel_lower_block_sumILi64EiPK19rocblas_complex_numIfEPS1_S1_EviT1_lS5_lT2_lT0_lPT3_i.num_agpr, 0
	.set _ZL36rocblas_hemvn_kernel_lower_block_sumILi64EiPK19rocblas_complex_numIfEPS1_S1_EviT1_lS5_lT2_lT0_lPT3_i.numbered_sgpr, 20
	.set _ZL36rocblas_hemvn_kernel_lower_block_sumILi64EiPK19rocblas_complex_numIfEPS1_S1_EviT1_lS5_lT2_lT0_lPT3_i.num_named_barrier, 0
	.set _ZL36rocblas_hemvn_kernel_lower_block_sumILi64EiPK19rocblas_complex_numIfEPS1_S1_EviT1_lS5_lT2_lT0_lPT3_i.private_seg_size, 0
	.set _ZL36rocblas_hemvn_kernel_lower_block_sumILi64EiPK19rocblas_complex_numIfEPS1_S1_EviT1_lS5_lT2_lT0_lPT3_i.uses_vcc, 1
	.set _ZL36rocblas_hemvn_kernel_lower_block_sumILi64EiPK19rocblas_complex_numIfEPS1_S1_EviT1_lS5_lT2_lT0_lPT3_i.uses_flat_scratch, 0
	.set _ZL36rocblas_hemvn_kernel_lower_block_sumILi64EiPK19rocblas_complex_numIfEPS1_S1_EviT1_lS5_lT2_lT0_lPT3_i.has_dyn_sized_stack, 0
	.set _ZL36rocblas_hemvn_kernel_lower_block_sumILi64EiPK19rocblas_complex_numIfEPS1_S1_EviT1_lS5_lT2_lT0_lPT3_i.has_recursion, 0
	.set _ZL36rocblas_hemvn_kernel_lower_block_sumILi64EiPK19rocblas_complex_numIfEPS1_S1_EviT1_lS5_lT2_lT0_lPT3_i.has_indirect_call, 0
	.section	.AMDGPU.csdata,"",@progbits
; Kernel info:
; codeLenInByte = 796
; TotalNumSgprs: 22
; NumVgprs: 7
; ScratchSize: 0
; MemoryBound: 0
; FloatMode: 240
; IeeeMode: 1
; LDSByteSize: 0 bytes/workgroup (compile time only)
; SGPRBlocks: 0
; VGPRBlocks: 0
; NumSGPRsForWavesPerEU: 22
; NumVGPRsForWavesPerEU: 7
; Occupancy: 16
; WaveLimiterHint : 0
; COMPUTE_PGM_RSRC2:SCRATCH_EN: 0
; COMPUTE_PGM_RSRC2:USER_SGPR: 6
; COMPUTE_PGM_RSRC2:TRAP_HANDLER: 0
; COMPUTE_PGM_RSRC2:TGID_X_EN: 1
; COMPUTE_PGM_RSRC2:TGID_Y_EN: 0
; COMPUTE_PGM_RSRC2:TGID_Z_EN: 1
; COMPUTE_PGM_RSRC2:TIDIG_COMP_CNT: 0
	.section	.text._ZL26rocblas_hemvn_kernel_lowerILb1ELi64ELi4ELi33ELi32ELi16El19rocblas_complex_numIfEPKS1_PS1_EviT6_lT7_lT5_lS6_lS7_lS5_lT8_i,"axG",@progbits,_ZL26rocblas_hemvn_kernel_lowerILb1ELi64ELi4ELi33ELi32ELi16El19rocblas_complex_numIfEPKS1_PS1_EviT6_lT7_lT5_lS6_lS7_lS5_lT8_i,comdat
	.globl	_ZL26rocblas_hemvn_kernel_lowerILb1ELi64ELi4ELi33ELi32ELi16El19rocblas_complex_numIfEPKS1_PS1_EviT6_lT7_lT5_lS6_lS7_lS5_lT8_i ; -- Begin function _ZL26rocblas_hemvn_kernel_lowerILb1ELi64ELi4ELi33ELi32ELi16El19rocblas_complex_numIfEPKS1_PS1_EviT6_lT7_lT5_lS6_lS7_lS5_lT8_i
	.p2align	8
	.type	_ZL26rocblas_hemvn_kernel_lowerILb1ELi64ELi4ELi33ELi32ELi16El19rocblas_complex_numIfEPKS1_PS1_EviT6_lT7_lT5_lS6_lS7_lS5_lT8_i,@function
_ZL26rocblas_hemvn_kernel_lowerILb1ELi64ELi4ELi33ELi32ELi16El19rocblas_complex_numIfEPKS1_PS1_EviT6_lT7_lT5_lS6_lS7_lS5_lT8_i: ; @_ZL26rocblas_hemvn_kernel_lowerILb1ELi64ELi4ELi33ELi32ELi16El19rocblas_complex_numIfEPKS1_PS1_EviT6_lT7_lT5_lS6_lS7_lS5_lT8_i
; %bb.0:
	s_load_dwordx2 s[2:3], s[4:5], 0x84
	s_add_u32 s0, s4, 0x78
	s_addc_u32 s1, s5, 0
	s_waitcnt lgkmcnt(0)
	s_lshr_b32 s8, s2, 16
	s_and_b32 s2, s2, 0xffff
	s_and_b32 s3, s3, 0xffff
	s_mul_i32 s2, s8, s2
	s_mul_i32 s2, s2, s3
	s_cmpk_lg_i32 s2, 0x100
	s_cbranch_scc1 .LBB12_151
; %bb.1:
	s_load_dwordx2 s[2:3], s[4:5], 0x4
	s_waitcnt lgkmcnt(0)
	s_or_b32 s2, s2, s3
	s_mov_b32 s3, -1
	s_bitset0_b32 s2, 31
	s_cmp_lg_u32 s2, 0
	s_cselect_b32 s2, -1, 0
	s_and_b32 vcc_lo, exec_lo, s2
	s_cbranch_vccnz .LBB12_3
; %bb.2:
	s_load_dwordx2 s[8:9], s[4:5], 0x58
	s_waitcnt lgkmcnt(0)
	v_cmp_neq_f32_e64 s3, s8, 1.0
	v_cmp_neq_f32_e64 s8, s9, 0
	s_or_b32 s3, s3, s8
.LBB12_3:
	s_andn2_b32 vcc_lo, exec_lo, s3
	s_cbranch_vccnz .LBB12_151
; %bb.4:
	s_andn2_b32 vcc_lo, exec_lo, s2
	s_cbranch_vccnz .LBB12_151
; %bb.5:
	s_clause 0x1
	s_load_dwordx16 s[8:23], s[4:5], 0x18
	s_load_dword s24, s[4:5], 0x0
	s_load_dword s25, s[0:1], 0x0
	s_waitcnt lgkmcnt(0)
	s_mul_i32 s3, s23, s7
	s_mul_hi_u32 s23, s22, s7
	s_mul_i32 s2, s22, s7
	s_add_i32 s3, s23, s3
	s_lshl_b64 s[2:3], s[2:3], 3
	s_add_u32 s16, s16, s2
	s_addc_u32 s17, s17, s3
	s_lshl_b64 s[2:3], s[18:19], 3
	s_add_u32 s2, s16, s2
	s_addc_u32 s3, s17, s3
	s_lshl_b32 s16, s6, 6
	s_ashr_i32 s26, s24, 31
	v_add_nc_u32_e32 v34, s16, v0
	s_lshr_b32 s0, s26, 26
	s_add_i32 s17, s25, -1
	s_add_i32 s1, s24, s0
	v_cmp_ne_u32_e64 s0, 0, v1
	v_ashrrev_i32_e32 v35, 31, v34
	v_mul_lo_u32 v4, s21, v34
	v_mad_u64_u32 v[2:3], null, s20, v34, 0
	s_andn2_b32 s1, s1, 63
	v_mul_lo_u32 v5, s20, v35
	s_sub_i32 s18, s24, s1
	v_cmp_eq_u32_e64 s1, 0, v1
	s_cmp_eq_u32 s6, s17
	s_cselect_b32 s18, s18, 0
	v_add3_u32 v3, v3, v5, v4
	v_lshlrev_b64 v[2:3], 3, v[2:3]
	v_add_co_u32 v18, vcc_lo, s2, v2
	v_add_co_ci_u32_e64 v19, null, s3, v3, vcc_lo
	s_mov_b32 s2, -1
	s_and_saveexec_b32 s3, s1
	s_cbranch_execz .LBB12_10
; %bb.6:
	v_cmp_le_i32_e32 vcc_lo, s18, v0
	s_cmp_lg_u32 s18, 0
	v_lshl_add_u32 v2, v0, 3, 0x2380
	s_cselect_b32 s17, -1, 0
	s_and_b32 s17, s17, vcc_lo
	s_and_saveexec_b32 s19, s17
	s_xor_b32 s17, exec_lo, s19
; %bb.7:
	v_mov_b32_e32 v3, 0
	v_mov_b32_e32 v4, v3
	ds_write_b64 v2, v[3:4]
                                        ; implicit-def: $vgpr2
; %bb.8:
	s_andn2_saveexec_b32 s17, s17
	s_cbranch_execz .LBB12_10
; %bb.9:
	global_load_dwordx2 v[3:4], v[18:19], off
	s_waitcnt vmcnt(0)
	ds_write_b64 v2, v[3:4]
.LBB12_10:
	s_or_b32 exec_lo, exec_lo, s3
	v_lshl_add_u32 v24, v1, 6, v0
	v_and_b32_e32 v2, 31, v0
	v_mov_b32_e32 v3, 0
	s_mul_i32 s3, s15, s7
	s_mul_hi_u32 s15, s14, s7
	v_lshrrev_b32_e32 v7, 5, v24
	s_mul_i32 s14, s14, s7
	s_add_i32 s15, s15, s3
	s_lshl_b64 s[14:15], s[14:15], 3
	v_mad_u64_u32 v[3:4], null, s12, v7, v[2:3]
	s_add_u32 s3, s8, s14
	s_addc_u32 s14, s9, s15
	s_lshl_b64 s[8:9], s[10:11], 3
	s_mul_hi_u32 s10, s12, s16
	s_add_u32 s3, s3, s8
	s_addc_u32 s11, s14, s9
	v_mad_u64_u32 v[4:5], null, s13, v7, v[4:5]
	s_ashr_i32 s17, s16, 31
	s_mul_i32 s14, s13, s16
	s_lshl_b64 s[8:9], s[16:17], 3
	s_mul_i32 s15, s12, s17
	s_add_u32 s3, s3, s8
	s_addc_u32 s11, s11, s9
	v_lshlrev_b64 v[20:21], 3, v[3:4]
	s_add_i32 s9, s10, s15
	s_mul_i32 s8, s12, s16
	s_add_i32 s9, s9, s14
	s_lshl_b64 s[14:15], s[8:9], 3
	v_add_co_u32 v3, vcc_lo, s3, v20
	v_add_co_ci_u32_e64 v4, null, s11, v21, vcc_lo
	s_cmp_lg_u32 s18, 0
	v_add_co_u32 v3, vcc_lo, v3, s14
	v_add_co_ci_u32_e64 v4, null, s15, v4, vcc_lo
	s_cselect_b32 s27, -1, 0
	s_cmp_eq_u32 s18, 0
	s_cselect_b32 s11, -1, 0
	s_and_b32 vcc_lo, exec_lo, s27
	s_cbranch_vccnz .LBB12_12
; %bb.11:
	s_lshl_b64 s[2:3], s[12:13], 6
	v_mul_u32_u24_e32 v14, 0x108, v7
	v_add_co_u32 v5, vcc_lo, v3, s2
	v_add_co_ci_u32_e64 v6, null, s3, v4, vcc_lo
	v_lshl_add_u32 v14, v2, 3, v14
	v_add_co_u32 v8, vcc_lo, v5, s2
	v_add_co_ci_u32_e64 v9, null, s3, v6, vcc_lo
	v_add_co_u32 v10, vcc_lo, v8, s2
	v_add_co_ci_u32_e64 v11, null, s3, v9, vcc_lo
	s_clause 0x3
	global_load_dwordx2 v[12:13], v[3:4], off
	global_load_dwordx2 v[5:6], v[5:6], off
	;; [unrolled: 1-line block ×4, first 2 shown]
	s_mov_b32 s2, 0
	s_waitcnt vmcnt(3)
	ds_write_b64 v14, v[12:13]
	s_waitcnt vmcnt(2)
	ds_write_b64 v14, v[5:6] offset:2112
	s_waitcnt vmcnt(1)
	ds_write_b64 v14, v[8:9] offset:4224
	;; [unrolled: 2-line block ×3, first 2 shown]
.LBB12_12:
	v_lshlrev_b32_e32 v8, 3, v2
	s_andn2_b32 vcc_lo, exec_lo, s2
	s_cbranch_vccnz .LBB12_30
; %bb.13:
	v_lshlrev_b32_e32 v9, 3, v2
	s_ashr_i32 s19, s18, 31
	v_cmp_le_i32_e64 s2, s18, v7
	s_lshl_b64 s[8:9], s[18:19], 3
	v_mul_u32_u24_e32 v10, 0x108, v7
	v_sub_co_u32 v5, vcc_lo, v3, v9
	v_subrev_co_ci_u32_e64 v6, null, 0, v4, vcc_lo
	v_add_co_u32 v5, vcc_lo, v5, s8
	v_add_co_ci_u32_e64 v6, null, s9, v6, vcc_lo
	v_add_co_u32 v5, vcc_lo, v5, -8
	v_add_co_ci_u32_e64 v6, null, -1, v6, vcc_lo
	v_cmp_gt_i32_e32 vcc_lo, s18, v2
	v_cndmask_b32_e32 v6, v6, v4, vcc_lo
	v_cndmask_b32_e32 v5, v5, v3, vcc_lo
	s_and_saveexec_b32 s3, s2
	s_xor_b32 s2, exec_lo, s3
	s_cbranch_execz .LBB12_15
; %bb.14:
	v_mov_b32_e32 v11, 0
	v_add_nc_u32_e32 v13, v8, v10
	v_mov_b32_e32 v12, v11
	ds_write_b64 v13, v[11:12]
.LBB12_15:
	s_andn2_saveexec_b32 s2, s2
	s_cbranch_execz .LBB12_17
; %bb.16:
	global_load_dwordx2 v[11:12], v[5:6], off
	v_add_nc_u32_e32 v13, v8, v10
	s_waitcnt vmcnt(0)
	ds_write_b64 v13, v[11:12]
.LBB12_17:
	s_or_b32 exec_lo, exec_lo, s2
	v_add_nc_u32_e32 v11, 8, v7
	v_cmp_le_i32_e64 s2, s18, v11
	s_and_saveexec_b32 s3, s2
	s_xor_b32 s2, exec_lo, s3
	s_cbranch_execz .LBB12_19
; %bb.18:
	v_mov_b32_e32 v11, 0
	v_add_nc_u32_e32 v13, v10, v8
	v_mov_b32_e32 v12, v11
	ds_write_b64 v13, v[11:12] offset:2112
.LBB12_19:
	s_andn2_saveexec_b32 s3, s2
	s_cbranch_execz .LBB12_21
; %bb.20:
	s_lshl_b64 s[22:23], s[12:13], 6
	v_add_nc_u32_e32 v13, v10, v8
	v_add_co_u32 v11, s2, v5, s22
	v_add_co_ci_u32_e64 v12, null, s23, v6, s2
	global_load_dwordx2 v[11:12], v[11:12], off
	s_waitcnt vmcnt(0)
	ds_write_b64 v13, v[11:12] offset:2112
.LBB12_21:
	s_or_b32 exec_lo, exec_lo, s3
	v_add_nc_u32_e32 v11, 16, v7
	v_cmp_le_i32_e64 s2, s18, v11
	s_and_saveexec_b32 s3, s2
	s_xor_b32 s2, exec_lo, s3
	s_cbranch_execz .LBB12_23
; %bb.22:
	v_mov_b32_e32 v11, 0
	v_add_nc_u32_e32 v13, v10, v8
	v_mov_b32_e32 v12, v11
	ds_write_b64 v13, v[11:12] offset:4224
.LBB12_23:
	s_andn2_saveexec_b32 s3, s2
	s_cbranch_execz .LBB12_25
; %bb.24:
	s_lshl_b64 s[22:23], s[12:13], 7
	v_add_nc_u32_e32 v13, v10, v8
	v_add_co_u32 v11, s2, v5, s22
	v_add_co_ci_u32_e64 v12, null, s23, v6, s2
	global_load_dwordx2 v[11:12], v[11:12], off
	s_waitcnt vmcnt(0)
	ds_write_b64 v13, v[11:12] offset:4224
.LBB12_25:
	s_or_b32 exec_lo, exec_lo, s3
	v_add_nc_u32_e32 v11, 24, v7
	v_cmp_le_i32_e64 s2, s18, v11
	s_and_saveexec_b32 s3, s2
	s_xor_b32 s2, exec_lo, s3
	s_cbranch_execz .LBB12_27
; %bb.26:
	v_mov_b32_e32 v11, 0
	v_add_nc_u32_e32 v10, v10, v8
	v_mov_b32_e32 v12, v11
	ds_write_b64 v10, v[11:12] offset:6336
                                        ; implicit-def: $vgpr10
.LBB12_27:
	s_andn2_saveexec_b32 s2, s2
	s_cbranch_execz .LBB12_29
; %bb.28:
	v_mad_u64_u32 v[11:12], null, 0xc0, s12, v[5:6]
	v_add_nc_u32_e32 v10, v10, v8
	v_mad_u64_u32 v[12:13], null, 0xc0, s13, v[12:13]
	global_load_dwordx2 v[11:12], v[11:12], off
	s_waitcnt vmcnt(0)
	ds_write_b64 v10, v[11:12] offset:6336
.LBB12_29:
	s_or_b32 exec_lo, exec_lo, s2
	v_add_co_u32 v5, s2, v5, v9
	v_add_co_ci_u32_e64 v6, null, 0, v6, s2
	v_sub_co_u32 v5, s2, v5, s8
	v_subrev_co_ci_u32_e64 v6, null, s9, v6, s2
	v_add_co_u32 v5, s2, v5, 8
	v_add_co_ci_u32_e64 v6, null, 0, v6, s2
	v_cndmask_b32_e32 v3, v5, v3, vcc_lo
	v_cndmask_b32_e32 v4, v6, v4, vcc_lo
.LBB12_30:
	v_lshlrev_b32_e32 v5, 2, v7
	v_mul_u32_u24_e32 v6, 0x108, v2
	s_mov_b32 s2, 0
	s_waitcnt lgkmcnt(0)
	s_barrier
	v_cmp_ge_u32_e64 s3, v5, v2
	buffer_gl0_inv
                                        ; implicit-def: $vgpr9
	s_and_saveexec_b32 s8, s3
	s_xor_b32 s8, exec_lo, s8
	s_cbranch_execz .LBB12_34
; %bb.31:
	s_mov_b32 s9, exec_lo
                                        ; implicit-def: $vgpr9
	v_cmpx_eq_u32_e64 v5, v2
	s_xor_b32 s9, exec_lo, s9
; %bb.32:
	v_add_nc_u32_e32 v9, v8, v6
	s_mov_b32 s2, exec_lo
; %bb.33:
	s_or_b32 exec_lo, exec_lo, s9
	s_and_b32 s2, s2, exec_lo
.LBB12_34:
	s_or_saveexec_b32 s8, s8
	v_lshl_or_b32 v14, v2, 8, v8
	v_mov_b32_e32 v10, 0
	v_mad_u32_u24 v12, 0x420, v7, v8
	s_xor_b32 exec_lo, exec_lo, s8
	s_cbranch_execz .LBB12_36
; %bb.35:
	ds_read_b64 v[15:16], v12
	v_lshl_add_u32 v9, v5, 3, v14
	s_or_b32 s2, s2, exec_lo
	s_waitcnt lgkmcnt(0)
	v_xor_b32_e32 v10, 0x80000000, v16
	ds_write_b32 v9, v15
.LBB12_36:
	s_or_b32 exec_lo, exec_lo, s8
	s_and_saveexec_b32 s8, s2
; %bb.37:
	ds_write_b32 v9, v10 offset:4
; %bb.38:
	s_or_b32 exec_lo, exec_lo, s8
	v_or_b32_e32 v9, 1, v5
	s_mov_b32 s2, 0
                                        ; implicit-def: $vgpr10
	v_cmp_ge_u32_e64 s8, v9, v2
	s_and_saveexec_b32 s9, s8
	s_xor_b32 s9, exec_lo, s9
	s_cbranch_execz .LBB12_42
; %bb.39:
	s_mov_b32 s10, exec_lo
                                        ; implicit-def: $vgpr10
	v_cmpx_eq_u32_e64 v9, v2
; %bb.40:
	v_add_nc_u32_e32 v10, v8, v6
	s_mov_b32 s2, exec_lo
; %bb.41:
	s_or_b32 exec_lo, exec_lo, s10
	s_and_b32 s2, s2, exec_lo
.LBB12_42:
	s_or_saveexec_b32 s9, s9
	v_mov_b32_e32 v11, 0
	v_mad_u32_u24 v13, 0x108, v9, v8
	s_xor_b32 exec_lo, exec_lo, s9
	s_cbranch_execz .LBB12_44
; %bb.43:
	ds_read_b64 v[15:16], v13
	v_lshl_add_u32 v17, v5, 3, v14
	s_or_b32 s2, s2, exec_lo
	v_add_nc_u32_e32 v10, 8, v17
	s_waitcnt lgkmcnt(0)
	v_xor_b32_e32 v11, 0x80000000, v16
	ds_write_b32 v17, v15 offset:8
.LBB12_44:
	s_or_b32 exec_lo, exec_lo, s9
	s_and_saveexec_b32 s9, s2
; %bb.45:
	ds_write_b32 v10, v11 offset:4
; %bb.46:
	s_or_b32 exec_lo, exec_lo, s9
	v_or_b32_e32 v10, 2, v5
	s_mov_b32 s2, 0
                                        ; implicit-def: $vgpr11
	v_cmp_ge_u32_e64 s9, v10, v2
	s_and_saveexec_b32 s10, s9
	s_xor_b32 s10, exec_lo, s10
	s_cbranch_execnz .LBB12_104
; %bb.47:
	s_or_saveexec_b32 s10, s10
	v_mov_b32_e32 v15, 0
	s_xor_b32 exec_lo, exec_lo, s10
	s_cbranch_execnz .LBB12_107
.LBB12_48:
	s_or_b32 exec_lo, exec_lo, s10
	s_and_saveexec_b32 s10, s2
.LBB12_49:
	ds_write_b32 v11, v15 offset:4
.LBB12_50:
	s_or_b32 exec_lo, exec_lo, s10
	v_or_b32_e32 v11, 3, v5
	s_mov_b32 s2, 0
                                        ; implicit-def: $vgpr15
	v_cmp_ge_u32_e64 s10, v11, v2
	s_and_saveexec_b32 s19, s10
	s_xor_b32 s19, exec_lo, s19
	s_cbranch_execnz .LBB12_108
; %bb.51:
	s_or_saveexec_b32 s19, s19
	v_mov_b32_e32 v16, 0
	s_xor_b32 exec_lo, exec_lo, s19
	s_cbranch_execnz .LBB12_111
.LBB12_52:
	s_or_b32 exec_lo, exec_lo, s19
	s_and_saveexec_b32 s19, s2
.LBB12_53:
	ds_write_b32 v15, v16 offset:4
.LBB12_54:
	s_or_b32 exec_lo, exec_lo, s19
	v_lshlrev_b32_e32 v15, 3, v5
	s_waitcnt lgkmcnt(0)
	s_barrier
	buffer_gl0_inv
	ds_read_b64 v[16:17], v12
	ds_read_b128 v[25:28], v15 offset:9088
	ds_read2_b64 v[29:32], v13 offset1:33
	ds_read_b128 v[36:39], v15 offset:9104
	ds_read_b64 v[12:13], v13 offset:528
	v_mul_u32_u24_e32 v14, 33, v2
	v_cmp_gt_u32_e64 s2, 32, v24
	s_waitcnt lgkmcnt(0)
	s_barrier
	buffer_gl0_inv
	v_mul_f32_e32 v22, v26, v17
	v_mul_f32_e32 v17, v25, v17
	;; [unrolled: 1-line block ×5, first 2 shown]
	v_fma_f32 v22, v25, v16, -v22
	v_fmac_f32_e32 v17, v26, v16
	v_mul_f32_e32 v32, v36, v32
	v_fma_f32 v23, v27, v29, -v23
	v_fmac_f32_e32 v30, v28, v29
	v_add_f32_e32 v22, 0, v22
	v_add_f32_e32 v17, 0, v17
	v_mul_f32_e32 v16, v39, v13
	v_mul_f32_e32 v13, v38, v13
	v_fma_f32 v26, v36, v31, -v33
	v_fmac_f32_e32 v32, v37, v31
	v_add_f32_e32 v22, v22, v23
	v_add_f32_e32 v17, v17, v30
	v_lshlrev_b32_e32 v25, 3, v14
	v_fma_f32 v14, v38, v12, -v16
	v_fmac_f32_e32 v13, v39, v12
	v_add_f32_e32 v12, v22, v26
	v_add_f32_e32 v16, v17, v32
	v_mov_b32_e32 v36, 0
	v_lshl_add_u32 v26, v7, 3, v25
	v_mov_b32_e32 v37, 0
	v_add_f32_e32 v12, v12, v14
	v_add_f32_e32 v13, v16, v13
	ds_write_b64 v26, v[12:13]
	s_waitcnt lgkmcnt(0)
	s_barrier
	buffer_gl0_inv
	s_and_saveexec_b32 s19, s2
	s_cbranch_execz .LBB12_56
; %bb.55:
	ds_read2_b64 v[27:30], v25 offset1:7
	ds_read2_b64 v[36:39], v25 offset0:1 offset1:2
	ds_read2_b64 v[40:43], v25 offset0:3 offset1:4
	;; [unrolled: 1-line block ×3, first 2 shown]
	s_waitcnt lgkmcnt(2)
	v_add_f32_e32 v12, v36, v27
	v_add_f32_e32 v13, v37, v28
	v_add_f32_e32 v12, v38, v12
	v_add_f32_e32 v13, v39, v13
	s_waitcnt lgkmcnt(1)
	v_add_f32_e32 v12, v12, v40
	v_add_f32_e32 v13, v13, v41
	v_add_f32_e32 v12, v12, v42
	v_add_f32_e32 v13, v13, v43
	;; [unrolled: 5-line block ×3, first 2 shown]
	v_add_f32_e32 v36, v12, v29
	v_add_f32_e32 v37, v13, v30
.LBB12_56:
	s_or_b32 exec_lo, exec_lo, s19
	s_lshl_b64 s[22:23], s[12:13], 8
	v_cndmask_b32_e64 v12, 0, 1, s11
	v_add_co_u32 v3, vcc_lo, v3, s22
	v_add_co_ci_u32_e64 v4, null, s23, v4, vcc_lo
	v_add_co_u32 v13, vcc_lo, 0x100, v3
	v_add_co_ci_u32_e64 v14, null, 0, v4, vcc_lo
	s_andn2_b32 vcc_lo, exec_lo, s11
	s_mov_b32 s11, -1
	s_barrier
	buffer_gl0_inv
	s_cbranch_vccnz .LBB12_58
; %bb.57:
	s_lshl_b64 s[22:23], s[12:13], 6
	v_mad_u32_u24 v31, 0x108, v7, v8
	v_add_co_u32 v16, vcc_lo, v3, s22
	v_add_co_ci_u32_e64 v17, null, s23, v4, vcc_lo
	s_mov_b32 s11, 0
	v_add_co_u32 v22, vcc_lo, v16, s22
	v_add_co_ci_u32_e64 v23, null, s23, v17, vcc_lo
	v_add_co_u32 v27, vcc_lo, v22, s22
	v_add_co_ci_u32_e64 v28, null, s23, v23, vcc_lo
	s_clause 0x3
	global_load_dwordx2 v[29:30], v[3:4], off offset:256
	global_load_dwordx2 v[16:17], v[16:17], off offset:256
	;; [unrolled: 1-line block ×4, first 2 shown]
	s_waitcnt vmcnt(3)
	ds_write_b64 v31, v[29:30]
	s_waitcnt vmcnt(2)
	ds_write_b64 v31, v[16:17] offset:2112
	s_waitcnt vmcnt(1)
	ds_write_b64 v31, v[22:23] offset:4224
	;; [unrolled: 2-line block ×3, first 2 shown]
.LBB12_58:
	s_andn2_b32 vcc_lo, exec_lo, s11
	s_cbranch_vccnz .LBB12_76
; %bb.59:
	v_lshlrev_b32_e32 v16, 3, v2
	s_ashr_i32 s19, s18, 31
	v_or_b32_e32 v17, 32, v2
	s_lshl_b64 s[22:23], s[18:19], 3
	s_sub_i32 s19, s18, 32
	v_sub_co_u32 v3, vcc_lo, v3, v16
	v_subrev_co_ci_u32_e64 v4, null, 0, v4, vcc_lo
	v_cmp_le_i32_e64 s11, s19, v7
	v_add_co_u32 v3, vcc_lo, v3, s22
	v_add_co_ci_u32_e64 v4, null, s23, v4, vcc_lo
	v_add_co_u32 v3, vcc_lo, v3, -8
	v_add_co_ci_u32_e64 v4, null, -1, v4, vcc_lo
	v_cmp_gt_i32_e32 vcc_lo, s18, v17
	v_mul_u32_u24_e32 v17, 0x108, v7
	v_cndmask_b32_e32 v4, v4, v14, vcc_lo
	v_cndmask_b32_e32 v3, v3, v13, vcc_lo
	s_and_saveexec_b32 s28, s11
	s_xor_b32 s11, exec_lo, s28
	s_cbranch_execz .LBB12_61
; %bb.60:
	v_mov_b32_e32 v22, 0
	v_add_nc_u32_e32 v27, v8, v17
	v_mov_b32_e32 v23, v22
	ds_write_b64 v27, v[22:23]
.LBB12_61:
	s_andn2_saveexec_b32 s11, s11
	s_cbranch_execz .LBB12_63
; %bb.62:
	global_load_dwordx2 v[22:23], v[3:4], off
	v_add_nc_u32_e32 v27, v8, v17
	s_waitcnt vmcnt(0)
	ds_write_b64 v27, v[22:23]
.LBB12_63:
	s_or_b32 exec_lo, exec_lo, s11
	v_add_nc_u32_e32 v22, 8, v7
	v_cmp_le_i32_e64 s11, s19, v22
	s_and_saveexec_b32 s28, s11
	s_xor_b32 s11, exec_lo, s28
	s_cbranch_execz .LBB12_65
; %bb.64:
	v_mov_b32_e32 v22, 0
	v_add_nc_u32_e32 v27, v17, v8
	v_mov_b32_e32 v23, v22
	ds_write_b64 v27, v[22:23] offset:2112
.LBB12_65:
	s_andn2_saveexec_b32 s28, s11
	s_cbranch_execz .LBB12_67
; %bb.66:
	s_lshl_b64 s[30:31], s[12:13], 6
	v_add_nc_u32_e32 v27, v17, v8
	v_add_co_u32 v22, s11, v3, s30
	v_add_co_ci_u32_e64 v23, null, s31, v4, s11
	global_load_dwordx2 v[22:23], v[22:23], off
	s_waitcnt vmcnt(0)
	ds_write_b64 v27, v[22:23] offset:2112
.LBB12_67:
	s_or_b32 exec_lo, exec_lo, s28
	v_add_nc_u32_e32 v22, 16, v7
	v_cmp_le_i32_e64 s11, s19, v22
	s_and_saveexec_b32 s28, s11
	s_xor_b32 s11, exec_lo, s28
	s_cbranch_execz .LBB12_69
; %bb.68:
	v_mov_b32_e32 v22, 0
	v_add_nc_u32_e32 v27, v17, v8
	v_mov_b32_e32 v23, v22
	ds_write_b64 v27, v[22:23] offset:4224
.LBB12_69:
	s_andn2_saveexec_b32 s28, s11
	s_cbranch_execz .LBB12_71
; %bb.70:
	s_lshl_b64 s[30:31], s[12:13], 7
	v_add_nc_u32_e32 v27, v17, v8
	v_add_co_u32 v22, s11, v3, s30
	v_add_co_ci_u32_e64 v23, null, s31, v4, s11
	global_load_dwordx2 v[22:23], v[22:23], off
	s_waitcnt vmcnt(0)
	ds_write_b64 v27, v[22:23] offset:4224
.LBB12_71:
	s_or_b32 exec_lo, exec_lo, s28
	v_add_nc_u32_e32 v22, 24, v7
	v_cmp_le_i32_e64 s11, s19, v22
	s_and_saveexec_b32 s19, s11
	s_xor_b32 s11, exec_lo, s19
	s_cbranch_execz .LBB12_73
; %bb.72:
	v_mov_b32_e32 v22, 0
	v_add_nc_u32_e32 v17, v17, v8
	v_mov_b32_e32 v23, v22
	ds_write_b64 v17, v[22:23] offset:6336
                                        ; implicit-def: $vgpr17
.LBB12_73:
	s_andn2_saveexec_b32 s11, s11
	s_cbranch_execz .LBB12_75
; %bb.74:
	v_mad_u64_u32 v[22:23], null, 0xc0, s12, v[3:4]
	v_add_nc_u32_e32 v17, v17, v8
	v_mad_u64_u32 v[27:28], null, 0xc0, s13, v[23:24]
	v_mov_b32_e32 v23, v27
	global_load_dwordx2 v[22:23], v[22:23], off
	s_waitcnt vmcnt(0)
	ds_write_b64 v17, v[22:23] offset:6336
.LBB12_75:
	s_or_b32 exec_lo, exec_lo, s11
	v_add_co_u32 v3, s11, v3, v16
	v_add_co_ci_u32_e64 v4, null, 0, v4, s11
	v_sub_co_u32 v3, s11, v3, s22
	v_subrev_co_ci_u32_e64 v4, null, s23, v4, s11
	v_add_co_u32 v3, s11, 0x108, v3
	v_add_co_ci_u32_e64 v4, null, 0, v4, s11
	v_cndmask_b32_e32 v13, v3, v13, vcc_lo
	v_cndmask_b32_e32 v14, v4, v14, vcc_lo
.LBB12_76:
	v_mul_u32_u24_e32 v3, 0x420, v7
	v_add_nc_u32_e32 v4, 0x2380, v15
	v_mul_u32_u24_e32 v15, 0x108, v9
	s_lshl_b64 s[22:23], s[12:13], 5
	s_mov_b32 s11, 0
	s_waitcnt lgkmcnt(0)
	s_barrier
	buffer_gl0_inv
                                        ; implicit-def: $vgpr16
	s_and_saveexec_b32 s19, s3
	s_xor_b32 s3, exec_lo, s19
	s_cbranch_execz .LBB12_80
; %bb.77:
	s_mov_b32 s19, exec_lo
                                        ; implicit-def: $vgpr16
	v_cmpx_eq_u32_e64 v5, v2
	s_xor_b32 s19, exec_lo, s19
; %bb.78:
	s_mov_b32 s11, exec_lo
	v_add_nc_u32_e32 v16, v8, v6
; %bb.79:
	s_or_b32 exec_lo, exec_lo, s19
	s_and_b32 s11, s11, exec_lo
.LBB12_80:
	s_or_saveexec_b32 s3, s3
	v_mov_b32_e32 v17, 0
	v_add_nc_u32_e32 v3, v8, v3
	s_xor_b32 exec_lo, exec_lo, s3
	s_cbranch_execz .LBB12_82
; %bb.81:
	ds_read_b64 v[22:23], v3
	v_lshl_add_u32 v16, v5, 3, v25
	s_or_b32 s11, s11, exec_lo
	s_waitcnt lgkmcnt(0)
	v_xor_b32_e32 v17, 0x80000000, v23
	ds_write_b32 v16, v22
.LBB12_82:
	s_or_b32 exec_lo, exec_lo, s3
	s_and_saveexec_b32 s3, s11
; %bb.83:
	ds_write_b32 v16, v17 offset:4
; %bb.84:
	s_or_b32 exec_lo, exec_lo, s3
	s_mov_b32 s3, 0
                                        ; implicit-def: $vgpr16
	s_and_saveexec_b32 s11, s8
	s_xor_b32 s8, exec_lo, s11
	s_cbranch_execz .LBB12_88
; %bb.85:
	s_mov_b32 s11, exec_lo
                                        ; implicit-def: $vgpr16
	v_cmpx_eq_u32_e64 v9, v2
; %bb.86:
	v_add_nc_u32_e32 v16, v8, v6
	s_mov_b32 s3, exec_lo
; %bb.87:
	s_or_b32 exec_lo, exec_lo, s11
	s_and_b32 s3, s3, exec_lo
.LBB12_88:
	s_or_saveexec_b32 s8, s8
	v_mov_b32_e32 v17, 0
	v_add_nc_u32_e32 v9, v8, v15
	s_xor_b32 exec_lo, exec_lo, s8
	s_cbranch_execz .LBB12_90
; %bb.89:
	ds_read_b64 v[15:16], v9
	v_lshl_add_u32 v22, v5, 3, v25
	s_or_b32 s3, s3, exec_lo
	s_waitcnt lgkmcnt(0)
	v_xor_b32_e32 v17, 0x80000000, v16
	v_add_nc_u32_e32 v16, 8, v22
	ds_write_b32 v22, v15 offset:8
.LBB12_90:
	s_or_b32 exec_lo, exec_lo, s8
	s_and_saveexec_b32 s8, s3
; %bb.91:
	ds_write_b32 v16, v17 offset:4
; %bb.92:
	s_or_b32 exec_lo, exec_lo, s8
	s_mov_b32 s3, 0
                                        ; implicit-def: $vgpr15
	s_and_saveexec_b32 s8, s9
	s_xor_b32 s8, exec_lo, s8
	s_cbranch_execnz .LBB12_112
; %bb.93:
	s_or_saveexec_b32 s8, s8
	v_mov_b32_e32 v10, 0
	s_xor_b32 exec_lo, exec_lo, s8
	s_cbranch_execnz .LBB12_115
.LBB12_94:
	s_or_b32 exec_lo, exec_lo, s8
	s_and_saveexec_b32 s8, s3
.LBB12_95:
	ds_write_b32 v15, v10 offset:4
.LBB12_96:
	s_or_b32 exec_lo, exec_lo, s8
	s_mov_b32 s3, 0
                                        ; implicit-def: $vgpr10
	s_and_saveexec_b32 s8, s10
	s_xor_b32 s8, exec_lo, s8
	s_cbranch_execnz .LBB12_116
; %bb.97:
	s_or_saveexec_b32 s8, s8
	v_mov_b32_e32 v6, 0
	s_xor_b32 exec_lo, exec_lo, s8
	s_cbranch_execnz .LBB12_119
.LBB12_98:
	s_or_b32 exec_lo, exec_lo, s8
	s_and_saveexec_b32 s8, s3
.LBB12_99:
	ds_write_b32 v10, v6 offset:4
.LBB12_100:
	s_or_b32 exec_lo, exec_lo, s8
	s_waitcnt lgkmcnt(0)
	s_barrier
	buffer_gl0_inv
	ds_read_b64 v[10:11], v3
	ds_read_b128 v[27:30], v4 offset:256
	ds_read2_b64 v[38:41], v9 offset1:33
	ds_read_b128 v[42:45], v4 offset:272
	ds_read_b64 v[15:16], v9 offset:528
	v_cmp_eq_u32_e64 s3, 1, v7
	s_waitcnt lgkmcnt(0)
	s_barrier
	buffer_gl0_inv
	v_mul_f32_e32 v3, v28, v11
	v_mul_f32_e32 v6, v27, v11
	;; [unrolled: 1-line block ×5, first 2 shown]
	v_fma_f32 v3, v27, v10, -v3
	v_fmac_f32_e32 v6, v28, v10
	v_mul_f32_e32 v22, v42, v41
	v_fma_f32 v9, v29, v38, -v9
	v_fmac_f32_e32 v11, v30, v38
	v_add_f32_e32 v3, 0, v3
	v_add_f32_e32 v6, 0, v6
	v_mul_f32_e32 v10, v45, v16
	v_mul_f32_e32 v16, v44, v16
	v_fma_f32 v17, v42, v40, -v17
	v_fmac_f32_e32 v22, v43, v40
	v_add_f32_e32 v3, v3, v9
	v_add_f32_e32 v6, v6, v11
	v_fma_f32 v9, v44, v15, -v10
	v_fmac_f32_e32 v16, v45, v15
	v_add_f32_e32 v3, v3, v17
	v_add_f32_e32 v6, v6, v22
	;; [unrolled: 1-line block ×4, first 2 shown]
	ds_write_b64 v26, v[9:10]
	s_waitcnt lgkmcnt(0)
	s_barrier
	buffer_gl0_inv
	s_and_saveexec_b32 s8, s3
	s_cbranch_execz .LBB12_102
; %bb.101:
	ds_read2_b64 v[27:30], v25 offset1:7
	ds_read2_b64 v[36:39], v25 offset0:1 offset1:2
	ds_read2_b64 v[40:43], v25 offset0:3 offset1:4
	;; [unrolled: 1-line block ×3, first 2 shown]
	s_waitcnt lgkmcnt(2)
	v_add_f32_e32 v3, v36, v27
	v_add_f32_e32 v6, v37, v28
	v_add_f32_e32 v3, v38, v3
	v_add_f32_e32 v6, v39, v6
	s_waitcnt lgkmcnt(1)
	v_add_f32_e32 v3, v3, v40
	v_add_f32_e32 v6, v6, v41
	v_add_f32_e32 v3, v3, v42
	v_add_f32_e32 v6, v6, v43
	;; [unrolled: 5-line block ×3, first 2 shown]
	v_add_f32_e32 v36, v3, v29
	v_add_f32_e32 v37, v6, v30
.LBB12_102:
	s_or_b32 exec_lo, exec_lo, s8
	s_lshl_b64 s[8:9], s[22:23], 3
	v_cmp_ne_u32_e32 vcc_lo, 1, v12
	v_sub_co_u32 v22, s8, v13, s8
	v_subrev_co_ci_u32_e64 v23, null, s9, v14, s8
	s_barrier
	buffer_gl0_inv
	s_cbranch_vccnz .LBB12_120
; %bb.103:
	s_lshl_b64 s[8:9], s[12:13], 6
	global_load_dwordx2 v[12:13], v[22:23], off
	v_add_co_u32 v9, vcc_lo, v22, s8
	v_add_co_ci_u32_e64 v10, null, s9, v23, vcc_lo
	v_mul_u32_u24_e32 v6, 0x108, v7
	v_add_co_u32 v14, vcc_lo, v9, s8
	v_add_co_ci_u32_e64 v15, null, s9, v10, vcc_lo
	v_add_co_u32 v16, vcc_lo, v14, s8
	v_add_co_ci_u32_e64 v17, null, s9, v15, vcc_lo
	s_movk_i32 s8, 0x840
	s_clause 0x2
	global_load_dwordx2 v[27:28], v[9:10], off
	global_load_dwordx2 v[14:15], v[14:15], off
	;; [unrolled: 1-line block ×3, first 2 shown]
	v_mad_u32_u24 v9, 0x108, v7, v8
	v_mad_u32_u24 v11, 0x108, v7, s8
	s_movk_i32 s8, 0x18c0
	s_movk_i32 s9, 0x1080
	v_add_nc_u32_e32 v10, 16, v7
	v_mad_u32_u24 v3, 0x108, v7, s9
	v_add_nc_u32_e32 v29, v8, v11
	v_add_nc_u32_e32 v30, v8, v3
	s_waitcnt vmcnt(3)
	ds_write_b64 v9, v[12:13]
	v_mad_u32_u24 v13, 0x108, v7, s8
	v_add_nc_u32_e32 v9, 8, v7
	v_add_nc_u32_e32 v12, 24, v7
	s_waitcnt vmcnt(2)
	ds_write_b64 v29, v[27:28]
	s_waitcnt vmcnt(1)
	ds_write_b64 v30, v[14:15]
	v_add_nc_u32_e32 v31, v8, v13
	s_waitcnt vmcnt(0)
	ds_write_b64 v31, v[16:17]
	s_cbranch_execz .LBB12_121
	s_branch .LBB12_138
.LBB12_104:
	s_mov_b32 s19, exec_lo
                                        ; implicit-def: $vgpr11
	v_cmpx_eq_u32_e64 v10, v2
; %bb.105:
	v_add_nc_u32_e32 v11, v8, v6
	s_mov_b32 s2, exec_lo
; %bb.106:
	s_or_b32 exec_lo, exec_lo, s19
	s_and_b32 s2, s2, exec_lo
	s_or_saveexec_b32 s10, s10
	v_mov_b32_e32 v15, 0
	s_xor_b32 exec_lo, exec_lo, s10
	s_cbranch_execz .LBB12_48
.LBB12_107:
	v_mad_u32_u24 v11, 0x108, v10, v8
	v_lshl_add_u32 v22, v5, 3, v14
	s_or_b32 s2, s2, exec_lo
	ds_read_b64 v[16:17], v11
	v_add_nc_u32_e32 v11, 16, v22
	s_waitcnt lgkmcnt(0)
	v_xor_b32_e32 v15, 0x80000000, v17
	ds_write_b32 v22, v16 offset:16
	s_or_b32 exec_lo, exec_lo, s10
	s_and_saveexec_b32 s10, s2
	s_cbranch_execnz .LBB12_49
	s_branch .LBB12_50
.LBB12_108:
	s_mov_b32 s22, exec_lo
                                        ; implicit-def: $vgpr15
	v_cmpx_eq_u32_e64 v11, v2
; %bb.109:
	v_add_nc_u32_e32 v15, v8, v6
	s_mov_b32 s2, exec_lo
; %bb.110:
	s_or_b32 exec_lo, exec_lo, s22
	s_and_b32 s2, s2, exec_lo
                                        ; implicit-def: $vgpr14
	s_or_saveexec_b32 s19, s19
	v_mov_b32_e32 v16, 0
	s_xor_b32 exec_lo, exec_lo, s19
	s_cbranch_execz .LBB12_52
.LBB12_111:
	v_mad_u32_u24 v15, 0x108, v11, v8
	v_lshl_add_u32 v14, v5, 3, v14
	s_or_b32 s2, s2, exec_lo
	ds_read_b64 v[22:23], v15
	v_add_nc_u32_e32 v15, 24, v14
	s_waitcnt lgkmcnt(0)
	v_xor_b32_e32 v16, 0x80000000, v23
	ds_write_b32 v14, v22 offset:24
	s_or_b32 exec_lo, exec_lo, s19
	s_and_saveexec_b32 s19, s2
	s_cbranch_execnz .LBB12_53
	s_branch .LBB12_54
.LBB12_112:
	s_mov_b32 s9, exec_lo
                                        ; implicit-def: $vgpr15
	v_cmpx_eq_u32_e64 v10, v2
; %bb.113:
	v_add_nc_u32_e32 v15, v8, v6
	s_mov_b32 s3, exec_lo
; %bb.114:
	s_or_b32 exec_lo, exec_lo, s9
	s_and_b32 s3, s3, exec_lo
	s_or_saveexec_b32 s8, s8
	v_mov_b32_e32 v10, 0
	s_xor_b32 exec_lo, exec_lo, s8
	s_cbranch_execz .LBB12_94
.LBB12_115:
	ds_read_b64 v[16:17], v9 offset:264
	v_lshl_add_u32 v22, v5, 3, v25
	s_or_b32 s3, s3, exec_lo
	v_add_nc_u32_e32 v15, 16, v22
	s_waitcnt lgkmcnt(0)
	v_xor_b32_e32 v10, 0x80000000, v17
	ds_write_b32 v22, v16 offset:16
	s_or_b32 exec_lo, exec_lo, s8
	s_and_saveexec_b32 s8, s3
	s_cbranch_execnz .LBB12_95
	s_branch .LBB12_96
.LBB12_116:
	s_mov_b32 s9, exec_lo
                                        ; implicit-def: $vgpr10
	v_cmpx_eq_u32_e64 v11, v2
; %bb.117:
	v_add_nc_u32_e32 v10, v8, v6
	s_mov_b32 s3, exec_lo
; %bb.118:
	s_or_b32 exec_lo, exec_lo, s9
	s_and_b32 s3, s3, exec_lo
	s_or_saveexec_b32 s8, s8
	v_mov_b32_e32 v6, 0
	s_xor_b32 exec_lo, exec_lo, s8
	s_cbranch_execz .LBB12_98
.LBB12_119:
	ds_read_b64 v[15:16], v9 offset:528
	v_lshl_add_u32 v11, v5, 3, v25
	s_or_b32 s3, s3, exec_lo
	v_add_nc_u32_e32 v10, 24, v11
	s_waitcnt lgkmcnt(0)
	v_xor_b32_e32 v6, 0x80000000, v16
	ds_write_b32 v11, v15 offset:24
	s_or_b32 exec_lo, exec_lo, s8
	s_and_saveexec_b32 s8, s3
	s_cbranch_execnz .LBB12_99
	s_branch .LBB12_100
.LBB12_120:
                                        ; implicit-def: $vgpr6
                                        ; implicit-def: $vgpr9
                                        ; implicit-def: $vgpr11
                                        ; implicit-def: $vgpr10
                                        ; implicit-def: $vgpr3
                                        ; implicit-def: $vgpr12
                                        ; implicit-def: $vgpr13
.LBB12_121:
	v_lshlrev_b32_e32 v11, 3, v2
	s_ashr_i32 s19, s18, 31
	v_or_b32_e32 v2, 32, v2
	s_lshl_b64 s[10:11], s[18:19], 3
	v_cmp_le_i32_e64 s8, s18, v7
	v_sub_co_u32 v3, vcc_lo, v22, v11
	v_subrev_co_ci_u32_e64 v6, null, 0, v23, vcc_lo
	v_add_co_u32 v3, vcc_lo, v3, s10
	v_add_co_ci_u32_e64 v6, null, s11, v6, vcc_lo
	v_add_co_u32 v9, vcc_lo, 0xfffffef8, v3
	v_add_co_ci_u32_e64 v3, null, -1, v6, vcc_lo
	v_cmp_gt_i32_e32 vcc_lo, s18, v2
	v_mul_u32_u24_e32 v6, 0x108, v7
	v_cndmask_b32_e32 v3, v3, v23, vcc_lo
	v_cndmask_b32_e32 v2, v9, v22, vcc_lo
	s_and_saveexec_b32 s9, s8
	s_xor_b32 s8, exec_lo, s9
	s_cbranch_execz .LBB12_123
; %bb.122:
	v_mov_b32_e32 v9, 0
	v_add_nc_u32_e32 v12, v8, v6
	v_mov_b32_e32 v10, v9
	ds_write_b64 v12, v[9:10]
.LBB12_123:
	s_andn2_saveexec_b32 s8, s8
	s_cbranch_execz .LBB12_125
; %bb.124:
	global_load_dwordx2 v[9:10], v[2:3], off
	v_add_nc_u32_e32 v12, v8, v6
	s_waitcnt vmcnt(0)
	ds_write_b64 v12, v[9:10]
.LBB12_125:
	s_or_b32 exec_lo, exec_lo, s8
	v_add_nc_u32_e32 v9, 8, v7
	v_cmp_le_i32_e64 s8, s18, v9
	s_and_saveexec_b32 s9, s8
	s_xor_b32 s8, exec_lo, s9
	s_cbranch_execz .LBB12_127
; %bb.126:
	v_mov_b32_e32 v12, 0
	v_add_nc_u32_e32 v10, v6, v8
	v_mov_b32_e32 v13, v12
	ds_write_b64 v10, v[12:13] offset:2112
.LBB12_127:
	s_andn2_saveexec_b32 s9, s8
	s_cbranch_execz .LBB12_129
; %bb.128:
	s_lshl_b64 s[22:23], s[12:13], 6
	v_add_nc_u32_e32 v10, v6, v8
	v_add_co_u32 v12, s8, v2, s22
	v_add_co_ci_u32_e64 v13, null, s23, v3, s8
	global_load_dwordx2 v[12:13], v[12:13], off
	s_waitcnt vmcnt(0)
	ds_write_b64 v10, v[12:13] offset:2112
.LBB12_129:
	s_or_b32 exec_lo, exec_lo, s9
	v_add_nc_u32_e32 v10, 16, v7
	v_cmp_le_i32_e64 s8, s18, v10
	s_and_saveexec_b32 s9, s8
	s_xor_b32 s8, exec_lo, s9
	s_cbranch_execz .LBB12_131
; %bb.130:
	v_mov_b32_e32 v12, 0
	v_add_nc_u32_e32 v14, v6, v8
	v_mov_b32_e32 v13, v12
	ds_write_b64 v14, v[12:13] offset:4224
.LBB12_131:
	s_andn2_saveexec_b32 s9, s8
	s_cbranch_execz .LBB12_133
; %bb.132:
	s_lshl_b64 s[22:23], s[12:13], 7
	v_add_nc_u32_e32 v14, v6, v8
	v_add_co_u32 v12, s8, v2, s22
	v_add_co_ci_u32_e64 v13, null, s23, v3, s8
	global_load_dwordx2 v[12:13], v[12:13], off
	s_waitcnt vmcnt(0)
	ds_write_b64 v14, v[12:13] offset:4224
.LBB12_133:
	s_or_b32 exec_lo, exec_lo, s9
	v_add_nc_u32_e32 v12, 24, v7
                                        ; implicit-def: $vgpr13
	v_cmp_le_i32_e64 s8, s18, v12
	s_and_saveexec_b32 s9, s8
	s_xor_b32 s8, exec_lo, s9
	s_cbranch_execz .LBB12_135
; %bb.134:
	v_add_nc_u32_e32 v13, 0x18c0, v6
	v_mov_b32_e32 v14, 0
	v_add_nc_u32_e32 v16, v8, v13
	v_mov_b32_e32 v15, v14
	ds_write_b64 v16, v[14:15]
.LBB12_135:
	s_andn2_saveexec_b32 s8, s8
	s_cbranch_execz .LBB12_137
; %bb.136:
	v_mad_u64_u32 v[13:14], null, 0xc0, s12, v[2:3]
	v_mad_u64_u32 v[14:15], null, 0xc0, s13, v[14:15]
	global_load_dwordx2 v[14:15], v[13:14], off
	v_add_nc_u32_e32 v13, 0x18c0, v6
	v_add_nc_u32_e32 v16, v8, v13
	s_waitcnt vmcnt(0)
	ds_write_b64 v16, v[14:15]
.LBB12_137:
	s_or_b32 exec_lo, exec_lo, s8
	v_add_co_u32 v2, s8, v2, v11
	v_add_co_ci_u32_e64 v3, null, 0, v3, s8
	v_add_nc_u32_e32 v11, 0x840, v6
	v_sub_co_u32 v2, s8, v2, s10
	v_subrev_co_ci_u32_e64 v3, null, s11, v3, s8
	v_add_co_u32 v2, s8, 0x108, v2
	v_add_co_ci_u32_e64 v3, null, 0, v3, s8
	v_cndmask_b32_e32 v22, v2, v22, vcc_lo
	v_cndmask_b32_e32 v23, v3, v23, vcc_lo
	v_add_nc_u32_e32 v3, 0x1080, v6
.LBB12_138:
	v_add_nc_u32_e32 v2, v8, v6
	v_lshlrev_b32_e32 v6, 3, v7
	v_add_nc_u32_e32 v7, v8, v11
	v_lshlrev_b32_e32 v9, 3, v9
	v_add_nc_u32_e32 v3, v8, v3
	s_waitcnt lgkmcnt(0)
	s_barrier
	buffer_gl0_inv
	v_lshlrev_b32_e32 v10, 3, v10
	v_add_nc_u32_e32 v8, v8, v13
	v_lshlrev_b32_e32 v11, 3, v12
	ds_read_b64 v[27:28], v2
	ds_read_b64 v[29:30], v6 offset:9088
	ds_read_b64 v[31:32], v7
	ds_read_b64 v[38:39], v9 offset:9088
	;; [unrolled: 2-line block ×3, first 2 shown]
	ds_read2_b32 v[44:45], v8 offset1:1
	ds_read_b64 v[46:47], v11 offset:9088
	v_lshl_add_u32 v6, v5, 3, v25
	ds_read_b128 v[10:13], v4 offset:256
	ds_read_b128 v[2:5], v4 offset:272
	ds_read2_b64 v[14:17], v6 offset1:1
	ds_read2_b64 v[6:9], v6 offset0:2 offset1:3
	s_waitcnt lgkmcnt(0)
	s_barrier
	buffer_gl0_inv
	v_mul_f32_e32 v33, v30, v28
	v_mul_f32_e32 v28, v29, v28
	;; [unrolled: 1-line block ×5, first 2 shown]
	v_fma_f32 v29, v29, v27, -v33
	v_fmac_f32_e32 v28, v30, v27
	v_mul_f32_e32 v27, v42, v41
	v_fma_f32 v30, v38, v31, -v48
	v_fmac_f32_e32 v32, v39, v31
	v_add_f32_e32 v29, 0, v29
	v_add_f32_e32 v28, 0, v28
	v_mul_f32_e32 v50, v47, v45
	v_mul_f32_e32 v31, v46, v45
	v_fma_f32 v33, v42, v40, -v49
	v_fmac_f32_e32 v27, v43, v40
	v_add_f32_e32 v29, v29, v30
	v_add_f32_e32 v28, v28, v32
	v_fma_f32 v30, v46, v44, -v50
	v_fmac_f32_e32 v31, v47, v44
	v_add_f32_e32 v29, v29, v33
	v_add_f32_e32 v28, v28, v27
	;; [unrolled: 1-line block ×4, first 2 shown]
	ds_write_b64 v26, v[27:28]
	s_waitcnt lgkmcnt(0)
	s_barrier
	buffer_gl0_inv
	s_and_saveexec_b32 s8, s3
	s_cbranch_execz .LBB12_140
; %bb.139:
	ds_read2_b64 v[27:30], v25 offset1:1
	ds_read2_b64 v[38:41], v25 offset0:2 offset1:3
	ds_read2_b64 v[42:45], v25 offset0:4 offset1:5
	s_waitcnt lgkmcnt(2)
	v_add_f32_e32 v27, v36, v27
	v_add_f32_e32 v28, v37, v28
	;; [unrolled: 1-line block ×4, first 2 shown]
	ds_read2_b64 v[27:30], v25 offset0:6 offset1:7
	s_waitcnt lgkmcnt(2)
	v_add_f32_e32 v31, v31, v38
	v_add_f32_e32 v32, v32, v39
	v_add_f32_e32 v31, v31, v40
	v_add_f32_e32 v32, v32, v41
	s_waitcnt lgkmcnt(1)
	v_add_f32_e32 v31, v31, v42
	v_add_f32_e32 v32, v32, v43
	v_add_f32_e32 v31, v31, v44
	v_add_f32_e32 v32, v32, v45
	;; [unrolled: 5-line block ×3, first 2 shown]
.LBB12_140:
	s_or_b32 exec_lo, exec_lo, s8
	v_mul_f32_e32 v27, v15, v11
	v_mul_f32_e32 v15, v15, v10
	;; [unrolled: 1-line block ×5, first 2 shown]
	v_fmac_f32_e32 v27, v14, v10
	v_fma_f32 v10, v14, v11, -v15
	v_mul_f32_e32 v7, v7, v2
	v_fmac_f32_e32 v28, v16, v12
	v_fma_f32 v13, v16, v13, -v17
	v_add_f32_e32 v12, 0, v27
	v_add_f32_e32 v10, 0, v10
	v_mul_f32_e32 v11, v9, v5
	v_mul_f32_e32 v9, v9, v4
	v_fmac_f32_e32 v29, v6, v2
	v_add_f32_e32 v2, v12, v28
	v_fma_f32 v3, v6, v3, -v7
	v_add_f32_e32 v6, v10, v13
	v_fmac_f32_e32 v11, v8, v4
	v_fma_f32 v4, v8, v5, -v9
	v_add_f32_e32 v2, v2, v29
	v_add_f32_e32 v3, v6, v3
	s_barrier
	buffer_gl0_inv
	v_add_f32_e32 v2, v2, v11
	v_add_f32_e32 v3, v3, v4
	ds_write_b64 v26, v[2:3]
	s_waitcnt lgkmcnt(0)
	s_barrier
	buffer_gl0_inv
	s_and_saveexec_b32 s3, s2
	s_cbranch_execz .LBB12_142
; %bb.141:
	ds_read2_b64 v[2:5], v25 offset1:1
	ds_read2_b64 v[6:9], v25 offset0:2 offset1:3
	ds_read2_b64 v[10:13], v25 offset0:4 offset1:5
	s_waitcnt lgkmcnt(2)
	v_add_f32_e32 v2, v36, v2
	v_add_f32_e32 v3, v37, v3
	;; [unrolled: 1-line block ×4, first 2 shown]
	ds_read2_b64 v[2:5], v25 offset0:6 offset1:7
	s_waitcnt lgkmcnt(2)
	v_add_f32_e32 v6, v14, v6
	v_add_f32_e32 v7, v15, v7
	v_add_f32_e32 v6, v6, v8
	v_add_f32_e32 v7, v7, v9
	s_waitcnt lgkmcnt(1)
	v_add_f32_e32 v6, v6, v10
	v_add_f32_e32 v7, v7, v11
	v_add_f32_e32 v6, v6, v12
	v_add_f32_e32 v7, v7, v13
	;; [unrolled: 5-line block ×3, first 2 shown]
.LBB12_142:
	s_or_b32 exec_lo, exec_lo, s3
	s_load_dwordx2 s[2:3], s[4:5], 0x68
	s_mul_hi_u32 s4, s24, s7
	s_mul_i32 s26, s26, s7
	s_mul_i32 s5, s24, s7
	s_add_i32 s4, s4, s26
	s_mul_hi_u32 s7, s5, s25
	s_mul_i32 s8, s4, s25
	s_mul_i32 s4, s5, s25
	s_add_i32 s5, s7, s8
	s_mul_i32 s8, s24, s6
	s_lshl_b64 s[4:5], s[4:5], 3
	v_cmp_le_i32_e32 vcc_lo, s18, v0
	v_lshlrev_b32_e32 v74, 3, v0
	s_waitcnt lgkmcnt(0)
	s_barrier
	buffer_gl0_inv
	s_add_u32 s4, s2, s4
	s_addc_u32 s5, s3, s5
	s_ashr_i32 s9, s8, 31
	s_lshl_b64 s[2:3], s[8:9], 3
	s_add_u32 s7, s4, s2
	s_addc_u32 s8, s5, s3
	s_and_b32 vcc_lo, s27, vcc_lo
	s_cmp_lt_i32 s6, 1
	s_cbranch_scc1 .LBB12_149
; %bb.143:
	v_lshlrev_b32_e32 v4, 2, v1
	v_sub_co_u32 v6, s2, v22, s14
	v_subrev_co_ci_u32_e64 v7, null, s15, v23, s2
	v_mad_u64_u32 v[2:3], null, s12, v4, 0
	v_sub_co_u32 v6, s2, v6, v20
	v_sub_co_ci_u32_e64 v7, null, v7, v21, s2
	s_ashr_i32 s19, s18, 31
	s_mul_i32 s3, s20, s17
	v_mad_u64_u32 v[3:4], null, s13, v4, v[3:4]
	s_lshl_b64 s[10:11], s[18:19], 3
	v_lshrrev_b32_e32 v4, 4, v24
	s_mul_hi_u32 s5, s20, s16
	v_and_b32_e32 v5, 15, v0
	s_mul_i32 s9, s21, s16
	s_add_i32 s3, s5, s3
	v_lshlrev_b64 v[2:3], 3, v[2:3]
	s_mul_i32 s4, s20, s16
	s_add_i32 s5, s3, s9
	v_or_b32_e32 v8, 0x78, v74
	s_lshl_b64 s[4:5], s[4:5], 3
	v_mov_b32_e32 v39, 0
	v_add_co_u32 v2, s2, v6, v2
	v_add_co_ci_u32_e64 v3, null, v7, v3, s2
	v_add_nc_u32_e32 v77, 0x2180, v74
	v_add_co_u32 v6, s2, v2, s10
	v_add_co_ci_u32_e64 v7, null, s11, v3, s2
	v_add_co_u32 v2, s2, v2, v74
	v_add_co_ci_u32_e64 v3, null, 0, v3, s2
	v_add_co_u32 v6, s2, 0xfffffef8, v6
	v_add_co_ci_u32_e64 v7, null, -1, v7, s2
	v_add_co_u32 v2, s2, 0xffffff00, v2
	v_add_co_ci_u32_e64 v3, null, -1, v3, s2
	v_sub_co_u32 v75, s2, v18, s4
	v_cndmask_b32_e32 v2, v2, v6, vcc_lo
	v_cndmask_b32_e32 v3, v3, v7, vcc_lo
	v_and_b32_e32 v6, 48, v0
	v_lshlrev_b32_e32 v7, 5, v4
	v_mul_i32_i24_e32 v4, 0xffffffe8, v4
	v_subrev_co_ci_u32_e64 v76, null, s5, v19, s2
	v_lshlrev_b32_e32 v6, 3, v6
	v_mad_u32_u24 v81, 0x218, v5, v7
	v_lshl_add_u32 v78, v1, 5, 0x2180
	v_add_nc_u32_e32 v79, 0x2380, v74
	v_mad_u32_u24 v80, 0x860, v1, v74
	v_cmp_gt_u32_e64 s2, 64, v24
	v_mad_u32_u24 v82, 0x218, v5, v6
	v_mad_u32_u24 v83, 0x218, v5, v8
	v_add_nc_u32_e32 v84, v81, v4
	s_mul_i32 s3, s13, 0x68
	s_mul_hi_u32 s9, s12, 0x68
	s_lshl_b64 s[4:5], s[12:13], 3
	s_add_i32 s9, s9, s3
	s_mul_i32 s10, s12, 0x68
	s_mov_b32 s11, 0
	s_branch .LBB12_145
.LBB12_144:                             ;   in Loop: Header=BB12_145 Depth=1
	s_or_b32 exec_lo, exec_lo, s12
	v_mul_f32_e32 v38, v41, v3
	v_mul_f32_e32 v3, v40, v3
	;; [unrolled: 1-line block ×5, first 2 shown]
	v_fma_f32 v38, v40, v2, -v38
	v_fmac_f32_e32 v3, v41, v2
	v_fma_f32 v44, v44, v4, -v85
	v_mul_f32_e32 v7, v46, v7
	v_mul_f32_e32 v40, v43, v9
	v_add_f32_e32 v36, v36, v38
	v_fma_f32 v2, v46, v6, -v86
	v_fmac_f32_e32 v5, v45, v4
	v_add_f32_e32 v3, v37, v3
	v_mul_f32_e32 v9, v42, v9
	v_add_f32_e32 v36, v36, v44
	v_mul_f32_e32 v38, v55, v15
	v_fma_f32 v4, v42, v8, -v40
	v_fmac_f32_e32 v7, v47, v6
	v_add_f32_e32 v3, v3, v5
	v_add_f32_e32 v2, v36, v2
	v_mul_f32_e32 v15, v54, v15
	v_mul_f32_e32 v41, v53, v17
	v_fma_f32 v5, v54, v14, -v38
	v_fmac_f32_e32 v9, v43, v8
	v_add_f32_e32 v2, v2, v4
	v_add_f32_e32 v3, v3, v7
	v_mul_f32_e32 v17, v52, v17
	v_mul_f32_e32 v4, v51, v11
	v_fma_f32 v6, v52, v16, -v41
	v_add_f32_e32 v2, v2, v5
	v_fmac_f32_e32 v15, v55, v14
	v_add_f32_e32 v3, v3, v9
	v_mul_f32_e32 v5, v49, v13
	v_fma_f32 v4, v50, v10, -v4
	v_add_f32_e32 v2, v2, v6
	v_mul_f32_e32 v6, v50, v11
	v_fmac_f32_e32 v17, v53, v16
	v_add_f32_e32 v3, v3, v15
	v_fma_f32 v5, v48, v12, -v5
	v_add_f32_e32 v2, v2, v4
	v_mul_f32_e32 v4, v63, v23
	v_fmac_f32_e32 v6, v51, v10
	v_add_f32_e32 v3, v3, v17
	v_mul_f32_e32 v7, v48, v13
	v_add_f32_e32 v2, v2, v5
	v_fma_f32 v4, v62, v22, -v4
	v_mul_f32_e32 v5, v61, v25
	v_add_f32_e32 v3, v3, v6
	v_fmac_f32_e32 v7, v49, v12
	v_mul_f32_e32 v6, v62, v23
	v_add_f32_e32 v2, v2, v4
	v_fma_f32 v4, v60, v24, -v5
	v_mul_f32_e32 v5, v59, v19
	v_add_f32_e32 v3, v3, v7
	v_fmac_f32_e32 v6, v63, v22
	v_mul_f32_e32 v7, v60, v25
	v_add_f32_e32 v2, v2, v4
	v_fma_f32 v4, v58, v18, -v5
	v_mul_f32_e32 v5, v57, v21
	v_add_f32_e32 v3, v3, v6
	v_fmac_f32_e32 v7, v61, v24
	v_mul_f32_e32 v6, v58, v19
	v_add_f32_e32 v2, v2, v4
	v_fma_f32 v4, v56, v20, -v5
	v_mul_f32_e32 v5, v73, v31
	v_add_f32_e32 v3, v3, v7
	v_fmac_f32_e32 v6, v59, v18
	v_mul_f32_e32 v7, v56, v21
	v_add_f32_e32 v2, v2, v4
	v_fma_f32 v4, v72, v30, -v5
	v_mul_f32_e32 v5, v71, v33
	v_add_f32_e32 v3, v3, v6
	v_fmac_f32_e32 v7, v57, v20
	v_mul_f32_e32 v6, v72, v31
	v_add_f32_e32 v2, v2, v4
	v_fma_f32 v4, v70, v32, -v5
	v_mul_f32_e32 v5, v70, v33
	v_add_f32_e32 v3, v3, v7
	v_fmac_f32_e32 v6, v73, v30
	v_mul_f32_e32 v7, v67, v27
	v_add_f32_e32 v2, v2, v4
	v_mul_f32_e32 v4, v66, v27
	v_fmac_f32_e32 v5, v71, v32
	v_add_f32_e32 v3, v3, v6
	v_fma_f32 v6, v66, v26, -v7
	v_mul_f32_e32 v7, v69, v29
	v_mul_f32_e32 v8, v68, v29
	v_fmac_f32_e32 v4, v67, v26
	v_add_f32_e32 v3, v3, v5
	v_add_f32_e32 v2, v2, v6
	v_fma_f32 v5, v68, v28, -v7
	v_fmac_f32_e32 v8, v69, v28
	s_add_i32 s6, s6, -1
	v_add_f32_e32 v3, v3, v4
	s_add_i32 s11, s11, 64
	v_add_f32_e32 v36, v2, v5
	v_add_co_u32 v2, s3, v64, s10
	v_add_f32_e32 v37, v3, v8
	v_add_co_ci_u32_e64 v3, null, s9, v65, s3
	s_cmp_eq_u32 s6, 0
	s_waitcnt_vscnt null, 0x0
	s_barrier
	buffer_gl0_inv
	s_cbranch_scc1 .LBB12_149
.LBB12_145:                             ; =>This Inner Loop Header: Depth=1
	s_and_saveexec_b32 s12, s1
	s_cbranch_execz .LBB12_147
; %bb.146:                              ;   in Loop: Header=BB12_145 Depth=1
	s_mul_i32 s3, s21, s11
	s_mul_hi_u32 s13, s20, s11
	s_mul_i32 s14, s20, s11
	s_add_i32 s15, s13, s3
	s_lshl_b64 s[14:15], s[14:15], 3
	v_add_co_u32 v4, s3, v75, s14
	v_add_co_ci_u32_e64 v5, null, s15, v76, s3
	global_load_dwordx2 v[4:5], v[4:5], off
	s_waitcnt vmcnt(0)
	ds_write_b64 v77, v[4:5]
.LBB12_147:                             ;   in Loop: Header=BB12_145 Depth=1
	s_or_b32 exec_lo, exec_lo, s12
	v_add_co_u32 v4, s3, v2, s4
	v_add_co_ci_u32_e64 v5, null, s5, v3, s3
	s_waitcnt lgkmcnt(0)
	s_barrier
	buffer_gl0_inv
	s_clause 0x1
	global_load_dwordx2 v[40:41], v[2:3], off
	global_load_dwordx2 v[44:45], v[4:5], off
	v_add_co_u32 v2, s3, v4, s4
	v_add_co_ci_u32_e64 v3, null, s5, v5, s3
	v_add_co_u32 v10, s3, v2, s4
	v_add_co_ci_u32_e64 v11, null, s5, v3, s3
	s_clause 0x1
	global_load_dwordx2 v[46:47], v[2:3], off
	global_load_dwordx2 v[42:43], v[10:11], off
	ds_read_b64 v[12:13], v79
	ds_read_b128 v[2:5], v78
	ds_read_b128 v[6:9], v78 offset:16
	v_add_co_u32 v10, s3, v10, s10
	v_add_co_ci_u32_e64 v11, null, s9, v11, s3
	v_add_co_u32 v18, s3, v10, s4
	v_add_co_ci_u32_e64 v19, null, s5, v11, s3
	s_waitcnt vmcnt(3) lgkmcnt(2)
	v_mul_f32_e32 v14, v41, v13
	v_mul_f32_e32 v15, v41, v12
	s_waitcnt vmcnt(2)
	v_mul_f32_e32 v16, v45, v13
	v_mul_f32_e32 v17, v45, v12
	v_fmac_f32_e32 v14, v40, v12
	v_fma_f32 v15, v40, v13, -v15
	v_fmac_f32_e32 v16, v44, v12
	v_fma_f32 v17, v44, v13, -v17
	s_waitcnt vmcnt(1)
	v_mul_f32_e32 v20, v47, v13
	s_waitcnt vmcnt(0)
	v_mul_f32_e32 v22, v43, v13
	v_mul_f32_e32 v21, v47, v12
	;; [unrolled: 1-line block ×3, first 2 shown]
	v_fmac_f32_e32 v20, v46, v12
	v_fmac_f32_e32 v22, v42, v12
	v_add_co_u32 v12, s3, v18, s4
	v_fma_f32 v21, v46, v13, -v21
	v_fma_f32 v23, v42, v13, -v23
	v_add_co_ci_u32_e64 v13, null, s5, v19, s3
	ds_write2_b64 v80, v[14:15], v[16:17] offset1:67
	ds_write2_b64 v80, v[20:21], v[22:23] offset0:134 offset1:201
	s_waitcnt lgkmcnt(0)
	s_barrier
	buffer_gl0_inv
	ds_read2_b64 v[85:88], v81 offset1:1
	ds_read2_b64 v[89:92], v81 offset0:2 offset1:3
	s_waitcnt lgkmcnt(0)
	s_barrier
	buffer_gl0_inv
	global_load_dwordx2 v[54:55], v[10:11], off
	v_add_co_u32 v10, s3, v12, s4
	v_add_co_ci_u32_e64 v11, null, s5, v13, s3
	s_clause 0x2
	global_load_dwordx2 v[52:53], v[18:19], off
	global_load_dwordx2 v[50:51], v[12:13], off
	;; [unrolled: 1-line block ×3, first 2 shown]
	ds_read_b64 v[12:13], v79
	v_add_co_u32 v18, s3, v10, s10
	v_add_co_ci_u32_e64 v19, null, s9, v11, s3
	v_add_co_u32 v20, s3, v18, s4
	v_add_co_ci_u32_e64 v21, null, s5, v19, s3
	v_add_f32_e32 v38, 0, v85
	v_add_co_u32 v22, s3, v20, s4
	v_add_co_ci_u32_e64 v23, null, s5, v21, s3
	v_add_f32_e32 v85, 0, v86
	;; [unrolled: 3-line block ×3, first 2 shown]
	v_add_f32_e32 v38, v38, v87
	v_add_f32_e32 v90, v85, v90
	v_add_f32_e32 v38, v38, v89
	v_add_f32_e32 v90, v90, v92
	v_add_f32_e32 v89, v38, v91
	s_waitcnt vmcnt(3) lgkmcnt(0)
	v_mul_f32_e32 v24, v55, v13
	v_mul_f32_e32 v10, v55, v12
	s_waitcnt vmcnt(2)
	v_mul_f32_e32 v26, v53, v13
	v_mul_f32_e32 v11, v53, v12
	s_waitcnt vmcnt(1)
	;; [unrolled: 3-line block ×3, first 2 shown]
	v_mul_f32_e32 v30, v49, v13
	v_mul_f32_e32 v15, v49, v12
	v_fmac_f32_e32 v24, v54, v12
	v_fma_f32 v25, v54, v13, -v10
	v_fmac_f32_e32 v26, v52, v12
	v_fma_f32 v27, v52, v13, -v11
	;; [unrolled: 2-line block ×4, first 2 shown]
	ds_read_b128 v[14:17], v78 offset:128
	ds_read_b128 v[10:13], v78 offset:144
	ds_write2_b64 v80, v[24:25], v[26:27] offset1:67
	ds_write2_b64 v80, v[28:29], v[30:31] offset0:134 offset1:201
	s_waitcnt lgkmcnt(0)
	s_barrier
	buffer_gl0_inv
	ds_read2_b64 v[93:96], v81 offset1:1
	ds_read2_b64 v[97:100], v81 offset0:2 offset1:3
	s_waitcnt lgkmcnt(0)
	s_barrier
	buffer_gl0_inv
	s_clause 0x2
	global_load_dwordx2 v[62:63], v[18:19], off
	global_load_dwordx2 v[60:61], v[20:21], off
	;; [unrolled: 1-line block ×4, first 2 shown]
	ds_read_b64 v[18:19], v79
	v_add_co_u32 v26, s3, v32, s10
	v_add_co_ci_u32_e64 v27, null, s9, v33, s3
	v_add_co_u32 v28, s3, v26, s4
	v_add_co_ci_u32_e64 v29, null, s5, v27, s3
	;; [unrolled: 2-line block ×3, first 2 shown]
	v_add_f32_e32 v93, 0, v93
	v_add_f32_e32 v94, 0, v94
	;; [unrolled: 1-line block ×7, first 2 shown]
	s_waitcnt vmcnt(3) lgkmcnt(0)
	v_mul_f32_e32 v20, v63, v18
	v_mul_f32_e32 v30, v63, v19
	s_waitcnt vmcnt(2)
	v_mul_f32_e32 v21, v61, v18
	v_mul_f32_e32 v32, v61, v19
	s_waitcnt vmcnt(1)
	v_mul_f32_e32 v22, v59, v18
	s_waitcnt vmcnt(0)
	v_mul_f32_e32 v23, v57, v18
	v_mul_f32_e32 v64, v59, v19
	;; [unrolled: 1-line block ×3, first 2 shown]
	v_fma_f32 v31, v62, v19, -v20
	v_fma_f32 v33, v60, v19, -v21
	v_fmac_f32_e32 v30, v62, v18
	v_fmac_f32_e32 v32, v60, v18
	v_fma_f32 v65, v58, v19, -v22
	v_fma_f32 v67, v56, v19, -v23
	v_fmac_f32_e32 v64, v58, v18
	v_fmac_f32_e32 v66, v56, v18
	ds_read_b128 v[22:25], v78 offset:256
	ds_read_b128 v[18:21], v78 offset:272
	ds_write2_b64 v80, v[30:31], v[32:33] offset1:67
	ds_write2_b64 v80, v[64:65], v[66:67] offset0:134 offset1:201
	v_add_co_u32 v64, s3, v68, s4
	v_add_co_ci_u32_e64 v65, null, s5, v69, s3
	s_waitcnt lgkmcnt(0)
	s_barrier
	buffer_gl0_inv
	ds_read2_b64 v[101:104], v81 offset1:1
	ds_read2_b64 v[105:108], v81 offset0:2 offset1:3
	s_waitcnt lgkmcnt(0)
	s_barrier
	buffer_gl0_inv
	global_load_dwordx2 v[72:73], v[26:27], off
	global_load_dwordx2 v[70:71], v[28:29], off
	;; [unrolled: 1-line block ×4, first 2 shown]
	ds_read_b64 v[26:27], v79
	v_add_f32_e32 v92, 0, v101
	v_add_f32_e32 v93, 0, v102
	v_add_f32_e32 v92, v92, v103
	v_add_f32_e32 v93, v93, v104
	v_add_f32_e32 v96, v92, v105
	v_add_f32_e32 v93, v93, v106
	v_add_f32_e32 v92, v38, v100
	s_waitcnt vmcnt(2) lgkmcnt(0)
	v_mul_f32_e32 v29, v71, v26
	v_mul_f32_e32 v28, v73, v26
	;; [unrolled: 1-line block ×4, first 2 shown]
	s_waitcnt vmcnt(1)
	v_mul_f32_e32 v30, v67, v26
	v_mul_f32_e32 v113, v67, v27
	s_waitcnt vmcnt(0)
	v_mul_f32_e32 v31, v69, v26
	v_mul_f32_e32 v115, v69, v27
	v_fma_f32 v110, v72, v27, -v28
	v_fma_f32 v112, v70, v27, -v29
	v_fmac_f32_e32 v109, v72, v26
	v_fmac_f32_e32 v111, v70, v26
	v_fma_f32 v114, v66, v27, -v30
	v_fma_f32 v116, v68, v27, -v31
	v_fmac_f32_e32 v113, v66, v26
	v_fmac_f32_e32 v115, v68, v26
	ds_read_b128 v[30:33], v78 offset:384
	ds_read_b128 v[26:29], v78 offset:400
	ds_write2_b64 v80, v[109:110], v[111:112] offset1:67
	ds_write2_b64 v80, v[113:114], v[115:116] offset0:134 offset1:201
	s_waitcnt lgkmcnt(0)
	s_barrier
	buffer_gl0_inv
	ds_read2_b64 v[109:112], v81 offset1:1
	ds_read2_b64 v[85:88], v81 offset0:2 offset1:3
	s_waitcnt lgkmcnt(0)
	s_barrier
	buffer_gl0_inv
	v_add_f32_e32 v94, 0, v109
	v_add_f32_e32 v95, 0, v110
	;; [unrolled: 1-line block ×10, first 2 shown]
	ds_write2_b64 v84, v[89:90], v[91:92] offset1:16
	ds_write2_b64 v84, v[85:86], v[87:88] offset0:32 offset1:48
	s_waitcnt lgkmcnt(0)
	s_barrier
	buffer_gl0_inv
	s_and_saveexec_b32 s12, s2
	s_cbranch_execz .LBB12_144
; %bb.148:                              ;   in Loop: Header=BB12_145 Depth=1
	ds_read_b64 v[97:98], v82
	ds_read2_b64 v[85:88], v82 offset0:1 offset1:2
	ds_read2_b64 v[89:92], v82 offset0:3 offset1:4
	;; [unrolled: 1-line block ×3, first 2 shown]
	s_waitcnt lgkmcnt(2)
	v_add_f32_e32 v38, v85, v97
	v_add_f32_e32 v85, v86, v98
	v_add_f32_e32 v38, v87, v38
	v_add_f32_e32 v97, v88, v85
	ds_read2_b64 v[85:88], v82 offset0:7 offset1:8
	s_waitcnt lgkmcnt(2)
	v_add_f32_e32 v38, v38, v89
	v_add_f32_e32 v89, v97, v90
	v_add_f32_e32 v38, v38, v91
	v_add_f32_e32 v97, v89, v92
	ds_read2_b64 v[89:92], v82 offset0:9 offset1:10
	;; [unrolled: 6-line block ×4, first 2 shown]
	s_waitcnt lgkmcnt(2)
	v_add_f32_e32 v38, v38, v89
	v_add_f32_e32 v89, v97, v90
	;; [unrolled: 1-line block ×4, first 2 shown]
	ds_read_b64 v[89:90], v83
	s_waitcnt lgkmcnt(2)
	v_add_f32_e32 v38, v38, v93
	v_add_f32_e32 v91, v91, v94
	;; [unrolled: 1-line block ×4, first 2 shown]
	s_waitcnt lgkmcnt(1)
	v_add_f32_e32 v85, v38, v85
	v_add_f32_e32 v86, v91, v86
	v_add_nc_u32_e32 v38, s11, v0
	v_add_f32_e32 v87, v85, v87
	v_add_f32_e32 v88, v86, v88
	v_lshlrev_b64 v[85:86], 3, v[38:39]
	s_waitcnt lgkmcnt(0)
	v_add_f32_e32 v87, v87, v89
	v_add_f32_e32 v88, v88, v90
	v_add_co_u32 v85, s3, s7, v85
	v_add_co_ci_u32_e64 v86, null, s8, v86, s3
	global_store_dwordx2 v[85:86], v[87:88], off
	s_branch .LBB12_144
.LBB12_149:
	v_mad_u32_u24 v0, 0x218, v1, v74
	s_nor_b32 s0, s0, vcc_lo
	ds_write_b64 v0, v[36:37]
	s_waitcnt lgkmcnt(0)
	s_barrier
	buffer_gl0_inv
	s_and_saveexec_b32 s1, s0
	s_cbranch_execz .LBB12_151
; %bb.150:
	ds_read2_b64 v[0:3], v74 offset1:67
	ds_read2_b64 v[4:7], v74 offset0:134 offset1:201
	s_waitcnt lgkmcnt(1)
	v_add_f32_e32 v0, v2, v0
	v_add_f32_e32 v1, v3, v1
	s_waitcnt lgkmcnt(0)
	v_add_f32_e32 v2, v4, v0
	v_add_f32_e32 v3, v5, v1
	v_lshlrev_b64 v[0:1], 3, v[34:35]
	v_add_f32_e32 v2, v2, v6
	v_add_f32_e32 v3, v3, v7
	v_add_co_u32 v0, vcc_lo, s7, v0
	v_add_co_ci_u32_e64 v1, null, s8, v1, vcc_lo
	global_store_dwordx2 v[0:1], v[2:3], off
.LBB12_151:
	s_endpgm
	.section	.rodata,"a",@progbits
	.p2align	6, 0x0
	.amdhsa_kernel _ZL26rocblas_hemvn_kernel_lowerILb1ELi64ELi4ELi33ELi32ELi16El19rocblas_complex_numIfEPKS1_PS1_EviT6_lT7_lT5_lS6_lS7_lS5_lT8_i
		.amdhsa_group_segment_fixed_size 9600
		.amdhsa_private_segment_fixed_size 0
		.amdhsa_kernarg_size 376
		.amdhsa_user_sgpr_count 6
		.amdhsa_user_sgpr_private_segment_buffer 1
		.amdhsa_user_sgpr_dispatch_ptr 0
		.amdhsa_user_sgpr_queue_ptr 0
		.amdhsa_user_sgpr_kernarg_segment_ptr 1
		.amdhsa_user_sgpr_dispatch_id 0
		.amdhsa_user_sgpr_flat_scratch_init 0
		.amdhsa_user_sgpr_private_segment_size 0
		.amdhsa_wavefront_size32 1
		.amdhsa_uses_dynamic_stack 0
		.amdhsa_system_sgpr_private_segment_wavefront_offset 0
		.amdhsa_system_sgpr_workgroup_id_x 1
		.amdhsa_system_sgpr_workgroup_id_y 0
		.amdhsa_system_sgpr_workgroup_id_z 1
		.amdhsa_system_sgpr_workgroup_info 0
		.amdhsa_system_vgpr_workitem_id 1
		.amdhsa_next_free_vgpr 117
		.amdhsa_next_free_sgpr 32
		.amdhsa_reserve_vcc 1
		.amdhsa_reserve_flat_scratch 0
		.amdhsa_float_round_mode_32 0
		.amdhsa_float_round_mode_16_64 0
		.amdhsa_float_denorm_mode_32 3
		.amdhsa_float_denorm_mode_16_64 3
		.amdhsa_dx10_clamp 1
		.amdhsa_ieee_mode 1
		.amdhsa_fp16_overflow 0
		.amdhsa_workgroup_processor_mode 1
		.amdhsa_memory_ordered 1
		.amdhsa_forward_progress 1
		.amdhsa_shared_vgpr_count 0
		.amdhsa_exception_fp_ieee_invalid_op 0
		.amdhsa_exception_fp_denorm_src 0
		.amdhsa_exception_fp_ieee_div_zero 0
		.amdhsa_exception_fp_ieee_overflow 0
		.amdhsa_exception_fp_ieee_underflow 0
		.amdhsa_exception_fp_ieee_inexact 0
		.amdhsa_exception_int_div_zero 0
	.end_amdhsa_kernel
	.section	.text._ZL26rocblas_hemvn_kernel_lowerILb1ELi64ELi4ELi33ELi32ELi16El19rocblas_complex_numIfEPKS1_PS1_EviT6_lT7_lT5_lS6_lS7_lS5_lT8_i,"axG",@progbits,_ZL26rocblas_hemvn_kernel_lowerILb1ELi64ELi4ELi33ELi32ELi16El19rocblas_complex_numIfEPKS1_PS1_EviT6_lT7_lT5_lS6_lS7_lS5_lT8_i,comdat
.Lfunc_end12:
	.size	_ZL26rocblas_hemvn_kernel_lowerILb1ELi64ELi4ELi33ELi32ELi16El19rocblas_complex_numIfEPKS1_PS1_EviT6_lT7_lT5_lS6_lS7_lS5_lT8_i, .Lfunc_end12-_ZL26rocblas_hemvn_kernel_lowerILb1ELi64ELi4ELi33ELi32ELi16El19rocblas_complex_numIfEPKS1_PS1_EviT6_lT7_lT5_lS6_lS7_lS5_lT8_i
                                        ; -- End function
	.set _ZL26rocblas_hemvn_kernel_lowerILb1ELi64ELi4ELi33ELi32ELi16El19rocblas_complex_numIfEPKS1_PS1_EviT6_lT7_lT5_lS6_lS7_lS5_lT8_i.num_vgpr, 117
	.set _ZL26rocblas_hemvn_kernel_lowerILb1ELi64ELi4ELi33ELi32ELi16El19rocblas_complex_numIfEPKS1_PS1_EviT6_lT7_lT5_lS6_lS7_lS5_lT8_i.num_agpr, 0
	.set _ZL26rocblas_hemvn_kernel_lowerILb1ELi64ELi4ELi33ELi32ELi16El19rocblas_complex_numIfEPKS1_PS1_EviT6_lT7_lT5_lS6_lS7_lS5_lT8_i.numbered_sgpr, 32
	.set _ZL26rocblas_hemvn_kernel_lowerILb1ELi64ELi4ELi33ELi32ELi16El19rocblas_complex_numIfEPKS1_PS1_EviT6_lT7_lT5_lS6_lS7_lS5_lT8_i.num_named_barrier, 0
	.set _ZL26rocblas_hemvn_kernel_lowerILb1ELi64ELi4ELi33ELi32ELi16El19rocblas_complex_numIfEPKS1_PS1_EviT6_lT7_lT5_lS6_lS7_lS5_lT8_i.private_seg_size, 0
	.set _ZL26rocblas_hemvn_kernel_lowerILb1ELi64ELi4ELi33ELi32ELi16El19rocblas_complex_numIfEPKS1_PS1_EviT6_lT7_lT5_lS6_lS7_lS5_lT8_i.uses_vcc, 1
	.set _ZL26rocblas_hemvn_kernel_lowerILb1ELi64ELi4ELi33ELi32ELi16El19rocblas_complex_numIfEPKS1_PS1_EviT6_lT7_lT5_lS6_lS7_lS5_lT8_i.uses_flat_scratch, 0
	.set _ZL26rocblas_hemvn_kernel_lowerILb1ELi64ELi4ELi33ELi32ELi16El19rocblas_complex_numIfEPKS1_PS1_EviT6_lT7_lT5_lS6_lS7_lS5_lT8_i.has_dyn_sized_stack, 0
	.set _ZL26rocblas_hemvn_kernel_lowerILb1ELi64ELi4ELi33ELi32ELi16El19rocblas_complex_numIfEPKS1_PS1_EviT6_lT7_lT5_lS6_lS7_lS5_lT8_i.has_recursion, 0
	.set _ZL26rocblas_hemvn_kernel_lowerILb1ELi64ELi4ELi33ELi32ELi16El19rocblas_complex_numIfEPKS1_PS1_EviT6_lT7_lT5_lS6_lS7_lS5_lT8_i.has_indirect_call, 0
	.section	.AMDGPU.csdata,"",@progbits
; Kernel info:
; codeLenInByte = 8332
; TotalNumSgprs: 34
; NumVgprs: 117
; ScratchSize: 0
; MemoryBound: 1
; FloatMode: 240
; IeeeMode: 1
; LDSByteSize: 9600 bytes/workgroup (compile time only)
; SGPRBlocks: 0
; VGPRBlocks: 14
; NumSGPRsForWavesPerEU: 34
; NumVGPRsForWavesPerEU: 117
; Occupancy: 8
; WaveLimiterHint : 0
; COMPUTE_PGM_RSRC2:SCRATCH_EN: 0
; COMPUTE_PGM_RSRC2:USER_SGPR: 6
; COMPUTE_PGM_RSRC2:TRAP_HANDLER: 0
; COMPUTE_PGM_RSRC2:TGID_X_EN: 1
; COMPUTE_PGM_RSRC2:TGID_Y_EN: 0
; COMPUTE_PGM_RSRC2:TGID_Z_EN: 1
; COMPUTE_PGM_RSRC2:TIDIG_COMP_CNT: 1
	.section	.text._ZL36rocblas_hemvn_kernel_lower_block_sumILi64El19rocblas_complex_numIfEPS1_S1_EviT1_lS3_lT2_lT0_lPT3_i,"axG",@progbits,_ZL36rocblas_hemvn_kernel_lower_block_sumILi64El19rocblas_complex_numIfEPS1_S1_EviT1_lS3_lT2_lT0_lPT3_i,comdat
	.globl	_ZL36rocblas_hemvn_kernel_lower_block_sumILi64El19rocblas_complex_numIfEPS1_S1_EviT1_lS3_lT2_lT0_lPT3_i ; -- Begin function _ZL36rocblas_hemvn_kernel_lower_block_sumILi64El19rocblas_complex_numIfEPS1_S1_EviT1_lS3_lT2_lT0_lPT3_i
	.p2align	8
	.type	_ZL36rocblas_hemvn_kernel_lower_block_sumILi64El19rocblas_complex_numIfEPS1_S1_EviT1_lS3_lT2_lT0_lPT3_i,@function
_ZL36rocblas_hemvn_kernel_lower_block_sumILi64El19rocblas_complex_numIfEPS1_S1_EviT1_lS3_lT2_lT0_lPT3_i: ; @_ZL36rocblas_hemvn_kernel_lower_block_sumILi64El19rocblas_complex_numIfEPS1_S1_EviT1_lS3_lT2_lT0_lPT3_i
; %bb.0:
	s_clause 0x1
	s_load_dwordx4 s[8:11], s[4:5], 0x0
	s_load_dwordx2 s[12:13], s[4:5], 0x18
	s_waitcnt lgkmcnt(0)
	s_or_b32 s0, s9, s10
	s_bitset0_b32 s0, 31
	s_cmp_eq_u32 s0, 0
	s_cselect_b32 s15, -1, 0
	s_cmp_lg_u32 s0, 0
	s_mov_b32 s0, -1
	s_cbranch_scc1 .LBB13_2
; %bb.1:
	v_cmp_neq_f32_e64 s0, s12, 1.0
	v_cmp_neq_f32_e64 s1, s13, 0
	s_or_b32 s0, s0, s1
.LBB13_2:
	s_andn2_b32 vcc_lo, exec_lo, s0
	s_cbranch_vccnz .LBB13_19
; %bb.3:
	s_clause 0x2
	s_load_dwordx2 s[16:17], s[4:5], 0x40
	s_load_dwordx2 s[18:19], s[4:5], 0x28
	s_load_dwordx4 s[0:3], s[4:5], 0x30
	v_lshl_or_b32 v0, s6, 6, v0
	s_waitcnt lgkmcnt(0)
	s_mul_i32 s11, s17, s7
	s_mul_hi_u32 s14, s16, s7
	s_mul_i32 s16, s16, s7
	s_add_i32 s17, s14, s11
	s_lshl_b64 s[16:17], s[16:17], 3
	s_add_u32 s11, s18, s16
	s_addc_u32 s14, s19, s17
	s_lshl_b64 s[16:17], s[0:1], 3
	v_cmp_gt_i32_e64 s0, s8, v0
	s_add_u32 s11, s11, s16
	s_addc_u32 s14, s14, s17
	s_andn2_b32 vcc_lo, exec_lo, s15
	s_mov_b32 s1, -1
	s_cbranch_vccnz .LBB13_9
; %bb.4:
	s_and_saveexec_b32 s1, s0
	s_cbranch_execz .LBB13_8
; %bb.5:
	v_ashrrev_i32_e32 v1, 31, v0
	v_mul_lo_u32 v3, s3, v0
	v_cmp_neq_f32_e64 s0, s12, 0
	v_cmp_neq_f32_e64 s15, s13, 0
	v_mul_lo_u32 v4, s2, v1
	v_mad_u64_u32 v[1:2], null, s2, v0, 0
	s_or_b32 s0, s0, s15
	s_andn2_b32 vcc_lo, exec_lo, s0
	v_add3_u32 v2, v2, v4, v3
	v_mov_b32_e32 v3, 0
	v_mov_b32_e32 v4, 0
	v_lshlrev_b64 v[1:2], 3, v[1:2]
	s_cbranch_vccnz .LBB13_7
; %bb.6:
	v_add_co_u32 v3, vcc_lo, s11, v1
	v_add_co_ci_u32_e64 v4, null, s14, v2, vcc_lo
	global_load_dwordx2 v[5:6], v[3:4], off
	s_waitcnt vmcnt(0)
	v_mul_f32_e32 v3, s13, v6
	v_mul_f32_e32 v4, s12, v6
	v_fma_f32 v3, v5, s12, -v3
	v_fmac_f32_e32 v4, s13, v5
.LBB13_7:
	v_add_co_u32 v1, vcc_lo, s11, v1
	v_add_co_ci_u32_e64 v2, null, s14, v2, vcc_lo
	global_store_dwordx2 v[1:2], v[3:4], off
.LBB13_8:
	s_or_b32 exec_lo, exec_lo, s1
	s_mov_b32 s1, 0
.LBB13_9:
	s_andn2_b32 vcc_lo, exec_lo, s1
	s_cbranch_vccnz .LBB13_19
; %bb.10:
	s_mov_b32 s0, exec_lo
	v_cmpx_gt_i32_e64 s8, v0
	s_cbranch_execz .LBB13_19
; %bb.11:
	s_load_dword s15, s[4:5], 0x58
	v_mov_b32_e32 v3, 0
	v_mov_b32_e32 v4, 0
	s_waitcnt lgkmcnt(0)
	s_cmp_ge_i32 s6, s15
	s_cbranch_scc1 .LBB13_14
; %bb.12:
	s_load_dwordx2 s[0:1], s[4:5], 0x48
	v_mad_u64_u32 v[1:2], null, s8, s6, v[0:1]
	s_ashr_i32 s5, s8, 31
	s_mul_hi_u32 s4, s8, s7
	s_mul_i32 s16, s5, s7
	s_mul_i32 s7, s8, s7
	s_add_i32 s4, s4, s16
	s_mul_hi_u32 s17, s7, s15
	v_ashrrev_i32_e32 v2, 31, v1
	s_mul_i32 s4, s4, s15
	s_mul_i32 s16, s7, s15
	s_add_i32 s17, s17, s4
	v_mov_b32_e32 v3, 0
	v_lshlrev_b64 v[1:2], 3, v[1:2]
	s_lshl_b64 s[16:17], s[16:17], 3
	v_mov_b32_e32 v4, 0
	s_mov_b32 s4, s8
	s_waitcnt lgkmcnt(0)
	s_add_u32 s0, s0, s16
	s_addc_u32 s1, s1, s17
	v_add_co_u32 v1, vcc_lo, s0, v1
	v_add_co_ci_u32_e64 v2, null, s1, v2, vcc_lo
	s_lshl_b64 s[0:1], s[4:5], 3
	v_add_co_u32 v1, vcc_lo, v1, 4
	v_add_co_ci_u32_e64 v2, null, 0, v2, vcc_lo
.LBB13_13:                              ; =>This Inner Loop Header: Depth=1
	global_load_dwordx2 v[5:6], v[1:2], off offset:-4
	v_add_co_u32 v1, vcc_lo, v1, s0
	v_add_co_ci_u32_e64 v2, null, s1, v2, vcc_lo
	s_add_i32 s6, s6, 1
	s_cmp_ge_i32 s6, s15
	s_waitcnt vmcnt(0)
	v_add_f32_e32 v4, v4, v5
	v_add_f32_e32 v3, v3, v6
	s_cbranch_scc0 .LBB13_13
.LBB13_14:
	v_ashrrev_i32_e32 v1, 31, v0
	v_mul_f32_e32 v7, s10, v3
	v_mul_f32_e32 v2, s9, v3
	v_cmp_neq_f32_e64 s0, s12, 0
	v_cmp_neq_f32_e64 s1, s13, 0
	v_mul_lo_u32 v5, s3, v0
	v_mul_lo_u32 v6, s2, v1
	v_fma_f32 v1, v4, s9, -v7
	v_fmac_f32_e32 v2, s10, v4
	s_or_b32 s0, s0, s1
	s_andn2_b32 vcc_lo, exec_lo, s0
	s_mov_b32 s0, 0
	s_cbranch_vccz .LBB13_16
; %bb.15:
	v_mad_u64_u32 v[3:4], null, s2, v0, 0
	v_add3_u32 v4, v4, v6, v5
	s_andn2_b32 vcc_lo, exec_lo, s0
	s_cbranch_vccz .LBB13_17
	s_branch .LBB13_18
.LBB13_16:
                                        ; implicit-def: $vgpr3_vgpr4
.LBB13_17:
	v_mad_u64_u32 v[3:4], null, s2, v0, 0
	v_add3_u32 v4, v4, v6, v5
	v_lshlrev_b64 v[5:6], 3, v[3:4]
	v_add_co_u32 v5, vcc_lo, s11, v5
	v_add_co_ci_u32_e64 v6, null, s14, v6, vcc_lo
	global_load_dwordx2 v[5:6], v[5:6], off
	s_waitcnt vmcnt(0)
	v_mul_f32_e32 v0, s13, v6
	v_mul_f32_e32 v6, s12, v6
	v_fma_f32 v0, v5, s12, -v0
	v_fmac_f32_e32 v6, s13, v5
	v_add_f32_e32 v1, v1, v0
	v_add_f32_e32 v2, v2, v6
.LBB13_18:
	v_lshlrev_b64 v[3:4], 3, v[3:4]
	v_add_co_u32 v3, vcc_lo, s11, v3
	v_add_co_ci_u32_e64 v4, null, s14, v4, vcc_lo
	global_store_dwordx2 v[3:4], v[1:2], off
.LBB13_19:
	s_endpgm
	.section	.rodata,"a",@progbits
	.p2align	6, 0x0
	.amdhsa_kernel _ZL36rocblas_hemvn_kernel_lower_block_sumILi64El19rocblas_complex_numIfEPS1_S1_EviT1_lS3_lT2_lT0_lPT3_i
		.amdhsa_group_segment_fixed_size 0
		.amdhsa_private_segment_fixed_size 0
		.amdhsa_kernarg_size 344
		.amdhsa_user_sgpr_count 6
		.amdhsa_user_sgpr_private_segment_buffer 1
		.amdhsa_user_sgpr_dispatch_ptr 0
		.amdhsa_user_sgpr_queue_ptr 0
		.amdhsa_user_sgpr_kernarg_segment_ptr 1
		.amdhsa_user_sgpr_dispatch_id 0
		.amdhsa_user_sgpr_flat_scratch_init 0
		.amdhsa_user_sgpr_private_segment_size 0
		.amdhsa_wavefront_size32 1
		.amdhsa_uses_dynamic_stack 0
		.amdhsa_system_sgpr_private_segment_wavefront_offset 0
		.amdhsa_system_sgpr_workgroup_id_x 1
		.amdhsa_system_sgpr_workgroup_id_y 0
		.amdhsa_system_sgpr_workgroup_id_z 1
		.amdhsa_system_sgpr_workgroup_info 0
		.amdhsa_system_vgpr_workitem_id 0
		.amdhsa_next_free_vgpr 8
		.amdhsa_next_free_sgpr 20
		.amdhsa_reserve_vcc 1
		.amdhsa_reserve_flat_scratch 0
		.amdhsa_float_round_mode_32 0
		.amdhsa_float_round_mode_16_64 0
		.amdhsa_float_denorm_mode_32 3
		.amdhsa_float_denorm_mode_16_64 3
		.amdhsa_dx10_clamp 1
		.amdhsa_ieee_mode 1
		.amdhsa_fp16_overflow 0
		.amdhsa_workgroup_processor_mode 1
		.amdhsa_memory_ordered 1
		.amdhsa_forward_progress 1
		.amdhsa_shared_vgpr_count 0
		.amdhsa_exception_fp_ieee_invalid_op 0
		.amdhsa_exception_fp_denorm_src 0
		.amdhsa_exception_fp_ieee_div_zero 0
		.amdhsa_exception_fp_ieee_overflow 0
		.amdhsa_exception_fp_ieee_underflow 0
		.amdhsa_exception_fp_ieee_inexact 0
		.amdhsa_exception_int_div_zero 0
	.end_amdhsa_kernel
	.section	.text._ZL36rocblas_hemvn_kernel_lower_block_sumILi64El19rocblas_complex_numIfEPS1_S1_EviT1_lS3_lT2_lT0_lPT3_i,"axG",@progbits,_ZL36rocblas_hemvn_kernel_lower_block_sumILi64El19rocblas_complex_numIfEPS1_S1_EviT1_lS3_lT2_lT0_lPT3_i,comdat
.Lfunc_end13:
	.size	_ZL36rocblas_hemvn_kernel_lower_block_sumILi64El19rocblas_complex_numIfEPS1_S1_EviT1_lS3_lT2_lT0_lPT3_i, .Lfunc_end13-_ZL36rocblas_hemvn_kernel_lower_block_sumILi64El19rocblas_complex_numIfEPS1_S1_EviT1_lS3_lT2_lT0_lPT3_i
                                        ; -- End function
	.set _ZL36rocblas_hemvn_kernel_lower_block_sumILi64El19rocblas_complex_numIfEPS1_S1_EviT1_lS3_lT2_lT0_lPT3_i.num_vgpr, 8
	.set _ZL36rocblas_hemvn_kernel_lower_block_sumILi64El19rocblas_complex_numIfEPS1_S1_EviT1_lS3_lT2_lT0_lPT3_i.num_agpr, 0
	.set _ZL36rocblas_hemvn_kernel_lower_block_sumILi64El19rocblas_complex_numIfEPS1_S1_EviT1_lS3_lT2_lT0_lPT3_i.numbered_sgpr, 20
	.set _ZL36rocblas_hemvn_kernel_lower_block_sumILi64El19rocblas_complex_numIfEPS1_S1_EviT1_lS3_lT2_lT0_lPT3_i.num_named_barrier, 0
	.set _ZL36rocblas_hemvn_kernel_lower_block_sumILi64El19rocblas_complex_numIfEPS1_S1_EviT1_lS3_lT2_lT0_lPT3_i.private_seg_size, 0
	.set _ZL36rocblas_hemvn_kernel_lower_block_sumILi64El19rocblas_complex_numIfEPS1_S1_EviT1_lS3_lT2_lT0_lPT3_i.uses_vcc, 1
	.set _ZL36rocblas_hemvn_kernel_lower_block_sumILi64El19rocblas_complex_numIfEPS1_S1_EviT1_lS3_lT2_lT0_lPT3_i.uses_flat_scratch, 0
	.set _ZL36rocblas_hemvn_kernel_lower_block_sumILi64El19rocblas_complex_numIfEPS1_S1_EviT1_lS3_lT2_lT0_lPT3_i.has_dyn_sized_stack, 0
	.set _ZL36rocblas_hemvn_kernel_lower_block_sumILi64El19rocblas_complex_numIfEPS1_S1_EviT1_lS3_lT2_lT0_lPT3_i.has_recursion, 0
	.set _ZL36rocblas_hemvn_kernel_lower_block_sumILi64El19rocblas_complex_numIfEPS1_S1_EviT1_lS3_lT2_lT0_lPT3_i.has_indirect_call, 0
	.section	.AMDGPU.csdata,"",@progbits
; Kernel info:
; codeLenInByte = 792
; TotalNumSgprs: 22
; NumVgprs: 8
; ScratchSize: 0
; MemoryBound: 0
; FloatMode: 240
; IeeeMode: 1
; LDSByteSize: 0 bytes/workgroup (compile time only)
; SGPRBlocks: 0
; VGPRBlocks: 0
; NumSGPRsForWavesPerEU: 22
; NumVGPRsForWavesPerEU: 8
; Occupancy: 16
; WaveLimiterHint : 0
; COMPUTE_PGM_RSRC2:SCRATCH_EN: 0
; COMPUTE_PGM_RSRC2:USER_SGPR: 6
; COMPUTE_PGM_RSRC2:TRAP_HANDLER: 0
; COMPUTE_PGM_RSRC2:TGID_X_EN: 1
; COMPUTE_PGM_RSRC2:TGID_Y_EN: 0
; COMPUTE_PGM_RSRC2:TGID_Z_EN: 1
; COMPUTE_PGM_RSRC2:TIDIG_COMP_CNT: 0
	.section	.text._ZL26rocblas_hemvn_kernel_lowerILb1ELi64ELi4ELi33ELi32ELi16Ei19rocblas_complex_numIfEPKS1_PS1_EviT6_lT7_lT5_lS6_lS7_lS5_lT8_i,"axG",@progbits,_ZL26rocblas_hemvn_kernel_lowerILb1ELi64ELi4ELi33ELi32ELi16Ei19rocblas_complex_numIfEPKS1_PS1_EviT6_lT7_lT5_lS6_lS7_lS5_lT8_i,comdat
	.globl	_ZL26rocblas_hemvn_kernel_lowerILb1ELi64ELi4ELi33ELi32ELi16Ei19rocblas_complex_numIfEPKS1_PS1_EviT6_lT7_lT5_lS6_lS7_lS5_lT8_i ; -- Begin function _ZL26rocblas_hemvn_kernel_lowerILb1ELi64ELi4ELi33ELi32ELi16Ei19rocblas_complex_numIfEPKS1_PS1_EviT6_lT7_lT5_lS6_lS7_lS5_lT8_i
	.p2align	8
	.type	_ZL26rocblas_hemvn_kernel_lowerILb1ELi64ELi4ELi33ELi32ELi16Ei19rocblas_complex_numIfEPKS1_PS1_EviT6_lT7_lT5_lS6_lS7_lS5_lT8_i,@function
_ZL26rocblas_hemvn_kernel_lowerILb1ELi64ELi4ELi33ELi32ELi16Ei19rocblas_complex_numIfEPKS1_PS1_EviT6_lT7_lT5_lS6_lS7_lS5_lT8_i: ; @_ZL26rocblas_hemvn_kernel_lowerILb1ELi64ELi4ELi33ELi32ELi16Ei19rocblas_complex_numIfEPKS1_PS1_EviT6_lT7_lT5_lS6_lS7_lS5_lT8_i
; %bb.0:
	s_load_dwordx2 s[2:3], s[4:5], 0x84
	s_add_u32 s0, s4, 0x78
	s_addc_u32 s1, s5, 0
	s_waitcnt lgkmcnt(0)
	s_lshr_b32 s8, s2, 16
	s_and_b32 s2, s2, 0xffff
	s_and_b32 s3, s3, 0xffff
	s_mul_i32 s2, s8, s2
	s_mul_i32 s2, s2, s3
	s_cmpk_lg_i32 s2, 0x100
	s_cbranch_scc1 .LBB14_151
; %bb.1:
	s_load_dwordx2 s[2:3], s[4:5], 0x4
	v_mov_b32_e32 v2, v1
	s_waitcnt lgkmcnt(0)
	s_or_b32 s2, s2, s3
	s_mov_b32 s3, -1
	s_bitset0_b32 s2, 31
	s_cmp_lg_u32 s2, 0
	s_cselect_b32 s2, -1, 0
	s_and_b32 vcc_lo, exec_lo, s2
	s_cbranch_vccnz .LBB14_3
; %bb.2:
	s_load_dwordx2 s[8:9], s[4:5], 0x58
	s_waitcnt lgkmcnt(0)
	v_cmp_neq_f32_e64 s3, s8, 1.0
	v_cmp_neq_f32_e64 s8, s9, 0
	s_or_b32 s3, s3, s8
.LBB14_3:
	s_andn2_b32 vcc_lo, exec_lo, s3
	s_cbranch_vccnz .LBB14_151
; %bb.4:
	s_andn2_b32 vcc_lo, exec_lo, s2
	s_cbranch_vccnz .LBB14_151
; %bb.5:
	s_clause 0x4
	s_load_dwordx2 s[2:3], s[4:5], 0x50
	s_load_dwordx4 s[8:11], s[4:5], 0x30
	s_load_dwordx2 s[12:13], s[4:5], 0x40
	s_load_dword s24, s[4:5], 0x48
	s_load_dword s25, s[4:5], 0x0
	;; [unrolled: 1-line block ×3, first 2 shown]
	s_waitcnt lgkmcnt(0)
	s_mul_i32 s3, s3, s7
	s_mul_hi_u32 s14, s2, s7
	s_mul_i32 s2, s2, s7
	s_add_i32 s3, s14, s3
	s_lshl_b64 s[2:3], s[2:3], 3
	s_add_u32 s10, s10, s2
	s_addc_u32 s11, s11, s3
	s_lshl_b64 s[2:3], s[12:13], 3
	s_add_u32 s2, s10, s2
	s_addc_u32 s3, s11, s3
	s_lshl_b32 s12, s6, 6
	s_ashr_i32 s27, s25, 31
	v_add_nc_u32_e32 v35, s12, v0
	s_lshr_b32 s0, s27, 26
	s_add_i32 s10, s26, -1
	s_add_i32 s1, s25, s0
	v_cmp_ne_u32_e64 s0, 0, v2
	v_mul_lo_u32 v3, s24, v35
	s_andn2_b32 s1, s1, 63
	s_sub_i32 s11, s25, s1
	v_cmp_eq_u32_e64 s1, 0, v2
	s_cmp_eq_u32 s6, s10
	s_cselect_b32 s16, s11, 0
	v_ashrrev_i32_e32 v4, 31, v3
	v_lshlrev_b64 v[3:4], 3, v[3:4]
	v_add_co_u32 v19, vcc_lo, s2, v3
	v_add_co_ci_u32_e64 v20, null, s3, v4, vcc_lo
	s_mov_b32 s2, -1
	s_and_saveexec_b32 s3, s1
	s_cbranch_execz .LBB14_10
; %bb.6:
	v_cmp_le_i32_e32 vcc_lo, s16, v0
	s_cmp_lg_u32 s16, 0
	v_lshl_add_u32 v1, v0, 3, 0x2380
	s_cselect_b32 s10, -1, 0
	s_and_b32 s10, s10, vcc_lo
	s_and_saveexec_b32 s11, s10
	s_xor_b32 s10, exec_lo, s11
; %bb.7:
	v_mov_b32_e32 v3, 0
	v_mov_b32_e32 v4, v3
	ds_write_b64 v1, v[3:4]
                                        ; implicit-def: $vgpr1
; %bb.8:
	s_andn2_saveexec_b32 s10, s10
	s_cbranch_execz .LBB14_10
; %bb.9:
	global_load_dwordx2 v[3:4], v[19:20], off
	s_waitcnt vmcnt(0)
	ds_write_b64 v1, v[3:4]
.LBB14_10:
	s_or_b32 exec_lo, exec_lo, s3
	s_clause 0x1
	s_load_dwordx4 s[20:23], s[4:5], 0x18
	s_load_dword s14, s[4:5], 0x28
	v_lshl_add_u32 v25, v2, 6, v0
	v_and_b32_e32 v1, 31, v0
	s_mul_i32 s3, s9, s7
	s_mul_hi_u32 s9, s8, s7
	s_mul_i32 s8, s8, s7
	v_lshrrev_b32_e32 v7, 5, v25
	s_add_i32 s9, s9, s3
	s_lshl_b64 s[8:9], s[8:9], 3
	s_waitcnt lgkmcnt(0)
	s_add_u32 s3, s20, s8
	v_mad_u64_u32 v[3:4], null, s14, v7, v[1:2]
	s_addc_u32 s10, s21, s9
	s_lshl_b64 s[8:9], s[22:23], 3
	s_add_u32 s3, s3, s8
	s_addc_u32 s11, s10, s9
	s_ashr_i32 s13, s12, 31
	v_ashrrev_i32_e32 v4, 31, v3
	s_lshl_b64 s[8:9], s[12:13], 3
	s_mul_i32 s10, s14, s12
	s_add_u32 s3, s3, s8
	s_addc_u32 s8, s11, s9
	v_lshlrev_b64 v[21:22], 3, v[3:4]
	s_ashr_i32 s11, s10, 31
	s_lshl_b64 s[18:19], s[10:11], 3
	s_cmp_lg_u32 s16, 0
	s_cselect_b32 s13, -1, 0
	v_add_co_u32 v3, vcc_lo, s3, v21
	v_add_co_ci_u32_e64 v4, null, s8, v22, vcc_lo
	s_cmp_eq_u32 s16, 0
	v_add_co_u32 v3, vcc_lo, v3, s18
	v_add_co_ci_u32_e64 v4, null, s19, v4, vcc_lo
	s_cselect_b32 s11, -1, 0
	s_and_b32 vcc_lo, exec_lo, s13
	s_cbranch_vccnz .LBB14_12
; %bb.11:
	s_lshl_b32 s2, s14, 3
	s_ashr_i32 s15, s14, 31
	s_ashr_i32 s3, s2, 31
	v_mul_u32_u24_e32 v14, 0x108, v7
	s_lshl_b64 s[2:3], s[2:3], 3
	v_add_co_u32 v5, vcc_lo, v3, s2
	v_add_co_ci_u32_e64 v6, null, s3, v4, vcc_lo
	s_lshl_b64 s[2:3], s[14:15], 6
	v_lshl_add_u32 v14, v1, 3, v14
	v_add_co_u32 v8, vcc_lo, v5, s2
	v_add_co_ci_u32_e64 v9, null, s3, v6, vcc_lo
	v_add_co_u32 v10, vcc_lo, v8, s2
	v_add_co_ci_u32_e64 v11, null, s3, v9, vcc_lo
	s_clause 0x3
	global_load_dwordx2 v[12:13], v[3:4], off
	global_load_dwordx2 v[5:6], v[5:6], off
	;; [unrolled: 1-line block ×4, first 2 shown]
	s_mov_b32 s2, 0
	s_waitcnt vmcnt(3)
	ds_write_b64 v14, v[12:13]
	s_waitcnt vmcnt(2)
	ds_write_b64 v14, v[5:6] offset:2112
	s_waitcnt vmcnt(1)
	ds_write_b64 v14, v[8:9] offset:4224
	;; [unrolled: 2-line block ×3, first 2 shown]
.LBB14_12:
	v_lshlrev_b32_e32 v8, 3, v1
	s_andn2_b32 vcc_lo, exec_lo, s2
	s_cbranch_vccnz .LBB14_30
; %bb.13:
	v_sub_co_u32 v5, vcc_lo, v3, v8
	s_ashr_i32 s17, s16, 31
	v_subrev_co_ci_u32_e64 v6, null, 0, v4, vcc_lo
	s_lshl_b64 s[8:9], s[16:17], 3
	v_cmp_le_i32_e64 s2, s16, v7
	v_add_co_u32 v5, vcc_lo, v5, s8
	v_add_co_ci_u32_e64 v6, null, s9, v6, vcc_lo
	v_mul_u32_u24_e32 v9, 0x108, v7
	v_add_co_u32 v5, vcc_lo, v5, -8
	v_add_co_ci_u32_e64 v6, null, -1, v6, vcc_lo
	v_cmp_gt_i32_e32 vcc_lo, s16, v1
	v_cndmask_b32_e32 v6, v6, v4, vcc_lo
	v_cndmask_b32_e32 v5, v5, v3, vcc_lo
	s_and_saveexec_b32 s3, s2
	s_xor_b32 s2, exec_lo, s3
	s_cbranch_execz .LBB14_15
; %bb.14:
	v_mov_b32_e32 v10, 0
	v_add_nc_u32_e32 v12, v8, v9
	v_mov_b32_e32 v11, v10
	ds_write_b64 v12, v[10:11]
.LBB14_15:
	s_andn2_saveexec_b32 s2, s2
	s_cbranch_execz .LBB14_17
; %bb.16:
	global_load_dwordx2 v[10:11], v[5:6], off
	v_add_nc_u32_e32 v12, v8, v9
	s_waitcnt vmcnt(0)
	ds_write_b64 v12, v[10:11]
.LBB14_17:
	s_or_b32 exec_lo, exec_lo, s2
	v_add_nc_u32_e32 v10, 8, v7
	v_cmp_le_i32_e64 s2, s16, v10
	s_and_saveexec_b32 s3, s2
	s_xor_b32 s2, exec_lo, s3
	s_cbranch_execz .LBB14_19
; %bb.18:
	v_mov_b32_e32 v10, 0
	v_add_nc_u32_e32 v12, v9, v8
	v_mov_b32_e32 v11, v10
	ds_write_b64 v12, v[10:11] offset:2112
.LBB14_19:
	s_andn2_saveexec_b32 s3, s2
	s_cbranch_execz .LBB14_21
; %bb.20:
	s_lshl_b32 s20, s14, 3
	v_add_nc_u32_e32 v12, v9, v8
	s_ashr_i32 s21, s20, 31
	s_lshl_b64 s[20:21], s[20:21], 3
	v_add_co_u32 v10, s2, v5, s20
	v_add_co_ci_u32_e64 v11, null, s21, v6, s2
	global_load_dwordx2 v[10:11], v[10:11], off
	s_waitcnt vmcnt(0)
	ds_write_b64 v12, v[10:11] offset:2112
.LBB14_21:
	s_or_b32 exec_lo, exec_lo, s3
	v_add_nc_u32_e32 v10, 16, v7
	v_cmp_le_i32_e64 s2, s16, v10
	s_and_saveexec_b32 s3, s2
	s_xor_b32 s2, exec_lo, s3
	s_cbranch_execz .LBB14_23
; %bb.22:
	v_mov_b32_e32 v10, 0
	v_add_nc_u32_e32 v12, v9, v8
	v_mov_b32_e32 v11, v10
	ds_write_b64 v12, v[10:11] offset:4224
.LBB14_23:
	s_andn2_saveexec_b32 s3, s2
	s_cbranch_execz .LBB14_25
; %bb.24:
	s_lshl_b32 s20, s14, 4
	v_add_nc_u32_e32 v12, v9, v8
	s_ashr_i32 s21, s20, 31
	s_lshl_b64 s[20:21], s[20:21], 3
	v_add_co_u32 v10, s2, v5, s20
	v_add_co_ci_u32_e64 v11, null, s21, v6, s2
	global_load_dwordx2 v[10:11], v[10:11], off
	s_waitcnt vmcnt(0)
	ds_write_b64 v12, v[10:11] offset:4224
.LBB14_25:
	s_or_b32 exec_lo, exec_lo, s3
	v_add_nc_u32_e32 v10, 24, v7
	v_cmp_le_i32_e64 s2, s16, v10
	s_and_saveexec_b32 s3, s2
	s_xor_b32 s2, exec_lo, s3
	s_cbranch_execz .LBB14_27
; %bb.26:
	v_mov_b32_e32 v10, 0
	v_add_nc_u32_e32 v9, v9, v8
	v_mov_b32_e32 v11, v10
	ds_write_b64 v9, v[10:11] offset:6336
                                        ; implicit-def: $vgpr9
.LBB14_27:
	s_andn2_saveexec_b32 s3, s2
	s_cbranch_execz .LBB14_29
; %bb.28:
	s_mul_i32 s20, s14, 24
	v_add_nc_u32_e32 v9, v9, v8
	s_ashr_i32 s21, s20, 31
	s_lshl_b64 s[20:21], s[20:21], 3
	v_add_co_u32 v10, s2, v5, s20
	v_add_co_ci_u32_e64 v11, null, s21, v6, s2
	global_load_dwordx2 v[10:11], v[10:11], off
	s_waitcnt vmcnt(0)
	ds_write_b64 v9, v[10:11] offset:6336
.LBB14_29:
	s_or_b32 exec_lo, exec_lo, s3
	v_add_co_u32 v5, s2, v5, v8
	v_add_co_ci_u32_e64 v6, null, 0, v6, s2
	v_sub_co_u32 v5, s2, v5, s8
	v_subrev_co_ci_u32_e64 v6, null, s9, v6, s2
	v_add_co_u32 v5, s2, v5, 8
	v_add_co_ci_u32_e64 v6, null, 0, v6, s2
	v_cndmask_b32_e32 v3, v5, v3, vcc_lo
	v_cndmask_b32_e32 v4, v6, v4, vcc_lo
.LBB14_30:
	v_lshlrev_b32_e32 v5, 2, v7
	v_mul_u32_u24_e32 v6, 0x108, v1
	s_mov_b32 s2, 0
	s_waitcnt lgkmcnt(0)
	s_barrier
	v_cmp_ge_u32_e64 s3, v5, v1
	buffer_gl0_inv
                                        ; implicit-def: $vgpr10
	s_and_saveexec_b32 s8, s3
	s_xor_b32 s8, exec_lo, s8
	s_cbranch_execz .LBB14_34
; %bb.31:
	s_mov_b32 s9, exec_lo
                                        ; implicit-def: $vgpr10
	v_cmpx_eq_u32_e64 v5, v1
	s_xor_b32 s9, exec_lo, s9
; %bb.32:
	v_add_nc_u32_e32 v10, v8, v6
	s_mov_b32 s2, exec_lo
; %bb.33:
	s_or_b32 exec_lo, exec_lo, s9
	s_and_b32 s2, s2, exec_lo
.LBB14_34:
	s_or_saveexec_b32 s8, s8
	v_lshl_or_b32 v9, v1, 8, v8
	v_mov_b32_e32 v11, 0
	v_mad_u32_u24 v13, 0x420, v7, v8
	s_xor_b32 exec_lo, exec_lo, s8
	s_cbranch_execz .LBB14_36
; %bb.35:
	ds_read_b64 v[14:15], v13
	v_lshl_add_u32 v10, v5, 3, v9
	s_or_b32 s2, s2, exec_lo
	s_waitcnt lgkmcnt(0)
	v_xor_b32_e32 v11, 0x80000000, v15
	ds_write_b32 v10, v14
.LBB14_36:
	s_or_b32 exec_lo, exec_lo, s8
	s_and_saveexec_b32 s8, s2
; %bb.37:
	ds_write_b32 v10, v11 offset:4
; %bb.38:
	s_or_b32 exec_lo, exec_lo, s8
	v_or_b32_e32 v10, 1, v5
	s_mov_b32 s2, 0
                                        ; implicit-def: $vgpr11
	v_cmp_ge_u32_e64 s8, v10, v1
	s_and_saveexec_b32 s9, s8
	s_xor_b32 s9, exec_lo, s9
	s_cbranch_execz .LBB14_42
; %bb.39:
	s_mov_b32 s10, exec_lo
                                        ; implicit-def: $vgpr11
	v_cmpx_eq_u32_e64 v10, v1
; %bb.40:
	v_add_nc_u32_e32 v11, v8, v6
	s_mov_b32 s2, exec_lo
; %bb.41:
	s_or_b32 exec_lo, exec_lo, s10
	s_and_b32 s2, s2, exec_lo
.LBB14_42:
	s_or_saveexec_b32 s9, s9
	v_mov_b32_e32 v12, 0
	v_mad_u32_u24 v14, 0x108, v10, v8
	s_xor_b32 exec_lo, exec_lo, s9
	s_cbranch_execz .LBB14_44
; %bb.43:
	ds_read_b64 v[15:16], v14
	v_lshl_add_u32 v17, v5, 3, v9
	s_or_b32 s2, s2, exec_lo
	v_add_nc_u32_e32 v11, 8, v17
	s_waitcnt lgkmcnt(0)
	v_xor_b32_e32 v12, 0x80000000, v16
	ds_write_b32 v17, v15 offset:8
.LBB14_44:
	s_or_b32 exec_lo, exec_lo, s9
	s_and_saveexec_b32 s9, s2
; %bb.45:
	ds_write_b32 v11, v12 offset:4
; %bb.46:
	s_or_b32 exec_lo, exec_lo, s9
	v_or_b32_e32 v11, 2, v5
	s_mov_b32 s2, 0
                                        ; implicit-def: $vgpr12
	v_cmp_ge_u32_e64 s9, v11, v1
	s_and_saveexec_b32 s10, s9
	s_xor_b32 s10, exec_lo, s10
	s_cbranch_execnz .LBB14_104
; %bb.47:
	s_or_saveexec_b32 s10, s10
	v_mov_b32_e32 v15, 0
	s_xor_b32 exec_lo, exec_lo, s10
	s_cbranch_execnz .LBB14_107
.LBB14_48:
	s_or_b32 exec_lo, exec_lo, s10
	s_and_saveexec_b32 s10, s2
.LBB14_49:
	ds_write_b32 v12, v15 offset:4
.LBB14_50:
	s_or_b32 exec_lo, exec_lo, s10
	v_or_b32_e32 v12, 3, v5
	s_mov_b32 s2, 0
                                        ; implicit-def: $vgpr15
	v_cmp_ge_u32_e64 s10, v12, v1
	s_and_saveexec_b32 s15, s10
	s_xor_b32 s15, exec_lo, s15
	s_cbranch_execnz .LBB14_108
; %bb.51:
	s_or_saveexec_b32 s15, s15
	v_mov_b32_e32 v16, 0
	s_xor_b32 exec_lo, exec_lo, s15
	s_cbranch_execnz .LBB14_111
.LBB14_52:
	s_or_b32 exec_lo, exec_lo, s15
	s_and_saveexec_b32 s15, s2
.LBB14_53:
	ds_write_b32 v15, v16 offset:4
.LBB14_54:
	s_or_b32 exec_lo, exec_lo, s15
	v_lshlrev_b32_e32 v9, 3, v5
	s_waitcnt lgkmcnt(0)
	s_barrier
	buffer_gl0_inv
	ds_read_b64 v[23:24], v13
	ds_read_b128 v[15:18], v9 offset:9088
	ds_read2_b64 v[26:29], v14 offset1:33
	ds_read_b128 v[30:33], v9 offset:9104
	ds_read_b64 v[13:14], v14 offset:528
	v_mul_u32_u24_e32 v34, 33, v1
	v_cmp_gt_u32_e64 s2, 32, v25
	s_waitcnt lgkmcnt(0)
	s_barrier
	buffer_gl0_inv
	v_mul_f32_e32 v36, v16, v24
	v_mul_f32_e32 v24, v15, v24
	;; [unrolled: 1-line block ×5, first 2 shown]
	v_fma_f32 v15, v15, v23, -v36
	v_fmac_f32_e32 v24, v16, v23
	v_mul_f32_e32 v29, v30, v29
	v_fma_f32 v17, v17, v26, -v37
	v_fmac_f32_e32 v27, v18, v26
	v_add_f32_e32 v15, 0, v15
	v_add_f32_e32 v18, 0, v24
	v_mul_f32_e32 v16, v33, v14
	v_mul_f32_e32 v14, v32, v14
	v_fma_f32 v23, v30, v28, -v38
	v_fmac_f32_e32 v29, v31, v28
	v_add_f32_e32 v15, v15, v17
	v_add_f32_e32 v17, v18, v27
	v_lshlrev_b32_e32 v26, 3, v34
	v_fma_f32 v16, v32, v13, -v16
	v_fmac_f32_e32 v14, v33, v13
	v_add_f32_e32 v13, v15, v23
	v_add_f32_e32 v15, v17, v29
	v_mov_b32_e32 v36, 0
	v_lshl_add_u32 v27, v7, 3, v26
	v_mov_b32_e32 v37, 0
	v_add_f32_e32 v13, v13, v16
	v_add_f32_e32 v14, v15, v14
	ds_write_b64 v27, v[13:14]
	s_waitcnt lgkmcnt(0)
	s_barrier
	buffer_gl0_inv
	s_and_saveexec_b32 s15, s2
	s_cbranch_execz .LBB14_56
; %bb.55:
	ds_read2_b64 v[13:16], v26 offset1:7
	ds_read2_b64 v[28:31], v26 offset0:1 offset1:2
	ds_read2_b64 v[36:39], v26 offset0:3 offset1:4
	;; [unrolled: 1-line block ×3, first 2 shown]
	s_waitcnt lgkmcnt(2)
	v_add_f32_e32 v13, v28, v13
	v_add_f32_e32 v14, v29, v14
	v_add_f32_e32 v13, v30, v13
	v_add_f32_e32 v14, v31, v14
	s_waitcnt lgkmcnt(1)
	v_add_f32_e32 v13, v13, v36
	v_add_f32_e32 v14, v14, v37
	v_add_f32_e32 v13, v13, v38
	v_add_f32_e32 v14, v14, v39
	;; [unrolled: 5-line block ×3, first 2 shown]
	v_add_f32_e32 v36, v13, v15
	v_add_f32_e32 v37, v14, v16
.LBB14_56:
	s_or_b32 exec_lo, exec_lo, s15
	s_lshl_b32 s20, s14, 5
	v_cndmask_b32_e64 v13, 0, 1, s11
	s_ashr_i32 s21, s20, 31
	s_lshl_b64 s[20:21], s[20:21], 3
	s_barrier
	v_add_co_u32 v3, vcc_lo, v3, s20
	v_add_co_ci_u32_e64 v4, null, s21, v4, vcc_lo
	buffer_gl0_inv
	v_add_co_u32 v14, vcc_lo, 0x100, v3
	v_add_co_ci_u32_e64 v15, null, 0, v4, vcc_lo
	s_andn2_b32 vcc_lo, exec_lo, s11
	s_mov_b32 s11, -1
	s_cbranch_vccnz .LBB14_58
; %bb.57:
	s_lshl_b32 s22, s14, 3
	s_ashr_i32 s15, s14, 31
	s_ashr_i32 s23, s22, 31
	v_mad_u32_u24 v18, 0x108, v7, v8
	s_lshl_b64 s[22:23], s[22:23], 3
	s_mov_b32 s11, 0
	v_add_co_u32 v16, vcc_lo, v3, s22
	v_add_co_ci_u32_e64 v17, null, s23, v4, vcc_lo
	s_lshl_b64 s[22:23], s[14:15], 6
	v_add_co_u32 v23, vcc_lo, v16, s22
	v_add_co_ci_u32_e64 v24, null, s23, v17, vcc_lo
	v_add_co_u32 v28, vcc_lo, v23, s22
	v_add_co_ci_u32_e64 v29, null, s23, v24, vcc_lo
	s_clause 0x3
	global_load_dwordx2 v[30:31], v[3:4], off offset:256
	global_load_dwordx2 v[16:17], v[16:17], off offset:256
	;; [unrolled: 1-line block ×4, first 2 shown]
	s_waitcnt vmcnt(3)
	ds_write_b64 v18, v[30:31]
	s_waitcnt vmcnt(2)
	ds_write_b64 v18, v[16:17] offset:2112
	s_waitcnt vmcnt(1)
	ds_write_b64 v18, v[23:24] offset:4224
	;; [unrolled: 2-line block ×3, first 2 shown]
.LBB14_58:
	s_andn2_b32 vcc_lo, exec_lo, s11
	s_cbranch_vccnz .LBB14_76
; %bb.59:
	v_sub_co_u32 v3, vcc_lo, v3, v8
	s_ashr_i32 s17, s16, 31
	v_subrev_co_ci_u32_e64 v4, null, 0, v4, vcc_lo
	s_lshl_b64 s[22:23], s[16:17], 3
	v_or_b32_e32 v16, 32, v1
	v_add_co_u32 v3, vcc_lo, v3, s22
	v_add_co_ci_u32_e64 v4, null, s23, v4, vcc_lo
	s_sub_i32 s15, s16, 32
	v_add_co_u32 v3, vcc_lo, v3, -8
	v_add_co_ci_u32_e64 v4, null, -1, v4, vcc_lo
	v_cmp_gt_i32_e32 vcc_lo, s16, v16
	v_cmp_le_i32_e64 s11, s15, v7
	v_mul_u32_u24_e32 v16, 0x108, v7
	v_cndmask_b32_e32 v4, v4, v15, vcc_lo
	v_cndmask_b32_e32 v3, v3, v14, vcc_lo
	s_and_saveexec_b32 s17, s11
	s_xor_b32 s11, exec_lo, s17
	s_cbranch_execz .LBB14_61
; %bb.60:
	v_mov_b32_e32 v17, 0
	v_add_nc_u32_e32 v23, v8, v16
	v_mov_b32_e32 v18, v17
	ds_write_b64 v23, v[17:18]
.LBB14_61:
	s_andn2_saveexec_b32 s11, s11
	s_cbranch_execz .LBB14_63
; %bb.62:
	global_load_dwordx2 v[17:18], v[3:4], off
	v_add_nc_u32_e32 v23, v8, v16
	s_waitcnt vmcnt(0)
	ds_write_b64 v23, v[17:18]
.LBB14_63:
	s_or_b32 exec_lo, exec_lo, s11
	v_add_nc_u32_e32 v17, 8, v7
	v_cmp_le_i32_e64 s11, s15, v17
	s_and_saveexec_b32 s17, s11
	s_xor_b32 s11, exec_lo, s17
	s_cbranch_execz .LBB14_65
; %bb.64:
	v_mov_b32_e32 v17, 0
	v_add_nc_u32_e32 v23, v16, v8
	v_mov_b32_e32 v18, v17
	ds_write_b64 v23, v[17:18] offset:2112
.LBB14_65:
	s_andn2_saveexec_b32 s17, s11
	s_cbranch_execz .LBB14_67
; %bb.66:
	s_lshl_b32 s28, s14, 3
	v_add_nc_u32_e32 v23, v16, v8
	s_ashr_i32 s29, s28, 31
	s_lshl_b64 s[28:29], s[28:29], 3
	v_add_co_u32 v17, s11, v3, s28
	v_add_co_ci_u32_e64 v18, null, s29, v4, s11
	global_load_dwordx2 v[17:18], v[17:18], off
	s_waitcnt vmcnt(0)
	ds_write_b64 v23, v[17:18] offset:2112
.LBB14_67:
	s_or_b32 exec_lo, exec_lo, s17
	v_add_nc_u32_e32 v17, 16, v7
	v_cmp_le_i32_e64 s11, s15, v17
	s_and_saveexec_b32 s17, s11
	s_xor_b32 s11, exec_lo, s17
	s_cbranch_execz .LBB14_69
; %bb.68:
	v_mov_b32_e32 v17, 0
	v_add_nc_u32_e32 v23, v16, v8
	v_mov_b32_e32 v18, v17
	ds_write_b64 v23, v[17:18] offset:4224
.LBB14_69:
	s_andn2_saveexec_b32 s17, s11
	s_cbranch_execz .LBB14_71
; %bb.70:
	s_lshl_b32 s28, s14, 4
	v_add_nc_u32_e32 v23, v16, v8
	s_ashr_i32 s29, s28, 31
	s_lshl_b64 s[28:29], s[28:29], 3
	v_add_co_u32 v17, s11, v3, s28
	v_add_co_ci_u32_e64 v18, null, s29, v4, s11
	global_load_dwordx2 v[17:18], v[17:18], off
	s_waitcnt vmcnt(0)
	ds_write_b64 v23, v[17:18] offset:4224
.LBB14_71:
	s_or_b32 exec_lo, exec_lo, s17
	v_add_nc_u32_e32 v17, 24, v7
	v_cmp_le_i32_e64 s11, s15, v17
	s_and_saveexec_b32 s15, s11
	s_xor_b32 s11, exec_lo, s15
	s_cbranch_execz .LBB14_73
; %bb.72:
	v_mov_b32_e32 v17, 0
	v_add_nc_u32_e32 v16, v16, v8
	v_mov_b32_e32 v18, v17
	ds_write_b64 v16, v[17:18] offset:6336
                                        ; implicit-def: $vgpr16
.LBB14_73:
	s_andn2_saveexec_b32 s15, s11
	s_cbranch_execz .LBB14_75
; %bb.74:
	s_mul_i32 s28, s14, 24
	v_add_nc_u32_e32 v16, v16, v8
	s_ashr_i32 s29, s28, 31
	s_lshl_b64 s[28:29], s[28:29], 3
	v_add_co_u32 v17, s11, v3, s28
	v_add_co_ci_u32_e64 v18, null, s29, v4, s11
	global_load_dwordx2 v[17:18], v[17:18], off
	s_waitcnt vmcnt(0)
	ds_write_b64 v16, v[17:18] offset:6336
.LBB14_75:
	s_or_b32 exec_lo, exec_lo, s15
	v_add_co_u32 v3, s11, v3, v8
	v_add_co_ci_u32_e64 v4, null, 0, v4, s11
	v_sub_co_u32 v3, s11, v3, s22
	v_subrev_co_ci_u32_e64 v4, null, s23, v4, s11
	v_add_co_u32 v3, s11, 0x108, v3
	v_add_co_ci_u32_e64 v4, null, 0, v4, s11
	v_cndmask_b32_e32 v14, v3, v14, vcc_lo
	v_cndmask_b32_e32 v15, v4, v15, vcc_lo
.LBB14_76:
	v_mul_u32_u24_e32 v3, 0x420, v7
	v_add_nc_u32_e32 v9, 0x2380, v9
	v_mul_u32_u24_e32 v4, 0x108, v10
	s_mov_b32 s11, 0
	s_waitcnt lgkmcnt(0)
	s_barrier
	buffer_gl0_inv
                                        ; implicit-def: $vgpr16
	s_and_saveexec_b32 s15, s3
	s_xor_b32 s3, exec_lo, s15
	s_cbranch_execz .LBB14_80
; %bb.77:
	s_mov_b32 s15, exec_lo
                                        ; implicit-def: $vgpr16
	v_cmpx_eq_u32_e64 v5, v1
	s_xor_b32 s15, exec_lo, s15
; %bb.78:
	s_mov_b32 s11, exec_lo
	v_add_nc_u32_e32 v16, v8, v6
; %bb.79:
	s_or_b32 exec_lo, exec_lo, s15
	s_and_b32 s11, s11, exec_lo
.LBB14_80:
	s_or_saveexec_b32 s3, s3
	v_mov_b32_e32 v17, 0
	v_add_nc_u32_e32 v3, v8, v3
	s_xor_b32 exec_lo, exec_lo, s3
	s_cbranch_execz .LBB14_82
; %bb.81:
	ds_read_b64 v[23:24], v3
	v_lshl_add_u32 v16, v5, 3, v26
	s_or_b32 s11, s11, exec_lo
	s_waitcnt lgkmcnt(0)
	v_xor_b32_e32 v17, 0x80000000, v24
	ds_write_b32 v16, v23
.LBB14_82:
	s_or_b32 exec_lo, exec_lo, s3
	s_and_saveexec_b32 s3, s11
; %bb.83:
	ds_write_b32 v16, v17 offset:4
; %bb.84:
	s_or_b32 exec_lo, exec_lo, s3
	s_mov_b32 s3, 0
                                        ; implicit-def: $vgpr16
	s_and_saveexec_b32 s11, s8
	s_xor_b32 s8, exec_lo, s11
	s_cbranch_execz .LBB14_88
; %bb.85:
	s_mov_b32 s11, exec_lo
                                        ; implicit-def: $vgpr16
	v_cmpx_eq_u32_e64 v10, v1
; %bb.86:
	v_add_nc_u32_e32 v16, v8, v6
	s_mov_b32 s3, exec_lo
; %bb.87:
	s_or_b32 exec_lo, exec_lo, s11
	s_and_b32 s3, s3, exec_lo
.LBB14_88:
	s_or_saveexec_b32 s8, s8
	v_mov_b32_e32 v10, 0
	v_add_nc_u32_e32 v4, v8, v4
	s_xor_b32 exec_lo, exec_lo, s8
	s_cbranch_execz .LBB14_90
; %bb.89:
	ds_read_b64 v[17:18], v4
	v_lshl_add_u32 v23, v5, 3, v26
	s_or_b32 s3, s3, exec_lo
	v_add_nc_u32_e32 v16, 8, v23
	s_waitcnt lgkmcnt(0)
	v_xor_b32_e32 v10, 0x80000000, v18
	ds_write_b32 v23, v17 offset:8
.LBB14_90:
	s_or_b32 exec_lo, exec_lo, s8
	s_and_saveexec_b32 s8, s3
; %bb.91:
	ds_write_b32 v16, v10 offset:4
; %bb.92:
	s_or_b32 exec_lo, exec_lo, s8
	s_mov_b32 s3, 0
                                        ; implicit-def: $vgpr10
	s_and_saveexec_b32 s8, s9
	s_xor_b32 s8, exec_lo, s8
	s_cbranch_execnz .LBB14_112
; %bb.93:
	s_or_saveexec_b32 s8, s8
	v_mov_b32_e32 v11, 0
	s_xor_b32 exec_lo, exec_lo, s8
	s_cbranch_execnz .LBB14_115
.LBB14_94:
	s_or_b32 exec_lo, exec_lo, s8
	s_and_saveexec_b32 s8, s3
.LBB14_95:
	ds_write_b32 v10, v11 offset:4
.LBB14_96:
	s_or_b32 exec_lo, exec_lo, s8
	s_mov_b32 s3, 0
                                        ; implicit-def: $vgpr10
	s_and_saveexec_b32 s8, s10
	s_xor_b32 s8, exec_lo, s8
	s_cbranch_execnz .LBB14_116
; %bb.97:
	s_or_saveexec_b32 s8, s8
	v_mov_b32_e32 v6, 0
	s_xor_b32 exec_lo, exec_lo, s8
	s_cbranch_execnz .LBB14_119
.LBB14_98:
	s_or_b32 exec_lo, exec_lo, s8
	s_and_saveexec_b32 s8, s3
.LBB14_99:
	ds_write_b32 v10, v6 offset:4
.LBB14_100:
	s_or_b32 exec_lo, exec_lo, s8
	s_waitcnt lgkmcnt(0)
	s_barrier
	buffer_gl0_inv
	ds_read_b64 v[10:11], v3
	ds_read_b128 v[28:31], v9 offset:256
	ds_read2_b64 v[38:41], v4 offset1:33
	ds_read_b128 v[42:45], v9 offset:272
	ds_read_b64 v[3:4], v4 offset:528
	v_cmp_eq_u32_e64 s3, 1, v7
	s_waitcnt lgkmcnt(0)
	s_barrier
	buffer_gl0_inv
	v_mul_f32_e32 v6, v29, v11
	v_mul_f32_e32 v11, v28, v11
	;; [unrolled: 1-line block ×5, first 2 shown]
	v_fma_f32 v6, v28, v10, -v6
	v_fmac_f32_e32 v11, v29, v10
	v_mul_f32_e32 v18, v42, v41
	v_fma_f32 v12, v30, v38, -v12
	v_fmac_f32_e32 v16, v31, v38
	v_add_f32_e32 v6, 0, v6
	v_add_f32_e32 v11, 0, v11
	v_mul_f32_e32 v10, v45, v4
	v_mul_f32_e32 v4, v44, v4
	v_fma_f32 v17, v42, v40, -v17
	v_fmac_f32_e32 v18, v43, v40
	v_add_f32_e32 v6, v6, v12
	v_add_f32_e32 v11, v11, v16
	v_fma_f32 v10, v44, v3, -v10
	v_fmac_f32_e32 v4, v45, v3
	v_add_f32_e32 v3, v6, v17
	v_add_f32_e32 v6, v11, v18
	;; [unrolled: 1-line block ×4, first 2 shown]
	ds_write_b64 v27, v[3:4]
	s_waitcnt lgkmcnt(0)
	s_barrier
	buffer_gl0_inv
	s_and_saveexec_b32 s8, s3
	s_cbranch_execz .LBB14_102
; %bb.101:
	ds_read2_b64 v[28:31], v26 offset1:7
	ds_read2_b64 v[36:39], v26 offset0:1 offset1:2
	ds_read2_b64 v[40:43], v26 offset0:3 offset1:4
	;; [unrolled: 1-line block ×3, first 2 shown]
	s_waitcnt lgkmcnt(2)
	v_add_f32_e32 v3, v36, v28
	v_add_f32_e32 v4, v37, v29
	v_add_f32_e32 v3, v38, v3
	v_add_f32_e32 v4, v39, v4
	s_waitcnt lgkmcnt(1)
	v_add_f32_e32 v3, v3, v40
	v_add_f32_e32 v4, v4, v41
	v_add_f32_e32 v3, v3, v42
	v_add_f32_e32 v4, v4, v43
	;; [unrolled: 5-line block ×3, first 2 shown]
	v_add_f32_e32 v36, v3, v30
	v_add_f32_e32 v37, v4, v31
.LBB14_102:
	s_or_b32 exec_lo, exec_lo, s8
	v_cmp_ne_u32_e32 vcc_lo, 1, v13
	v_sub_co_u32 v23, s8, v14, s20
	v_subrev_co_ci_u32_e64 v24, null, s21, v15, s8
	s_barrier
	buffer_gl0_inv
	s_cbranch_vccnz .LBB14_120
; %bb.103:
	s_lshl_b32 s8, s14, 3
	s_ashr_i32 s15, s14, 31
	s_ashr_i32 s9, s8, 31
	global_load_dwordx2 v[10:11], v[23:24], off
	s_lshl_b64 s[8:9], s[8:9], 3
	v_mul_u32_u24_e32 v6, 0x108, v7
	v_add_co_u32 v3, vcc_lo, v23, s8
	v_add_co_ci_u32_e64 v4, null, s9, v24, vcc_lo
	s_lshl_b64 s[8:9], s[14:15], 6
	v_add_co_u32 v12, vcc_lo, v3, s8
	v_add_co_ci_u32_e64 v13, null, s9, v4, vcc_lo
	v_add_co_u32 v14, vcc_lo, v12, s8
	v_add_co_ci_u32_e64 v15, null, s9, v13, vcc_lo
	s_clause 0x2
	global_load_dwordx2 v[16:17], v[3:4], off
	global_load_dwordx2 v[28:29], v[12:13], off
	;; [unrolled: 1-line block ×3, first 2 shown]
	s_movk_i32 s8, 0x840
	s_movk_i32 s9, 0x1080
	v_mad_u32_u24 v4, 0x108, v7, s8
	s_movk_i32 s8, 0x18c0
	v_mad_u32_u24 v12, 0x108, v7, v8
	v_mad_u32_u24 v13, 0x108, v7, s8
	;; [unrolled: 1-line block ×3, first 2 shown]
	v_add_nc_u32_e32 v18, v8, v4
	v_add_nc_u32_e32 v31, v8, v13
	;; [unrolled: 1-line block ×3, first 2 shown]
	s_waitcnt vmcnt(3)
	ds_write_b64 v12, v[10:11]
	v_add_nc_u32_e32 v10, 8, v7
	v_add_nc_u32_e32 v11, 16, v7
	;; [unrolled: 1-line block ×3, first 2 shown]
	s_waitcnt vmcnt(2)
	ds_write_b64 v18, v[16:17]
	s_waitcnt vmcnt(1)
	ds_write_b64 v30, v[28:29]
	s_waitcnt vmcnt(0)
	ds_write_b64 v31, v[14:15]
	s_cbranch_execz .LBB14_121
	s_branch .LBB14_138
.LBB14_104:
	s_mov_b32 s15, exec_lo
                                        ; implicit-def: $vgpr12
	v_cmpx_eq_u32_e64 v11, v1
; %bb.105:
	v_add_nc_u32_e32 v12, v8, v6
	s_mov_b32 s2, exec_lo
; %bb.106:
	s_or_b32 exec_lo, exec_lo, s15
	s_and_b32 s2, s2, exec_lo
	s_or_saveexec_b32 s10, s10
	v_mov_b32_e32 v15, 0
	s_xor_b32 exec_lo, exec_lo, s10
	s_cbranch_execz .LBB14_48
.LBB14_107:
	v_mad_u32_u24 v12, 0x108, v11, v8
	v_lshl_add_u32 v18, v5, 3, v9
	s_or_b32 s2, s2, exec_lo
	ds_read_b64 v[16:17], v12
	v_add_nc_u32_e32 v12, 16, v18
	s_waitcnt lgkmcnt(0)
	v_xor_b32_e32 v15, 0x80000000, v17
	ds_write_b32 v18, v16 offset:16
	s_or_b32 exec_lo, exec_lo, s10
	s_and_saveexec_b32 s10, s2
	s_cbranch_execnz .LBB14_49
	s_branch .LBB14_50
.LBB14_108:
	s_mov_b32 s17, exec_lo
                                        ; implicit-def: $vgpr15
	v_cmpx_eq_u32_e64 v12, v1
; %bb.109:
	v_add_nc_u32_e32 v15, v8, v6
	s_mov_b32 s2, exec_lo
; %bb.110:
	s_or_b32 exec_lo, exec_lo, s17
	s_and_b32 s2, s2, exec_lo
                                        ; implicit-def: $vgpr9
	s_or_saveexec_b32 s15, s15
	v_mov_b32_e32 v16, 0
	s_xor_b32 exec_lo, exec_lo, s15
	s_cbranch_execz .LBB14_52
.LBB14_111:
	v_mad_u32_u24 v15, 0x108, v12, v8
	v_lshl_add_u32 v9, v5, 3, v9
	s_or_b32 s2, s2, exec_lo
	ds_read_b64 v[17:18], v15
	v_add_nc_u32_e32 v15, 24, v9
	s_waitcnt lgkmcnt(0)
	v_xor_b32_e32 v16, 0x80000000, v18
	ds_write_b32 v9, v17 offset:24
	s_or_b32 exec_lo, exec_lo, s15
	s_and_saveexec_b32 s15, s2
	s_cbranch_execnz .LBB14_53
	s_branch .LBB14_54
.LBB14_112:
	s_mov_b32 s9, exec_lo
                                        ; implicit-def: $vgpr10
	v_cmpx_eq_u32_e64 v11, v1
; %bb.113:
	v_add_nc_u32_e32 v10, v8, v6
	s_mov_b32 s3, exec_lo
; %bb.114:
	s_or_b32 exec_lo, exec_lo, s9
	s_and_b32 s3, s3, exec_lo
	s_or_saveexec_b32 s8, s8
	v_mov_b32_e32 v11, 0
	s_xor_b32 exec_lo, exec_lo, s8
	s_cbranch_execz .LBB14_94
.LBB14_115:
	ds_read_b64 v[16:17], v4 offset:264
	v_lshl_add_u32 v18, v5, 3, v26
	s_or_b32 s3, s3, exec_lo
	v_add_nc_u32_e32 v10, 16, v18
	s_waitcnt lgkmcnt(0)
	v_xor_b32_e32 v11, 0x80000000, v17
	ds_write_b32 v18, v16 offset:16
	s_or_b32 exec_lo, exec_lo, s8
	s_and_saveexec_b32 s8, s3
	s_cbranch_execnz .LBB14_95
	s_branch .LBB14_96
.LBB14_116:
	s_mov_b32 s9, exec_lo
                                        ; implicit-def: $vgpr10
	v_cmpx_eq_u32_e64 v12, v1
; %bb.117:
	v_add_nc_u32_e32 v10, v8, v6
	s_mov_b32 s3, exec_lo
; %bb.118:
	s_or_b32 exec_lo, exec_lo, s9
	s_and_b32 s3, s3, exec_lo
	s_or_saveexec_b32 s8, s8
	v_mov_b32_e32 v6, 0
	s_xor_b32 exec_lo, exec_lo, s8
	s_cbranch_execz .LBB14_98
.LBB14_119:
	ds_read_b64 v[11:12], v4 offset:528
	v_lshl_add_u32 v16, v5, 3, v26
	s_or_b32 s3, s3, exec_lo
	v_add_nc_u32_e32 v10, 24, v16
	s_waitcnt lgkmcnt(0)
	v_xor_b32_e32 v6, 0x80000000, v12
	ds_write_b32 v16, v11 offset:24
	s_or_b32 exec_lo, exec_lo, s8
	s_and_saveexec_b32 s8, s3
	s_cbranch_execnz .LBB14_99
	s_branch .LBB14_100
.LBB14_120:
                                        ; implicit-def: $vgpr6
                                        ; implicit-def: $vgpr10
                                        ; implicit-def: $vgpr4
                                        ; implicit-def: $vgpr11
                                        ; implicit-def: $vgpr3
                                        ; implicit-def: $vgpr12
                                        ; implicit-def: $vgpr13
.LBB14_121:
	v_sub_co_u32 v3, vcc_lo, v23, v8
	s_ashr_i32 s17, s16, 31
	v_subrev_co_ci_u32_e64 v4, null, 0, v24, vcc_lo
	s_lshl_b64 s[10:11], s[16:17], 3
	v_or_b32_e32 v1, 32, v1
	v_add_co_u32 v3, vcc_lo, v3, s10
	v_add_co_ci_u32_e64 v4, null, s11, v4, vcc_lo
	v_cmp_le_i32_e64 s8, s16, v7
	v_add_co_u32 v3, vcc_lo, 0xfffffef8, v3
	v_add_co_ci_u32_e64 v4, null, -1, v4, vcc_lo
	v_cmp_gt_i32_e32 vcc_lo, s16, v1
	v_mul_u32_u24_e32 v6, 0x108, v7
	v_cndmask_b32_e32 v4, v4, v24, vcc_lo
	v_cndmask_b32_e32 v3, v3, v23, vcc_lo
	s_and_saveexec_b32 s9, s8
	s_xor_b32 s8, exec_lo, s9
	s_cbranch_execz .LBB14_123
; %bb.122:
	v_mov_b32_e32 v10, 0
	v_add_nc_u32_e32 v1, v8, v6
	v_mov_b32_e32 v11, v10
	ds_write_b64 v1, v[10:11]
.LBB14_123:
	s_andn2_saveexec_b32 s8, s8
	s_cbranch_execz .LBB14_125
; %bb.124:
	global_load_dwordx2 v[10:11], v[3:4], off
	v_add_nc_u32_e32 v1, v8, v6
	s_waitcnt vmcnt(0)
	ds_write_b64 v1, v[10:11]
.LBB14_125:
	s_or_b32 exec_lo, exec_lo, s8
	v_add_nc_u32_e32 v10, 8, v7
	v_cmp_le_i32_e64 s8, s16, v10
	s_and_saveexec_b32 s9, s8
	s_xor_b32 s8, exec_lo, s9
	s_cbranch_execz .LBB14_127
; %bb.126:
	v_mov_b32_e32 v11, 0
	v_add_nc_u32_e32 v1, v6, v8
	v_mov_b32_e32 v12, v11
	ds_write_b64 v1, v[11:12] offset:2112
.LBB14_127:
	s_andn2_saveexec_b32 s9, s8
	s_cbranch_execz .LBB14_129
; %bb.128:
	s_lshl_b32 s20, s14, 3
	v_add_nc_u32_e32 v1, v6, v8
	s_ashr_i32 s21, s20, 31
	s_lshl_b64 s[20:21], s[20:21], 3
	v_add_co_u32 v11, s8, v3, s20
	v_add_co_ci_u32_e64 v12, null, s21, v4, s8
	global_load_dwordx2 v[11:12], v[11:12], off
	s_waitcnt vmcnt(0)
	ds_write_b64 v1, v[11:12] offset:2112
.LBB14_129:
	s_or_b32 exec_lo, exec_lo, s9
	v_add_nc_u32_e32 v11, 16, v7
	v_cmp_le_i32_e64 s8, s16, v11
	s_and_saveexec_b32 s9, s8
	s_xor_b32 s8, exec_lo, s9
	s_cbranch_execz .LBB14_131
; %bb.130:
	v_mov_b32_e32 v12, 0
	v_add_nc_u32_e32 v1, v6, v8
	v_mov_b32_e32 v13, v12
	ds_write_b64 v1, v[12:13] offset:4224
.LBB14_131:
	s_andn2_saveexec_b32 s9, s8
	s_cbranch_execz .LBB14_133
; %bb.132:
	s_lshl_b32 s20, s14, 4
	v_add_nc_u32_e32 v1, v6, v8
	s_ashr_i32 s21, s20, 31
	s_lshl_b64 s[20:21], s[20:21], 3
	v_add_co_u32 v12, s8, v3, s20
	v_add_co_ci_u32_e64 v13, null, s21, v4, s8
	global_load_dwordx2 v[12:13], v[12:13], off
	s_waitcnt vmcnt(0)
	ds_write_b64 v1, v[12:13] offset:4224
.LBB14_133:
	s_or_b32 exec_lo, exec_lo, s9
	v_add_nc_u32_e32 v12, 24, v7
                                        ; implicit-def: $vgpr13
	v_cmp_le_i32_e64 s8, s16, v12
	s_and_saveexec_b32 s9, s8
	s_xor_b32 s8, exec_lo, s9
	s_cbranch_execz .LBB14_135
; %bb.134:
	v_add_nc_u32_e32 v13, 0x18c0, v6
	v_mov_b32_e32 v14, 0
	v_add_nc_u32_e32 v1, v8, v13
	v_mov_b32_e32 v15, v14
	ds_write_b64 v1, v[14:15]
.LBB14_135:
	s_andn2_saveexec_b32 s9, s8
	s_cbranch_execz .LBB14_137
; %bb.136:
	s_mul_i32 s20, s14, 24
	s_ashr_i32 s21, s20, 31
	s_lshl_b64 s[20:21], s[20:21], 3
	v_add_co_u32 v13, s8, v3, s20
	v_add_co_ci_u32_e64 v14, null, s21, v4, s8
	global_load_dwordx2 v[14:15], v[13:14], off
	v_add_nc_u32_e32 v13, 0x18c0, v6
	v_add_nc_u32_e32 v1, v8, v13
	s_waitcnt vmcnt(0)
	ds_write_b64 v1, v[14:15]
.LBB14_137:
	s_or_b32 exec_lo, exec_lo, s9
	v_add_co_u32 v1, s8, v3, v8
	v_add_co_ci_u32_e64 v3, null, 0, v4, s8
	v_add_nc_u32_e32 v4, 0x840, v6
	v_sub_co_u32 v1, s8, v1, s10
	v_subrev_co_ci_u32_e64 v3, null, s11, v3, s8
	v_add_co_u32 v1, s8, 0x108, v1
	v_add_co_ci_u32_e64 v3, null, 0, v3, s8
	v_cndmask_b32_e32 v23, v1, v23, vcc_lo
	v_cndmask_b32_e32 v24, v3, v24, vcc_lo
	v_add_nc_u32_e32 v3, 0x1080, v6
.LBB14_138:
	v_add_nc_u32_e32 v1, v8, v6
	v_lshlrev_b32_e32 v6, 3, v7
	v_add_nc_u32_e32 v4, v8, v4
	v_lshlrev_b32_e32 v7, 3, v10
	v_add_nc_u32_e32 v3, v8, v3
	s_waitcnt lgkmcnt(0)
	s_barrier
	buffer_gl0_inv
	v_lshlrev_b32_e32 v10, 3, v11
	v_add_nc_u32_e32 v8, v8, v13
	v_lshlrev_b32_e32 v11, 3, v12
	ds_read_b64 v[28:29], v1
	ds_read_b64 v[30:31], v6 offset:9088
	ds_read_b64 v[32:33], v4
	ds_read_b64 v[38:39], v7 offset:9088
	;; [unrolled: 2-line block ×3, first 2 shown]
	ds_read2_b32 v[44:45], v8 offset1:1
	ds_read_b64 v[46:47], v11 offset:9088
	v_lshl_add_u32 v1, v5, 3, v26
	ds_read_b128 v[11:14], v9 offset:256
	ds_read_b128 v[3:6], v9 offset:272
	ds_read2_b64 v[15:18], v1 offset1:1
	ds_read2_b64 v[7:10], v1 offset0:2 offset1:3
	s_waitcnt lgkmcnt(0)
	s_barrier
	buffer_gl0_inv
	v_mul_f32_e32 v1, v31, v29
	v_mul_f32_e32 v29, v30, v29
	;; [unrolled: 1-line block ×5, first 2 shown]
	v_fma_f32 v1, v30, v28, -v1
	v_fmac_f32_e32 v29, v31, v28
	v_mul_f32_e32 v28, v42, v41
	v_fma_f32 v30, v38, v32, -v34
	v_fmac_f32_e32 v33, v39, v32
	v_add_f32_e32 v1, 0, v1
	v_add_f32_e32 v29, 0, v29
	v_mul_f32_e32 v49, v47, v45
	v_mul_f32_e32 v31, v46, v45
	v_fma_f32 v32, v42, v40, -v48
	v_fmac_f32_e32 v28, v43, v40
	v_add_f32_e32 v1, v1, v30
	v_add_f32_e32 v29, v29, v33
	v_fma_f32 v30, v46, v44, -v49
	v_fmac_f32_e32 v31, v47, v44
	v_add_f32_e32 v1, v1, v32
	v_add_f32_e32 v29, v29, v28
	;; [unrolled: 1-line block ×4, first 2 shown]
	ds_write_b64 v27, v[28:29]
	s_waitcnt lgkmcnt(0)
	s_barrier
	buffer_gl0_inv
	s_and_saveexec_b32 s8, s3
	s_cbranch_execz .LBB14_140
; %bb.139:
	ds_read2_b64 v[28:31], v26 offset1:1
	ds_read2_b64 v[38:41], v26 offset0:2 offset1:3
	ds_read2_b64 v[42:45], v26 offset0:4 offset1:5
	s_waitcnt lgkmcnt(2)
	v_add_f32_e32 v1, v36, v28
	v_add_f32_e32 v28, v37, v29
	;; [unrolled: 1-line block ×4, first 2 shown]
	ds_read2_b64 v[28:31], v26 offset0:6 offset1:7
	s_waitcnt lgkmcnt(2)
	v_add_f32_e32 v1, v1, v38
	v_add_f32_e32 v32, v32, v39
	v_add_f32_e32 v1, v1, v40
	v_add_f32_e32 v32, v32, v41
	s_waitcnt lgkmcnt(1)
	v_add_f32_e32 v1, v1, v42
	v_add_f32_e32 v32, v32, v43
	v_add_f32_e32 v1, v1, v44
	v_add_f32_e32 v32, v32, v45
	;; [unrolled: 5-line block ×3, first 2 shown]
.LBB14_140:
	s_or_b32 exec_lo, exec_lo, s8
	v_mul_f32_e32 v1, v16, v12
	v_mul_f32_e32 v16, v16, v11
	;; [unrolled: 1-line block ×5, first 2 shown]
	v_fmac_f32_e32 v1, v15, v11
	v_fma_f32 v11, v15, v12, -v16
	v_mul_f32_e32 v8, v8, v3
	v_fmac_f32_e32 v28, v17, v13
	v_fma_f32 v13, v17, v14, -v18
	v_add_f32_e32 v1, 0, v1
	v_add_f32_e32 v11, 0, v11
	v_mul_f32_e32 v12, v10, v6
	v_mul_f32_e32 v10, v10, v5
	v_fmac_f32_e32 v29, v7, v3
	v_add_f32_e32 v1, v1, v28
	v_fma_f32 v3, v7, v4, -v8
	v_add_f32_e32 v4, v11, v13
	v_fmac_f32_e32 v12, v9, v5
	v_fma_f32 v5, v9, v6, -v10
	v_add_f32_e32 v1, v1, v29
	v_add_f32_e32 v4, v4, v3
	s_barrier
	buffer_gl0_inv
	v_add_f32_e32 v3, v1, v12
	v_add_f32_e32 v4, v4, v5
	ds_write_b64 v27, v[3:4]
	s_waitcnt lgkmcnt(0)
	s_barrier
	buffer_gl0_inv
	s_and_saveexec_b32 s3, s2
	s_cbranch_execz .LBB14_142
; %bb.141:
	ds_read2_b64 v[3:6], v26 offset1:1
	ds_read2_b64 v[7:10], v26 offset0:2 offset1:3
	ds_read2_b64 v[11:14], v26 offset0:4 offset1:5
	s_waitcnt lgkmcnt(2)
	v_add_f32_e32 v1, v36, v3
	v_add_f32_e32 v3, v37, v4
	;; [unrolled: 1-line block ×4, first 2 shown]
	ds_read2_b64 v[3:6], v26 offset0:6 offset1:7
	s_waitcnt lgkmcnt(2)
	v_add_f32_e32 v1, v1, v7
	v_add_f32_e32 v7, v15, v8
	v_add_f32_e32 v1, v1, v9
	v_add_f32_e32 v7, v7, v10
	s_waitcnt lgkmcnt(1)
	v_add_f32_e32 v1, v1, v11
	v_add_f32_e32 v7, v7, v12
	v_add_f32_e32 v1, v1, v13
	v_add_f32_e32 v7, v7, v14
	;; [unrolled: 5-line block ×3, first 2 shown]
.LBB14_142:
	s_or_b32 exec_lo, exec_lo, s3
	s_load_dwordx2 s[2:3], s[4:5], 0x68
	s_mul_hi_u32 s4, s25, s7
	s_mul_i32 s27, s27, s7
	s_mul_i32 s5, s25, s7
	s_add_i32 s4, s4, s27
	s_mul_hi_u32 s7, s5, s26
	s_mul_i32 s8, s4, s26
	s_mul_i32 s4, s5, s26
	s_add_i32 s5, s7, s8
	s_mul_i32 s8, s25, s6
	s_lshl_b64 s[4:5], s[4:5], 3
	v_cmp_le_i32_e32 vcc_lo, s16, v0
	v_lshlrev_b32_e32 v72, 3, v0
	s_waitcnt lgkmcnt(0)
	s_barrier
	buffer_gl0_inv
	s_add_u32 s4, s2, s4
	s_addc_u32 s5, s3, s5
	s_ashr_i32 s9, s8, 31
	s_lshl_b64 s[2:3], s[8:9], 3
	s_add_u32 s7, s4, s2
	s_addc_u32 s10, s5, s3
	s_and_b32 vcc_lo, s13, vcc_lo
	s_cmp_lt_i32 s6, 1
	s_cbranch_scc1 .LBB14_149
; %bb.143:
	v_mul_lo_u32 v1, v2, s14
	v_sub_co_u32 v7, s2, v23, s18
	v_subrev_co_ci_u32_e64 v8, null, s19, v24, s2
	s_ashr_i32 s17, s16, 31
	v_sub_co_u32 v7, s2, v7, v21
	v_lshl_add_u32 v3, v1, 2, v0
	v_sub_co_ci_u32_e64 v8, null, v8, v22, s2
	s_lshl_b64 s[8:9], s[16:17], 3
	v_lshrrev_b32_e32 v5, 4, v25
	v_ashrrev_i32_e32 v4, 31, v3
	v_and_b32_e32 v6, 15, v0
	s_mul_i32 s4, s24, s12
	v_mov_b32_e32 v1, 0
	s_ashr_i32 s5, s4, 31
	v_lshlrev_b64 v[3:4], 3, v[3:4]
	s_lshl_b64 s[4:5], s[4:5], 3
	v_add_nc_u32_e32 v75, 0x2180, v72
	v_lshl_add_u32 v76, v2, 5, 0x2180
	v_add_nc_u32_e32 v77, 0x2380, v72
	v_mad_u32_u24 v78, 0x860, v2, v72
	v_add_co_u32 v3, s2, v7, v3
	v_add_co_ci_u32_e64 v4, null, v8, v4, s2
	s_ashr_i32 s15, s14, 31
	v_sub_co_u32 v7, s2, v3, v72
	v_subrev_co_ci_u32_e64 v8, null, 0, v4, s2
	s_lshl_b32 s11, s24, 6
	v_add_co_u32 v7, s2, v7, s8
	v_add_co_ci_u32_e64 v8, null, s9, v8, s2
	v_add_co_u32 v3, s2, 0xffffff00, v3
	v_add_co_ci_u32_e64 v4, null, -1, v4, s2
	v_add_co_u32 v7, s2, 0xfffffef8, v7
	v_add_co_ci_u32_e64 v8, null, -1, v8, s2
	v_sub_co_u32 v73, s2, v19, s4
	v_cndmask_b32_e32 v3, v3, v7, vcc_lo
	v_cndmask_b32_e32 v4, v4, v8, vcc_lo
	v_and_b32_e32 v7, 48, v0
	v_lshlrev_b32_e32 v8, 5, v5
	v_mul_i32_i24_e32 v5, 0xffffffe8, v5
	v_subrev_co_ci_u32_e64 v74, null, s5, v20, s2
	v_lshlrev_b32_e32 v7, 3, v7
	v_mad_u32_u24 v79, 0x218, v6, v8
	v_or_b32_e32 v8, 0x78, v72
	v_cmp_gt_u32_e64 s2, 64, v25
	s_lshl_b64 s[4:5], s[14:15], 3
	v_mad_u32_u24 v80, 0x218, v6, v7
	v_add_nc_u32_e32 v82, v79, v5
	v_mad_u32_u24 v81, 0x218, v6, v8
	s_mul_hi_i32 s12, s14, 0x68
	s_mul_i32 s13, s14, 0x68
	s_mov_b32 s8, 0
	s_branch .LBB14_145
.LBB14_144:                             ;   in Loop: Header=BB14_145 Depth=1
	s_or_b32 exec_lo, exec_lo, s9
	v_mul_f32_e32 v83, v39, v4
	v_mul_f32_e32 v4, v38, v4
	v_mul_f32_e32 v84, v43, v6
	v_mul_f32_e32 v6, v42, v6
	v_mul_f32_e32 v85, v45, v8
	v_fma_f32 v38, v38, v3, -v83
	v_fmac_f32_e32 v4, v39, v3
	v_fma_f32 v42, v42, v5, -v84
	v_mul_f32_e32 v8, v44, v8
	v_mul_f32_e32 v83, v41, v10
	v_add_f32_e32 v36, v36, v38
	v_fma_f32 v3, v44, v7, -v85
	v_fmac_f32_e32 v6, v43, v5
	v_add_f32_e32 v4, v37, v4
	v_mul_f32_e32 v10, v40, v10
	v_add_f32_e32 v36, v36, v42
	v_mul_f32_e32 v38, v53, v16
	v_fma_f32 v5, v40, v9, -v83
	v_fmac_f32_e32 v8, v45, v7
	v_add_f32_e32 v4, v4, v6
	v_add_f32_e32 v3, v36, v3
	v_mul_f32_e32 v16, v52, v16
	v_mul_f32_e32 v39, v51, v18
	v_fma_f32 v6, v52, v15, -v38
	v_fmac_f32_e32 v10, v41, v9
	v_add_f32_e32 v3, v3, v5
	v_add_f32_e32 v4, v4, v8
	v_mul_f32_e32 v18, v50, v18
	v_mul_f32_e32 v5, v49, v12
	v_fma_f32 v7, v50, v17, -v39
	v_add_f32_e32 v3, v3, v6
	v_fmac_f32_e32 v16, v53, v15
	v_add_f32_e32 v4, v4, v10
	v_mul_f32_e32 v6, v47, v14
	v_fma_f32 v5, v48, v11, -v5
	v_add_f32_e32 v3, v3, v7
	v_mul_f32_e32 v7, v48, v12
	v_fmac_f32_e32 v18, v51, v17
	v_add_f32_e32 v4, v4, v16
	v_fma_f32 v6, v46, v13, -v6
	v_add_f32_e32 v3, v3, v5
	v_mul_f32_e32 v5, v61, v24
	v_fmac_f32_e32 v7, v49, v11
	v_add_f32_e32 v4, v4, v18
	v_mul_f32_e32 v8, v46, v14
	v_add_f32_e32 v3, v3, v6
	v_fma_f32 v5, v60, v23, -v5
	v_mul_f32_e32 v6, v59, v26
	v_add_f32_e32 v4, v4, v7
	v_fmac_f32_e32 v8, v47, v13
	v_mul_f32_e32 v7, v60, v24
	v_add_f32_e32 v3, v3, v5
	v_fma_f32 v5, v58, v25, -v6
	v_mul_f32_e32 v6, v57, v20
	v_add_f32_e32 v4, v4, v8
	v_fmac_f32_e32 v7, v61, v23
	;; [unrolled: 6-line block ×6, first 2 shown]
	v_mul_f32_e32 v8, v65, v28
	v_add_f32_e32 v3, v3, v5
	v_mul_f32_e32 v5, v64, v28
	v_fmac_f32_e32 v6, v69, v33
	v_add_f32_e32 v4, v4, v7
	v_fma_f32 v7, v64, v27, -v8
	v_mul_f32_e32 v8, v67, v30
	v_mul_f32_e32 v9, v66, v30
	v_fmac_f32_e32 v5, v65, v27
	v_add_f32_e32 v4, v4, v6
	v_add_f32_e32 v3, v3, v7
	v_fma_f32 v6, v66, v29, -v8
	v_fmac_f32_e32 v9, v67, v29
	v_add_nc_u32_e32 v0, 64, v0
	v_add_f32_e32 v4, v4, v5
	s_add_i32 s6, s6, -1
	v_add_f32_e32 v36, v3, v6
	v_add_co_u32 v3, s3, v62, s13
	v_add_f32_e32 v37, v4, v9
	v_add_co_ci_u32_e64 v4, null, s12, v63, s3
	s_add_i32 s8, s8, s11
	s_cmp_eq_u32 s6, 0
	s_waitcnt_vscnt null, 0x0
	s_barrier
	buffer_gl0_inv
	s_cbranch_scc1 .LBB14_149
.LBB14_145:                             ; =>This Inner Loop Header: Depth=1
	s_and_saveexec_b32 s14, s1
	s_cbranch_execz .LBB14_147
; %bb.146:                              ;   in Loop: Header=BB14_145 Depth=1
	s_ashr_i32 s9, s8, 31
	s_lshl_b64 s[16:17], s[8:9], 3
	v_add_co_u32 v5, s3, v73, s16
	v_add_co_ci_u32_e64 v6, null, s17, v74, s3
	global_load_dwordx2 v[5:6], v[5:6], off
	s_waitcnt vmcnt(0)
	ds_write_b64 v75, v[5:6]
.LBB14_147:                             ;   in Loop: Header=BB14_145 Depth=1
	s_or_b32 exec_lo, exec_lo, s14
	v_add_co_u32 v5, s3, v3, s4
	v_add_co_ci_u32_e64 v6, null, s5, v4, s3
	s_waitcnt lgkmcnt(0)
	s_barrier
	buffer_gl0_inv
	s_clause 0x1
	global_load_dwordx2 v[38:39], v[3:4], off
	global_load_dwordx2 v[42:43], v[5:6], off
	v_add_co_u32 v3, s3, v5, s4
	v_add_co_ci_u32_e64 v4, null, s5, v6, s3
	v_add_co_u32 v11, s3, v3, s4
	v_add_co_ci_u32_e64 v12, null, s5, v4, s3
	s_clause 0x1
	global_load_dwordx2 v[44:45], v[3:4], off
	global_load_dwordx2 v[40:41], v[11:12], off
	ds_read_b64 v[13:14], v77
	ds_read_b128 v[3:6], v76
	ds_read_b128 v[7:10], v76 offset:16
	v_add_co_u32 v11, s3, v11, s13
	v_add_co_ci_u32_e64 v12, null, s12, v12, s3
	v_add_co_u32 v19, s3, v11, s4
	v_add_co_ci_u32_e64 v20, null, s5, v12, s3
	s_waitcnt vmcnt(3) lgkmcnt(2)
	v_mul_f32_e32 v15, v39, v14
	v_mul_f32_e32 v16, v39, v13
	s_waitcnt vmcnt(2)
	v_mul_f32_e32 v17, v43, v14
	v_mul_f32_e32 v18, v43, v13
	v_fmac_f32_e32 v15, v38, v13
	v_fma_f32 v16, v38, v14, -v16
	v_fmac_f32_e32 v17, v42, v13
	v_fma_f32 v18, v42, v14, -v18
	s_waitcnt vmcnt(1)
	v_mul_f32_e32 v21, v45, v14
	s_waitcnt vmcnt(0)
	v_mul_f32_e32 v23, v41, v14
	v_mul_f32_e32 v22, v45, v13
	;; [unrolled: 1-line block ×3, first 2 shown]
	v_fmac_f32_e32 v21, v44, v13
	v_fmac_f32_e32 v23, v40, v13
	v_add_co_u32 v13, s3, v19, s4
	v_fma_f32 v22, v44, v14, -v22
	v_fma_f32 v24, v40, v14, -v24
	v_add_co_ci_u32_e64 v14, null, s5, v20, s3
	ds_write2_b64 v78, v[15:16], v[17:18] offset1:67
	ds_write2_b64 v78, v[21:22], v[23:24] offset0:134 offset1:201
	s_waitcnt lgkmcnt(0)
	s_barrier
	buffer_gl0_inv
	ds_read2_b64 v[83:86], v79 offset1:1
	ds_read2_b64 v[87:90], v79 offset0:2 offset1:3
	s_waitcnt lgkmcnt(0)
	s_barrier
	buffer_gl0_inv
	global_load_dwordx2 v[52:53], v[11:12], off
	v_add_co_u32 v11, s3, v13, s4
	v_add_co_ci_u32_e64 v12, null, s5, v14, s3
	s_clause 0x2
	global_load_dwordx2 v[50:51], v[19:20], off
	global_load_dwordx2 v[48:49], v[13:14], off
	;; [unrolled: 1-line block ×3, first 2 shown]
	ds_read_b64 v[13:14], v77
	v_add_co_u32 v19, s3, v11, s13
	v_add_co_ci_u32_e64 v20, null, s12, v12, s3
	v_add_co_u32 v21, s3, v19, s4
	v_add_co_ci_u32_e64 v22, null, s5, v20, s3
	v_add_f32_e32 v83, 0, v83
	v_add_co_u32 v23, s3, v21, s4
	v_add_co_ci_u32_e64 v24, null, s5, v22, s3
	v_add_f32_e32 v84, 0, v84
	;; [unrolled: 3-line block ×3, first 2 shown]
	v_add_f32_e32 v84, v84, v86
	v_add_f32_e32 v87, v83, v87
	v_add_f32_e32 v88, v84, v88
	v_add_f32_e32 v87, v87, v89
	v_add_f32_e32 v88, v88, v90
	s_waitcnt vmcnt(3) lgkmcnt(0)
	v_mul_f32_e32 v25, v53, v14
	v_mul_f32_e32 v11, v53, v13
	s_waitcnt vmcnt(2)
	v_mul_f32_e32 v27, v51, v14
	v_mul_f32_e32 v12, v51, v13
	s_waitcnt vmcnt(1)
	;; [unrolled: 3-line block ×3, first 2 shown]
	v_mul_f32_e32 v31, v47, v14
	v_mul_f32_e32 v16, v47, v13
	v_fmac_f32_e32 v25, v52, v13
	v_fma_f32 v26, v52, v14, -v11
	v_fmac_f32_e32 v27, v50, v13
	v_fma_f32 v28, v50, v14, -v12
	v_fmac_f32_e32 v29, v48, v13
	v_fma_f32 v30, v48, v14, -v15
	v_fmac_f32_e32 v31, v46, v13
	v_fma_f32 v32, v46, v14, -v16
	ds_read_b128 v[15:18], v76 offset:128
	ds_read_b128 v[11:14], v76 offset:144
	ds_write2_b64 v78, v[25:26], v[27:28] offset1:67
	ds_write2_b64 v78, v[29:30], v[31:32] offset0:134 offset1:201
	s_waitcnt lgkmcnt(0)
	s_barrier
	buffer_gl0_inv
	ds_read2_b64 v[91:94], v79 offset1:1
	ds_read2_b64 v[95:98], v79 offset0:2 offset1:3
	s_waitcnt lgkmcnt(0)
	s_barrier
	buffer_gl0_inv
	s_clause 0x2
	global_load_dwordx2 v[60:61], v[19:20], off
	global_load_dwordx2 v[58:59], v[21:22], off
	global_load_dwordx2 v[56:57], v[23:24], off
	global_load_dwordx2 v[54:55], v[33:34], off
	ds_read_b64 v[19:20], v77
	v_add_co_u32 v27, s3, v33, s13
	v_add_co_ci_u32_e64 v28, null, s12, v34, s3
	v_add_co_u32 v29, s3, v27, s4
	v_add_co_ci_u32_e64 v30, null, s5, v28, s3
	;; [unrolled: 2-line block ×3, first 2 shown]
	v_add_f32_e32 v91, 0, v91
	v_add_f32_e32 v92, 0, v92
	;; [unrolled: 1-line block ×8, first 2 shown]
	s_waitcnt vmcnt(3) lgkmcnt(0)
	v_mul_f32_e32 v21, v61, v19
	v_mul_f32_e32 v31, v61, v20
	s_waitcnt vmcnt(2)
	v_mul_f32_e32 v22, v59, v19
	v_mul_f32_e32 v33, v59, v20
	s_waitcnt vmcnt(1)
	v_mul_f32_e32 v23, v57, v19
	s_waitcnt vmcnt(0)
	v_mul_f32_e32 v24, v55, v19
	v_mul_f32_e32 v62, v57, v20
	;; [unrolled: 1-line block ×3, first 2 shown]
	v_fma_f32 v32, v60, v20, -v21
	v_fma_f32 v34, v58, v20, -v22
	v_fmac_f32_e32 v31, v60, v19
	v_fmac_f32_e32 v33, v58, v19
	v_fma_f32 v63, v56, v20, -v23
	v_fma_f32 v65, v54, v20, -v24
	v_fmac_f32_e32 v62, v56, v19
	v_fmac_f32_e32 v64, v54, v19
	ds_read_b128 v[23:26], v76 offset:256
	ds_read_b128 v[19:22], v76 offset:272
	ds_write2_b64 v78, v[31:32], v[33:34] offset1:67
	ds_write2_b64 v78, v[62:63], v[64:65] offset0:134 offset1:201
	v_add_co_u32 v62, s3, v66, s4
	v_add_co_ci_u32_e64 v63, null, s5, v67, s3
	s_waitcnt lgkmcnt(0)
	s_barrier
	buffer_gl0_inv
	ds_read2_b64 v[99:102], v79 offset1:1
	ds_read2_b64 v[103:106], v79 offset0:2 offset1:3
	s_waitcnt lgkmcnt(0)
	s_barrier
	buffer_gl0_inv
	global_load_dwordx2 v[70:71], v[27:28], off
	global_load_dwordx2 v[68:69], v[29:30], off
	;; [unrolled: 1-line block ×4, first 2 shown]
	ds_read_b64 v[27:28], v77
	v_add_f32_e32 v91, 0, v99
	v_add_f32_e32 v92, 0, v100
	;; [unrolled: 1-line block ×6, first 2 shown]
	s_waitcnt vmcnt(2) lgkmcnt(0)
	v_mul_f32_e32 v30, v69, v27
	v_mul_f32_e32 v29, v71, v27
	;; [unrolled: 1-line block ×4, first 2 shown]
	s_waitcnt vmcnt(1)
	v_mul_f32_e32 v31, v65, v27
	v_mul_f32_e32 v111, v65, v28
	s_waitcnt vmcnt(0)
	v_mul_f32_e32 v32, v67, v27
	v_mul_f32_e32 v113, v67, v28
	v_fma_f32 v108, v70, v28, -v29
	v_fma_f32 v110, v68, v28, -v30
	v_fmac_f32_e32 v107, v70, v27
	v_fmac_f32_e32 v109, v68, v27
	v_fma_f32 v112, v64, v28, -v31
	v_fma_f32 v114, v66, v28, -v32
	v_fmac_f32_e32 v111, v64, v27
	v_fmac_f32_e32 v113, v66, v27
	ds_read_b128 v[31:34], v76 offset:384
	ds_read_b128 v[27:30], v76 offset:400
	ds_write2_b64 v78, v[107:108], v[109:110] offset1:67
	ds_write2_b64 v78, v[111:112], v[113:114] offset0:134 offset1:201
	s_waitcnt lgkmcnt(0)
	s_barrier
	buffer_gl0_inv
	ds_read2_b64 v[107:110], v79 offset1:1
	ds_read2_b64 v[83:86], v79 offset0:2 offset1:3
	s_waitcnt lgkmcnt(0)
	s_barrier
	buffer_gl0_inv
	v_add_f32_e32 v93, 0, v107
	v_add_f32_e32 v94, 0, v108
	;; [unrolled: 1-line block ×10, first 2 shown]
	ds_write2_b64 v82, v[87:88], v[89:90] offset1:16
	ds_write2_b64 v82, v[83:84], v[85:86] offset0:32 offset1:48
	s_waitcnt lgkmcnt(0)
	s_barrier
	buffer_gl0_inv
	s_and_saveexec_b32 s9, s2
	s_cbranch_execz .LBB14_144
; %bb.148:                              ;   in Loop: Header=BB14_145 Depth=1
	ds_read_b64 v[95:96], v80
	ds_read2_b64 v[83:86], v80 offset0:1 offset1:2
	ds_read2_b64 v[87:90], v80 offset0:3 offset1:4
	;; [unrolled: 1-line block ×3, first 2 shown]
	s_waitcnt lgkmcnt(2)
	v_add_f32_e32 v83, v83, v95
	v_add_f32_e32 v84, v84, v96
	v_add_f32_e32 v95, v85, v83
	v_add_f32_e32 v96, v86, v84
	ds_read2_b64 v[83:86], v80 offset0:7 offset1:8
	s_waitcnt lgkmcnt(2)
	v_add_f32_e32 v87, v95, v87
	v_add_f32_e32 v88, v96, v88
	v_add_f32_e32 v95, v87, v89
	v_add_f32_e32 v96, v88, v90
	ds_read2_b64 v[87:90], v80 offset0:9 offset1:10
	;; [unrolled: 6-line block ×4, first 2 shown]
	s_waitcnt lgkmcnt(2)
	v_add_f32_e32 v87, v95, v87
	v_add_f32_e32 v88, v96, v88
	;; [unrolled: 1-line block ×4, first 2 shown]
	ds_read_b64 v[87:88], v81
	s_waitcnt lgkmcnt(2)
	v_add_f32_e32 v89, v89, v91
	v_add_f32_e32 v90, v90, v92
	;; [unrolled: 1-line block ×4, first 2 shown]
	s_waitcnt lgkmcnt(1)
	v_add_f32_e32 v83, v89, v83
	v_add_f32_e32 v84, v90, v84
	;; [unrolled: 1-line block ×4, first 2 shown]
	v_lshlrev_b64 v[83:84], 3, v[0:1]
	s_waitcnt lgkmcnt(0)
	v_add_f32_e32 v85, v85, v87
	v_add_f32_e32 v86, v86, v88
	v_add_co_u32 v83, s3, s7, v83
	v_add_co_ci_u32_e64 v84, null, s10, v84, s3
	global_store_dwordx2 v[83:84], v[85:86], off
	s_branch .LBB14_144
.LBB14_149:
	v_mad_u32_u24 v0, 0x218, v2, v72
	s_nor_b32 s0, s0, vcc_lo
	ds_write_b64 v0, v[36:37]
	s_waitcnt lgkmcnt(0)
	s_barrier
	buffer_gl0_inv
	s_and_saveexec_b32 s1, s0
	s_cbranch_execz .LBB14_151
; %bb.150:
	ds_read2_b64 v[0:3], v72 offset1:67
	ds_read2_b64 v[4:7], v72 offset0:134 offset1:201
	v_ashrrev_i32_e32 v36, 31, v35
	s_waitcnt lgkmcnt(1)
	v_add_f32_e32 v0, v2, v0
	v_add_f32_e32 v1, v3, v1
	s_waitcnt lgkmcnt(0)
	v_add_f32_e32 v2, v4, v0
	v_add_f32_e32 v3, v5, v1
	v_lshlrev_b64 v[0:1], 3, v[35:36]
	v_add_f32_e32 v2, v2, v6
	v_add_f32_e32 v3, v3, v7
	v_add_co_u32 v0, vcc_lo, s7, v0
	v_add_co_ci_u32_e64 v1, null, s10, v1, vcc_lo
	global_store_dwordx2 v[0:1], v[2:3], off
.LBB14_151:
	s_endpgm
	.section	.rodata,"a",@progbits
	.p2align	6, 0x0
	.amdhsa_kernel _ZL26rocblas_hemvn_kernel_lowerILb1ELi64ELi4ELi33ELi32ELi16Ei19rocblas_complex_numIfEPKS1_PS1_EviT6_lT7_lT5_lS6_lS7_lS5_lT8_i
		.amdhsa_group_segment_fixed_size 9600
		.amdhsa_private_segment_fixed_size 0
		.amdhsa_kernarg_size 376
		.amdhsa_user_sgpr_count 6
		.amdhsa_user_sgpr_private_segment_buffer 1
		.amdhsa_user_sgpr_dispatch_ptr 0
		.amdhsa_user_sgpr_queue_ptr 0
		.amdhsa_user_sgpr_kernarg_segment_ptr 1
		.amdhsa_user_sgpr_dispatch_id 0
		.amdhsa_user_sgpr_flat_scratch_init 0
		.amdhsa_user_sgpr_private_segment_size 0
		.amdhsa_wavefront_size32 1
		.amdhsa_uses_dynamic_stack 0
		.amdhsa_system_sgpr_private_segment_wavefront_offset 0
		.amdhsa_system_sgpr_workgroup_id_x 1
		.amdhsa_system_sgpr_workgroup_id_y 0
		.amdhsa_system_sgpr_workgroup_id_z 1
		.amdhsa_system_sgpr_workgroup_info 0
		.amdhsa_system_vgpr_workitem_id 1
		.amdhsa_next_free_vgpr 115
		.amdhsa_next_free_sgpr 30
		.amdhsa_reserve_vcc 1
		.amdhsa_reserve_flat_scratch 0
		.amdhsa_float_round_mode_32 0
		.amdhsa_float_round_mode_16_64 0
		.amdhsa_float_denorm_mode_32 3
		.amdhsa_float_denorm_mode_16_64 3
		.amdhsa_dx10_clamp 1
		.amdhsa_ieee_mode 1
		.amdhsa_fp16_overflow 0
		.amdhsa_workgroup_processor_mode 1
		.amdhsa_memory_ordered 1
		.amdhsa_forward_progress 1
		.amdhsa_shared_vgpr_count 0
		.amdhsa_exception_fp_ieee_invalid_op 0
		.amdhsa_exception_fp_denorm_src 0
		.amdhsa_exception_fp_ieee_div_zero 0
		.amdhsa_exception_fp_ieee_overflow 0
		.amdhsa_exception_fp_ieee_underflow 0
		.amdhsa_exception_fp_ieee_inexact 0
		.amdhsa_exception_int_div_zero 0
	.end_amdhsa_kernel
	.section	.text._ZL26rocblas_hemvn_kernel_lowerILb1ELi64ELi4ELi33ELi32ELi16Ei19rocblas_complex_numIfEPKS1_PS1_EviT6_lT7_lT5_lS6_lS7_lS5_lT8_i,"axG",@progbits,_ZL26rocblas_hemvn_kernel_lowerILb1ELi64ELi4ELi33ELi32ELi16Ei19rocblas_complex_numIfEPKS1_PS1_EviT6_lT7_lT5_lS6_lS7_lS5_lT8_i,comdat
.Lfunc_end14:
	.size	_ZL26rocblas_hemvn_kernel_lowerILb1ELi64ELi4ELi33ELi32ELi16Ei19rocblas_complex_numIfEPKS1_PS1_EviT6_lT7_lT5_lS6_lS7_lS5_lT8_i, .Lfunc_end14-_ZL26rocblas_hemvn_kernel_lowerILb1ELi64ELi4ELi33ELi32ELi16Ei19rocblas_complex_numIfEPKS1_PS1_EviT6_lT7_lT5_lS6_lS7_lS5_lT8_i
                                        ; -- End function
	.set _ZL26rocblas_hemvn_kernel_lowerILb1ELi64ELi4ELi33ELi32ELi16Ei19rocblas_complex_numIfEPKS1_PS1_EviT6_lT7_lT5_lS6_lS7_lS5_lT8_i.num_vgpr, 115
	.set _ZL26rocblas_hemvn_kernel_lowerILb1ELi64ELi4ELi33ELi32ELi16Ei19rocblas_complex_numIfEPKS1_PS1_EviT6_lT7_lT5_lS6_lS7_lS5_lT8_i.num_agpr, 0
	.set _ZL26rocblas_hemvn_kernel_lowerILb1ELi64ELi4ELi33ELi32ELi16Ei19rocblas_complex_numIfEPKS1_PS1_EviT6_lT7_lT5_lS6_lS7_lS5_lT8_i.numbered_sgpr, 30
	.set _ZL26rocblas_hemvn_kernel_lowerILb1ELi64ELi4ELi33ELi32ELi16Ei19rocblas_complex_numIfEPKS1_PS1_EviT6_lT7_lT5_lS6_lS7_lS5_lT8_i.num_named_barrier, 0
	.set _ZL26rocblas_hemvn_kernel_lowerILb1ELi64ELi4ELi33ELi32ELi16Ei19rocblas_complex_numIfEPKS1_PS1_EviT6_lT7_lT5_lS6_lS7_lS5_lT8_i.private_seg_size, 0
	.set _ZL26rocblas_hemvn_kernel_lowerILb1ELi64ELi4ELi33ELi32ELi16Ei19rocblas_complex_numIfEPKS1_PS1_EviT6_lT7_lT5_lS6_lS7_lS5_lT8_i.uses_vcc, 1
	.set _ZL26rocblas_hemvn_kernel_lowerILb1ELi64ELi4ELi33ELi32ELi16Ei19rocblas_complex_numIfEPKS1_PS1_EviT6_lT7_lT5_lS6_lS7_lS5_lT8_i.uses_flat_scratch, 0
	.set _ZL26rocblas_hemvn_kernel_lowerILb1ELi64ELi4ELi33ELi32ELi16Ei19rocblas_complex_numIfEPKS1_PS1_EviT6_lT7_lT5_lS6_lS7_lS5_lT8_i.has_dyn_sized_stack, 0
	.set _ZL26rocblas_hemvn_kernel_lowerILb1ELi64ELi4ELi33ELi32ELi16Ei19rocblas_complex_numIfEPKS1_PS1_EviT6_lT7_lT5_lS6_lS7_lS5_lT8_i.has_recursion, 0
	.set _ZL26rocblas_hemvn_kernel_lowerILb1ELi64ELi4ELi33ELi32ELi16Ei19rocblas_complex_numIfEPKS1_PS1_EviT6_lT7_lT5_lS6_lS7_lS5_lT8_i.has_indirect_call, 0
	.section	.AMDGPU.csdata,"",@progbits
; Kernel info:
; codeLenInByte = 8400
; TotalNumSgprs: 32
; NumVgprs: 115
; ScratchSize: 0
; MemoryBound: 1
; FloatMode: 240
; IeeeMode: 1
; LDSByteSize: 9600 bytes/workgroup (compile time only)
; SGPRBlocks: 0
; VGPRBlocks: 14
; NumSGPRsForWavesPerEU: 32
; NumVGPRsForWavesPerEU: 115
; Occupancy: 8
; WaveLimiterHint : 1
; COMPUTE_PGM_RSRC2:SCRATCH_EN: 0
; COMPUTE_PGM_RSRC2:USER_SGPR: 6
; COMPUTE_PGM_RSRC2:TRAP_HANDLER: 0
; COMPUTE_PGM_RSRC2:TGID_X_EN: 1
; COMPUTE_PGM_RSRC2:TGID_Y_EN: 0
; COMPUTE_PGM_RSRC2:TGID_Z_EN: 1
; COMPUTE_PGM_RSRC2:TIDIG_COMP_CNT: 1
	.section	.text._ZL36rocblas_hemvn_kernel_lower_block_sumILi64Ei19rocblas_complex_numIfEPS1_S1_EviT1_lS3_lT2_lT0_lPT3_i,"axG",@progbits,_ZL36rocblas_hemvn_kernel_lower_block_sumILi64Ei19rocblas_complex_numIfEPS1_S1_EviT1_lS3_lT2_lT0_lPT3_i,comdat
	.globl	_ZL36rocblas_hemvn_kernel_lower_block_sumILi64Ei19rocblas_complex_numIfEPS1_S1_EviT1_lS3_lT2_lT0_lPT3_i ; -- Begin function _ZL36rocblas_hemvn_kernel_lower_block_sumILi64Ei19rocblas_complex_numIfEPS1_S1_EviT1_lS3_lT2_lT0_lPT3_i
	.p2align	8
	.type	_ZL36rocblas_hemvn_kernel_lower_block_sumILi64Ei19rocblas_complex_numIfEPS1_S1_EviT1_lS3_lT2_lT0_lPT3_i,@function
_ZL36rocblas_hemvn_kernel_lower_block_sumILi64Ei19rocblas_complex_numIfEPS1_S1_EviT1_lS3_lT2_lT0_lPT3_i: ; @_ZL36rocblas_hemvn_kernel_lower_block_sumILi64Ei19rocblas_complex_numIfEPS1_S1_EviT1_lS3_lT2_lT0_lPT3_i
; %bb.0:
	s_clause 0x1
	s_load_dwordx4 s[8:11], s[4:5], 0x0
	s_load_dwordx2 s[2:3], s[4:5], 0x18
	s_waitcnt lgkmcnt(0)
	s_or_b32 s0, s9, s10
	s_bitset0_b32 s0, 31
	s_cmp_eq_u32 s0, 0
	s_cselect_b32 s1, -1, 0
	s_cmp_lg_u32 s0, 0
	s_mov_b32 s0, -1
	s_cbranch_scc1 .LBB15_2
; %bb.1:
	v_cmp_neq_f32_e64 s0, s2, 1.0
	v_cmp_neq_f32_e64 s11, s3, 0
	s_or_b32 s0, s0, s11
.LBB15_2:
	s_andn2_b32 vcc_lo, exec_lo, s0
	s_cbranch_vccnz .LBB15_19
; %bb.3:
	s_clause 0x2
	s_load_dwordx2 s[14:15], s[4:5], 0x40
	s_load_dwordx4 s[16:19], s[4:5], 0x28
	s_load_dword s13, s[4:5], 0x38
	v_lshl_or_b32 v0, s6, 6, v0
	s_waitcnt lgkmcnt(0)
	s_mul_i32 s0, s15, s7
	s_mul_hi_u32 s11, s14, s7
	s_mul_i32 s14, s14, s7
	s_add_i32 s15, s11, s0
	v_cmp_gt_i32_e64 s0, s8, v0
	s_lshl_b64 s[14:15], s[14:15], 3
	s_add_u32 s11, s16, s14
	s_addc_u32 s12, s17, s15
	s_lshl_b64 s[14:15], s[18:19], 3
	s_add_u32 s11, s11, s14
	s_addc_u32 s12, s12, s15
	s_andn2_b32 vcc_lo, exec_lo, s1
	s_mov_b32 s1, -1
	s_cbranch_vccnz .LBB15_9
; %bb.4:
	s_and_saveexec_b32 s1, s0
	s_cbranch_execz .LBB15_8
; %bb.5:
	v_mul_lo_u32 v1, s13, v0
	v_cmp_neq_f32_e64 s0, s2, 0
	v_cmp_neq_f32_e64 s14, s3, 0
	v_mov_b32_e32 v3, 0
	v_mov_b32_e32 v4, 0
	s_or_b32 s0, s0, s14
	v_ashrrev_i32_e32 v2, 31, v1
	s_andn2_b32 vcc_lo, exec_lo, s0
	v_lshlrev_b64 v[1:2], 3, v[1:2]
	s_cbranch_vccnz .LBB15_7
; %bb.6:
	v_add_co_u32 v3, vcc_lo, s11, v1
	v_add_co_ci_u32_e64 v4, null, s12, v2, vcc_lo
	global_load_dwordx2 v[5:6], v[3:4], off
	s_waitcnt vmcnt(0)
	v_mul_f32_e32 v3, s3, v6
	v_mul_f32_e32 v4, s2, v6
	v_fma_f32 v3, v5, s2, -v3
	v_fmac_f32_e32 v4, s3, v5
.LBB15_7:
	v_add_co_u32 v1, vcc_lo, s11, v1
	v_add_co_ci_u32_e64 v2, null, s12, v2, vcc_lo
	global_store_dwordx2 v[1:2], v[3:4], off
.LBB15_8:
	s_or_b32 exec_lo, exec_lo, s1
	s_mov_b32 s1, 0
.LBB15_9:
	s_andn2_b32 vcc_lo, exec_lo, s1
	s_cbranch_vccnz .LBB15_19
; %bb.10:
	s_mov_b32 s0, exec_lo
	v_cmpx_gt_i32_e64 s8, v0
	s_cbranch_execz .LBB15_19
; %bb.11:
	s_load_dword s14, s[4:5], 0x58
	v_mov_b32_e32 v3, 0
	v_mov_b32_e32 v4, 0
	s_waitcnt lgkmcnt(0)
	s_cmp_ge_i32 s6, s14
	s_cbranch_scc1 .LBB15_14
; %bb.12:
	s_load_dwordx2 s[0:1], s[4:5], 0x48
	v_mad_u64_u32 v[1:2], null, s8, s6, v[0:1]
	s_ashr_i32 s5, s8, 31
	s_mul_hi_u32 s4, s8, s7
	s_mul_i32 s15, s5, s7
	s_mul_i32 s7, s8, s7
	s_add_i32 s4, s4, s15
	s_mul_hi_u32 s15, s7, s14
	v_ashrrev_i32_e32 v2, 31, v1
	s_mul_i32 s4, s4, s14
	s_mul_i32 s16, s7, s14
	s_add_i32 s17, s15, s4
	v_mov_b32_e32 v3, 0
	v_lshlrev_b64 v[1:2], 3, v[1:2]
	s_lshl_b64 s[16:17], s[16:17], 3
	v_mov_b32_e32 v4, 0
	s_mov_b32 s4, s8
	s_waitcnt lgkmcnt(0)
	s_add_u32 s0, s0, s16
	s_addc_u32 s1, s1, s17
	v_add_co_u32 v1, vcc_lo, s0, v1
	v_add_co_ci_u32_e64 v2, null, s1, v2, vcc_lo
	s_lshl_b64 s[0:1], s[4:5], 3
	v_add_co_u32 v1, vcc_lo, v1, 4
	v_add_co_ci_u32_e64 v2, null, 0, v2, vcc_lo
.LBB15_13:                              ; =>This Inner Loop Header: Depth=1
	global_load_dwordx2 v[5:6], v[1:2], off offset:-4
	v_add_co_u32 v1, vcc_lo, v1, s0
	v_add_co_ci_u32_e64 v2, null, s1, v2, vcc_lo
	s_add_i32 s6, s6, 1
	s_cmp_ge_i32 s6, s14
	s_waitcnt vmcnt(0)
	v_add_f32_e32 v4, v4, v5
	v_add_f32_e32 v3, v3, v6
	s_cbranch_scc0 .LBB15_13
.LBB15_14:
	v_mul_lo_u32 v2, s13, v0
	v_mul_f32_e32 v0, s10, v3
	v_mul_f32_e32 v1, s9, v3
	v_cmp_neq_f32_e64 s0, s2, 0
	v_cmp_neq_f32_e64 s1, s3, 0
	v_fma_f32 v0, v4, s9, -v0
	v_fmac_f32_e32 v1, s10, v4
	v_ashrrev_i32_e32 v3, 31, v2
	s_or_b32 s0, s0, s1
	s_andn2_b32 vcc_lo, exec_lo, s0
	s_mov_b32 s0, 0
	s_cbranch_vccnz .LBB15_16
; %bb.15:
	s_mov_b32 s0, -1
.LBB15_16:
	s_andn2_b32 vcc_lo, exec_lo, s0
	s_cbranch_vccnz .LBB15_18
; %bb.17:
	v_lshlrev_b64 v[4:5], 3, v[2:3]
	v_add_co_u32 v4, vcc_lo, s11, v4
	v_add_co_ci_u32_e64 v5, null, s12, v5, vcc_lo
	global_load_dwordx2 v[4:5], v[4:5], off
	s_waitcnt vmcnt(0)
	v_mul_f32_e32 v6, s3, v5
	v_mul_f32_e32 v5, s2, v5
	v_fma_f32 v6, v4, s2, -v6
	v_fmac_f32_e32 v5, s3, v4
	v_add_f32_e32 v0, v0, v6
	v_add_f32_e32 v1, v1, v5
.LBB15_18:
	v_lshlrev_b64 v[2:3], 3, v[2:3]
	v_add_co_u32 v2, vcc_lo, s11, v2
	v_add_co_ci_u32_e64 v3, null, s12, v3, vcc_lo
	global_store_dwordx2 v[2:3], v[0:1], off
.LBB15_19:
	s_endpgm
	.section	.rodata,"a",@progbits
	.p2align	6, 0x0
	.amdhsa_kernel _ZL36rocblas_hemvn_kernel_lower_block_sumILi64Ei19rocblas_complex_numIfEPS1_S1_EviT1_lS3_lT2_lT0_lPT3_i
		.amdhsa_group_segment_fixed_size 0
		.amdhsa_private_segment_fixed_size 0
		.amdhsa_kernarg_size 344
		.amdhsa_user_sgpr_count 6
		.amdhsa_user_sgpr_private_segment_buffer 1
		.amdhsa_user_sgpr_dispatch_ptr 0
		.amdhsa_user_sgpr_queue_ptr 0
		.amdhsa_user_sgpr_kernarg_segment_ptr 1
		.amdhsa_user_sgpr_dispatch_id 0
		.amdhsa_user_sgpr_flat_scratch_init 0
		.amdhsa_user_sgpr_private_segment_size 0
		.amdhsa_wavefront_size32 1
		.amdhsa_uses_dynamic_stack 0
		.amdhsa_system_sgpr_private_segment_wavefront_offset 0
		.amdhsa_system_sgpr_workgroup_id_x 1
		.amdhsa_system_sgpr_workgroup_id_y 0
		.amdhsa_system_sgpr_workgroup_id_z 1
		.amdhsa_system_sgpr_workgroup_info 0
		.amdhsa_system_vgpr_workitem_id 0
		.amdhsa_next_free_vgpr 7
		.amdhsa_next_free_sgpr 20
		.amdhsa_reserve_vcc 1
		.amdhsa_reserve_flat_scratch 0
		.amdhsa_float_round_mode_32 0
		.amdhsa_float_round_mode_16_64 0
		.amdhsa_float_denorm_mode_32 3
		.amdhsa_float_denorm_mode_16_64 3
		.amdhsa_dx10_clamp 1
		.amdhsa_ieee_mode 1
		.amdhsa_fp16_overflow 0
		.amdhsa_workgroup_processor_mode 1
		.amdhsa_memory_ordered 1
		.amdhsa_forward_progress 1
		.amdhsa_shared_vgpr_count 0
		.amdhsa_exception_fp_ieee_invalid_op 0
		.amdhsa_exception_fp_denorm_src 0
		.amdhsa_exception_fp_ieee_div_zero 0
		.amdhsa_exception_fp_ieee_overflow 0
		.amdhsa_exception_fp_ieee_underflow 0
		.amdhsa_exception_fp_ieee_inexact 0
		.amdhsa_exception_int_div_zero 0
	.end_amdhsa_kernel
	.section	.text._ZL36rocblas_hemvn_kernel_lower_block_sumILi64Ei19rocblas_complex_numIfEPS1_S1_EviT1_lS3_lT2_lT0_lPT3_i,"axG",@progbits,_ZL36rocblas_hemvn_kernel_lower_block_sumILi64Ei19rocblas_complex_numIfEPS1_S1_EviT1_lS3_lT2_lT0_lPT3_i,comdat
.Lfunc_end15:
	.size	_ZL36rocblas_hemvn_kernel_lower_block_sumILi64Ei19rocblas_complex_numIfEPS1_S1_EviT1_lS3_lT2_lT0_lPT3_i, .Lfunc_end15-_ZL36rocblas_hemvn_kernel_lower_block_sumILi64Ei19rocblas_complex_numIfEPS1_S1_EviT1_lS3_lT2_lT0_lPT3_i
                                        ; -- End function
	.set _ZL36rocblas_hemvn_kernel_lower_block_sumILi64Ei19rocblas_complex_numIfEPS1_S1_EviT1_lS3_lT2_lT0_lPT3_i.num_vgpr, 7
	.set _ZL36rocblas_hemvn_kernel_lower_block_sumILi64Ei19rocblas_complex_numIfEPS1_S1_EviT1_lS3_lT2_lT0_lPT3_i.num_agpr, 0
	.set _ZL36rocblas_hemvn_kernel_lower_block_sumILi64Ei19rocblas_complex_numIfEPS1_S1_EviT1_lS3_lT2_lT0_lPT3_i.numbered_sgpr, 20
	.set _ZL36rocblas_hemvn_kernel_lower_block_sumILi64Ei19rocblas_complex_numIfEPS1_S1_EviT1_lS3_lT2_lT0_lPT3_i.num_named_barrier, 0
	.set _ZL36rocblas_hemvn_kernel_lower_block_sumILi64Ei19rocblas_complex_numIfEPS1_S1_EviT1_lS3_lT2_lT0_lPT3_i.private_seg_size, 0
	.set _ZL36rocblas_hemvn_kernel_lower_block_sumILi64Ei19rocblas_complex_numIfEPS1_S1_EviT1_lS3_lT2_lT0_lPT3_i.uses_vcc, 1
	.set _ZL36rocblas_hemvn_kernel_lower_block_sumILi64Ei19rocblas_complex_numIfEPS1_S1_EviT1_lS3_lT2_lT0_lPT3_i.uses_flat_scratch, 0
	.set _ZL36rocblas_hemvn_kernel_lower_block_sumILi64Ei19rocblas_complex_numIfEPS1_S1_EviT1_lS3_lT2_lT0_lPT3_i.has_dyn_sized_stack, 0
	.set _ZL36rocblas_hemvn_kernel_lower_block_sumILi64Ei19rocblas_complex_numIfEPS1_S1_EviT1_lS3_lT2_lT0_lPT3_i.has_recursion, 0
	.set _ZL36rocblas_hemvn_kernel_lower_block_sumILi64Ei19rocblas_complex_numIfEPS1_S1_EviT1_lS3_lT2_lT0_lPT3_i.has_indirect_call, 0
	.section	.AMDGPU.csdata,"",@progbits
; Kernel info:
; codeLenInByte = 728
; TotalNumSgprs: 22
; NumVgprs: 7
; ScratchSize: 0
; MemoryBound: 0
; FloatMode: 240
; IeeeMode: 1
; LDSByteSize: 0 bytes/workgroup (compile time only)
; SGPRBlocks: 0
; VGPRBlocks: 0
; NumSGPRsForWavesPerEU: 22
; NumVGPRsForWavesPerEU: 7
; Occupancy: 16
; WaveLimiterHint : 0
; COMPUTE_PGM_RSRC2:SCRATCH_EN: 0
; COMPUTE_PGM_RSRC2:USER_SGPR: 6
; COMPUTE_PGM_RSRC2:TRAP_HANDLER: 0
; COMPUTE_PGM_RSRC2:TGID_X_EN: 1
; COMPUTE_PGM_RSRC2:TGID_Y_EN: 0
; COMPUTE_PGM_RSRC2:TGID_Z_EN: 1
; COMPUTE_PGM_RSRC2:TIDIG_COMP_CNT: 0
	.section	.text._ZL26rocblas_hemvn_kernel_upperILb1ELi64ELi4ELi33ELi32ELi16ElPK19rocblas_complex_numIdES3_PS1_EviT6_lT7_lT5_lS6_lS7_lS5_lT8_i,"axG",@progbits,_ZL26rocblas_hemvn_kernel_upperILb1ELi64ELi4ELi33ELi32ELi16ElPK19rocblas_complex_numIdES3_PS1_EviT6_lT7_lT5_lS6_lS7_lS5_lT8_i,comdat
	.globl	_ZL26rocblas_hemvn_kernel_upperILb1ELi64ELi4ELi33ELi32ELi16ElPK19rocblas_complex_numIdES3_PS1_EviT6_lT7_lT5_lS6_lS7_lS5_lT8_i ; -- Begin function _ZL26rocblas_hemvn_kernel_upperILb1ELi64ELi4ELi33ELi32ELi16ElPK19rocblas_complex_numIdES3_PS1_EviT6_lT7_lT5_lS6_lS7_lS5_lT8_i
	.p2align	8
	.type	_ZL26rocblas_hemvn_kernel_upperILb1ELi64ELi4ELi33ELi32ELi16ElPK19rocblas_complex_numIdES3_PS1_EviT6_lT7_lT5_lS6_lS7_lS5_lT8_i,@function
_ZL26rocblas_hemvn_kernel_upperILb1ELi64ELi4ELi33ELi32ELi16ElPK19rocblas_complex_numIdES3_PS1_EviT6_lT7_lT5_lS6_lS7_lS5_lT8_i: ; @_ZL26rocblas_hemvn_kernel_upperILb1ELi64ELi4ELi33ELi32ELi16ElPK19rocblas_complex_numIdES3_PS1_EviT6_lT7_lT5_lS6_lS7_lS5_lT8_i
; %bb.0:
	s_load_dwordx2 s[2:3], s[4:5], 0x84
	s_add_u32 s0, s4, 0x78
	s_addc_u32 s1, s5, 0
	s_waitcnt lgkmcnt(0)
	s_lshr_b32 s8, s2, 16
	s_and_b32 s2, s2, 0xffff
	s_and_b32 s3, s3, 0xffff
	s_mul_i32 s2, s8, s2
	s_mul_i32 s2, s2, s3
	s_cmpk_lg_i32 s2, 0x100
	s_cbranch_scc1 .LBB16_202
; %bb.1:
	s_load_dwordx16 s[8:23], s[4:5], 0x8
	s_waitcnt lgkmcnt(0)
	s_mul_i32 s3, s11, s7
	s_mul_hi_u32 s11, s10, s7
	s_mul_i32 s2, s10, s7
	s_add_i32 s3, s11, s3
	s_lshl_b64 s[2:3], s[2:3], 4
	s_add_u32 s2, s8, s2
	s_addc_u32 s3, s9, s3
	s_load_dwordx4 s[8:11], s[2:3], 0x0
	s_clause 0x1
	s_load_dwordx2 s[34:35], s[4:5], 0x68
	s_load_dwordx8 s[24:31], s[4:5], 0x48
	s_waitcnt lgkmcnt(0)
	v_cmp_neq_f64_e64 s2, s[8:9], 0
	v_cmp_neq_f64_e64 s3, s[10:11], 0
	s_or_b32 s2, s2, s3
	s_mov_b32 s3, -1
	s_and_b32 vcc_lo, exec_lo, s2
	s_cbranch_vccnz .LBB16_3
; %bb.2:
	s_mul_i32 s3, s31, s7
	s_mul_hi_u32 s9, s30, s7
	s_mul_i32 s8, s30, s7
	s_add_i32 s9, s9, s3
	s_lshl_b64 s[8:9], s[8:9], 4
	s_add_u32 s8, s28, s8
	s_addc_u32 s9, s29, s9
	s_load_dwordx4 s[8:11], s[8:9], 0x0
	s_waitcnt lgkmcnt(0)
	v_cmp_neq_f64_e64 s3, s[8:9], 1.0
	v_cmp_neq_f64_e64 s8, s[10:11], 0
	s_or_b32 s3, s3, s8
.LBB16_3:
	s_andn2_b32 vcc_lo, exec_lo, s3
	s_cbranch_vccnz .LBB16_202
; %bb.4:
	s_andn2_b32 vcc_lo, exec_lo, s2
	s_cbranch_vccnz .LBB16_202
; %bb.5:
	s_mul_i32 s3, s27, s7
	s_mul_hi_u32 s8, s26, s7
	s_mul_i32 s2, s26, s7
	s_add_i32 s3, s8, s3
	s_lshl_b64 s[2:3], s[2:3], 4
	s_add_u32 s8, s20, s2
	s_addc_u32 s9, s21, s3
	s_lshl_b64 s[2:3], s[22:23], 4
	s_load_dword s23, s[4:5], 0x0
	s_add_u32 s2, s8, s2
	s_addc_u32 s3, s9, s3
	s_lshl_b32 s20, s6, 6
	s_load_dword s9, s[0:1], 0x0
	v_add_nc_u32_e32 v167, s20, v0
	v_ashrrev_i32_e32 v168, 31, v167
	v_mul_lo_u32 v4, s25, v167
	v_mad_u64_u32 v[2:3], null, s24, v167, 0
	v_mul_lo_u32 v5, s24, v168
	s_waitcnt lgkmcnt(0)
	s_ashr_i32 s26, s23, 31
	s_lshr_b32 s0, s26, 26
	v_add3_u32 v3, v3, v5, v4
	s_add_i32 s0, s23, s0
	s_add_i32 s1, s9, -1
	s_andn2_b32 s0, s0, 63
	v_lshlrev_b64 v[2:3], 4, v[2:3]
	s_sub_i32 s22, s23, s0
	v_cmp_eq_u32_e64 s0, 0, v1
	s_cmp_eq_u32 s6, s1
	s_cselect_b32 s10, s22, 0
	v_add_co_u32 v40, vcc_lo, s2, v2
	v_add_co_ci_u32_e64 v41, null, s3, v3, vcc_lo
	s_mov_b32 s3, -1
	s_and_saveexec_b32 s1, s0
	s_cbranch_execz .LBB16_10
; %bb.6:
	v_cmp_le_i32_e32 vcc_lo, s10, v0
	s_cmp_lg_u32 s10, 0
	v_lshl_add_u32 v2, v0, 4, 0x4700
	s_cselect_b32 s2, -1, 0
	s_and_b32 s2, s2, vcc_lo
	s_and_saveexec_b32 s4, s2
	s_xor_b32 s2, exec_lo, s4
	s_cbranch_execz .LBB16_8
; %bb.7:
	v_mov_b32_e32 v3, 0
	v_mov_b32_e32 v4, v3
	;; [unrolled: 1-line block ×4, first 2 shown]
	ds_write_b128 v2, v[3:6]
                                        ; implicit-def: $vgpr2
.LBB16_8:
	s_andn2_saveexec_b32 s2, s2
	s_cbranch_execz .LBB16_10
; %bb.9:
	global_load_dwordx4 v[3:6], v[40:41], off
	s_waitcnt vmcnt(0)
	ds_write2_b64 v2, v[3:4], v[5:6] offset1:1
.LBB16_10:
	s_or_b32 exec_lo, exec_lo, s1
	v_lshl_add_u32 v44, v1, 6, v0
	v_and_b32_e32 v10, 31, v0
	v_mov_b32_e32 v11, 0
	s_mul_i32 s1, s19, s7
	s_mul_hi_u32 s2, s18, s7
	v_lshrrev_b32_e32 v13, 5, v44
	s_mul_i32 s4, s18, s7
	s_add_i32 s5, s2, s1
	s_mul_hi_u32 s1, s16, s20
	s_lshl_b64 s[4:5], s[4:5], 4
	v_mad_u64_u32 v[2:3], null, s16, v13, v[10:11]
	s_add_u32 s2, s12, s4
	s_addc_u32 s8, s13, s5
	s_lshl_b64 s[4:5], s[14:15], 4
	s_mul_i32 s11, s17, s20
	s_add_u32 s2, s2, s4
	s_addc_u32 s5, s8, s5
	v_mad_u64_u32 v[3:4], null, s17, v13, v[3:4]
	s_ashr_i32 s21, s20, 31
	s_mul_i32 s4, s16, s20
	s_lshl_b64 s[12:13], s[20:21], 4
	s_mul_i32 s8, s16, s21
	s_add_u32 s2, s2, s12
	s_addc_u32 s12, s5, s13
	v_lshlrev_b64 v[38:39], 4, v[2:3]
	s_add_i32 s1, s1, s8
	v_lshlrev_b32_e32 v15, 4, v10
	s_add_i32 s5, s1, s11
	v_cmp_gt_i32_e64 s1, s10, v10
	s_lshl_b64 s[4:5], s[4:5], 4
	v_add_co_u32 v2, vcc_lo, s2, v38
	v_add_co_ci_u32_e64 v3, null, s12, v39, vcc_lo
	s_cmp_eq_u32 s10, 0
	v_add_co_u32 v2, s2, v2, s4
	s_cselect_b32 s14, -1, 0
	s_cmp_lg_u32 s10, 0
	v_add_co_ci_u32_e64 v3, null, s5, v3, s2
	v_lshlrev_b32_e32 v14, 4, v10
	s_cselect_b32 s15, -1, 0
                                        ; implicit-def: $vgpr6_vgpr7
	s_and_b32 vcc_lo, exec_lo, s15
	s_cbranch_vccz .LBB16_28
; %bb.11:
	v_sub_co_u32 v4, vcc_lo, v2, v15
	s_ashr_i32 s11, s10, 31
	v_subrev_co_ci_u32_e64 v5, null, 0, v3, vcc_lo
	s_lshl_b64 s[2:3], s[10:11], 4
	v_mad_u32_u24 v7, 0x210, v13, v14
	v_add_co_u32 v4, vcc_lo, v4, s2
	v_add_co_ci_u32_e64 v5, null, s3, v5, vcc_lo
	s_mov_b32 s4, exec_lo
	v_add_co_u32 v4, vcc_lo, v4, -16
	v_add_co_ci_u32_e64 v5, null, -1, v5, vcc_lo
	v_cndmask_b32_e64 v4, v4, v2, s1
	v_cndmask_b32_e64 v5, v5, v3, s1
	v_cmpx_le_i32_e64 s10, v13
	s_xor_b32 s4, exec_lo, s4
	s_cbranch_execz .LBB16_13
; %bb.12:
	v_mov_b32_e32 v16, 0
	v_mov_b32_e32 v17, v16
	;; [unrolled: 1-line block ×4, first 2 shown]
	ds_write_b128 v7, v[16:19]
                                        ; implicit-def: $vgpr7
.LBB16_13:
	s_or_saveexec_b32 s4, s4
	v_mul_u32_u24_e32 v6, 0x210, v13
	s_xor_b32 exec_lo, exec_lo, s4
	s_cbranch_execz .LBB16_15
; %bb.14:
	global_load_dwordx4 v[16:19], v[4:5], off
	s_waitcnt vmcnt(0)
	ds_write2_b64 v7, v[16:17], v[18:19] offset1:1
.LBB16_15:
	s_or_b32 exec_lo, exec_lo, s4
	v_add_nc_u32_e32 v7, 8, v13
	v_cmp_le_i32_e32 vcc_lo, s10, v7
	v_add_nc_u32_e32 v7, v6, v14
	s_and_saveexec_b32 s4, vcc_lo
	s_xor_b32 s4, exec_lo, s4
	s_cbranch_execz .LBB16_17
; %bb.16:
	v_mov_b32_e32 v16, 0
	v_mov_b32_e32 v17, v16
	;; [unrolled: 1-line block ×4, first 2 shown]
	ds_write_b128 v7, v[16:19] offset:4224
.LBB16_17:
	s_andn2_saveexec_b32 s4, s4
	s_cbranch_execz .LBB16_19
; %bb.18:
	s_lshl_b64 s[12:13], s[16:17], 7
	v_add_co_u32 v8, vcc_lo, v4, s12
	v_add_co_ci_u32_e64 v9, null, s13, v5, vcc_lo
	global_load_dwordx4 v[16:19], v[8:9], off
	v_add3_u32 v8, v6, v14, 0x1080
	s_waitcnt vmcnt(0)
	ds_write2_b64 v8, v[16:17], v[18:19] offset1:1
.LBB16_19:
	s_or_b32 exec_lo, exec_lo, s4
	v_add_nc_u32_e32 v8, 16, v13
	s_mov_b32 s4, exec_lo
	v_cmpx_le_i32_e64 s10, v8
	s_xor_b32 s4, exec_lo, s4
	s_cbranch_execz .LBB16_21
; %bb.20:
	v_mov_b32_e32 v16, 0
	v_mov_b32_e32 v17, v16
	;; [unrolled: 1-line block ×4, first 2 shown]
	ds_write_b128 v7, v[16:19] offset:8448
.LBB16_21:
	s_andn2_saveexec_b32 s4, s4
	s_cbranch_execz .LBB16_23
; %bb.22:
	s_lshl_b64 s[12:13], s[16:17], 8
	v_add_co_u32 v8, vcc_lo, v4, s12
	v_add_co_ci_u32_e64 v9, null, s13, v5, vcc_lo
	global_load_dwordx4 v[16:19], v[8:9], off
	v_add3_u32 v8, v6, v14, 0x2100
	s_waitcnt vmcnt(0)
	ds_write2_b64 v8, v[16:17], v[18:19] offset1:1
.LBB16_23:
	s_or_b32 exec_lo, exec_lo, s4
	v_add_nc_u32_e32 v8, 24, v13
	s_mov_b32 s4, exec_lo
	v_cmpx_le_i32_e64 s10, v8
	s_xor_b32 s4, exec_lo, s4
	s_cbranch_execz .LBB16_25
; %bb.24:
	v_mov_b32_e32 v16, 0
                                        ; implicit-def: $vgpr6
	v_mov_b32_e32 v17, v16
	v_mov_b32_e32 v18, v16
	;; [unrolled: 1-line block ×3, first 2 shown]
	ds_write_b128 v7, v[16:19] offset:12672
.LBB16_25:
	s_andn2_saveexec_b32 s4, s4
	s_cbranch_execz .LBB16_27
; %bb.26:
	v_mad_u64_u32 v[7:8], null, 0x180, s16, v[4:5]
	v_add3_u32 v6, v6, v14, 0x3180
	v_mad_u64_u32 v[8:9], null, 0x180, s17, v[8:9]
	global_load_dwordx4 v[16:19], v[7:8], off
	s_waitcnt vmcnt(0)
	ds_write2_b64 v6, v[16:17], v[18:19] offset1:1
.LBB16_27:
	s_or_b32 exec_lo, exec_lo, s4
	v_add_co_u32 v4, vcc_lo, v4, v15
	v_add_co_ci_u32_e64 v5, null, 0, v5, vcc_lo
	v_sub_co_u32 v4, vcc_lo, v4, s2
	v_subrev_co_ci_u32_e64 v5, null, s3, v5, vcc_lo
	s_mov_b32 s3, 0
	v_add_co_u32 v4, vcc_lo, v4, 16
	v_add_co_ci_u32_e64 v5, null, 0, v5, vcc_lo
	v_cndmask_b32_e64 v6, v4, v2, s1
	v_cndmask_b32_e64 v7, v5, v3, s1
.LBB16_28:
	s_and_b32 vcc_lo, exec_lo, s3
	s_cbranch_vccz .LBB16_30
; %bb.29:
	s_lshl_b64 s[2:3], s[16:17], 7
	v_add_co_u32 v4, vcc_lo, v2, s2
	v_add_co_ci_u32_e64 v5, null, s3, v3, vcc_lo
	v_add_co_u32 v6, vcc_lo, v4, s2
	v_add_co_ci_u32_e64 v7, null, s3, v5, vcc_lo
	;; [unrolled: 2-line block ×3, first 2 shown]
	s_clause 0x3
	global_load_dwordx4 v[16:19], v[2:3], off
	global_load_dwordx4 v[20:23], v[4:5], off
	;; [unrolled: 1-line block ×4, first 2 shown]
	v_mul_u32_u24_e32 v4, 0x210, v13
	v_mov_b32_e32 v7, v3
	v_mov_b32_e32 v6, v2
	v_lshl_add_u32 v4, v10, 4, v4
	v_add_nc_u32_e32 v5, 0x1080, v4
	v_add_nc_u32_e32 v8, 0x2100, v4
	;; [unrolled: 1-line block ×3, first 2 shown]
	s_waitcnt vmcnt(3)
	ds_write2_b64 v4, v[16:17], v[18:19] offset1:1
	s_waitcnt vmcnt(2)
	ds_write2_b64 v5, v[20:21], v[22:23] offset1:1
	;; [unrolled: 2-line block ×4, first 2 shown]
.LBB16_30:
	v_lshlrev_b32_e32 v18, 2, v13
	v_mul_u32_u24_e32 v16, 0x210, v10
	s_mov_b32 s1, 0
	s_waitcnt lgkmcnt(0)
	s_barrier
	v_cmp_le_u32_e64 s2, v18, v10
	buffer_gl0_inv
                                        ; implicit-def: $vgpr8
	s_and_saveexec_b32 s3, s2
	s_xor_b32 s3, exec_lo, s3
	s_cbranch_execz .LBB16_34
; %bb.31:
	s_mov_b32 s4, exec_lo
                                        ; implicit-def: $vgpr8
	v_cmpx_eq_u32_e64 v18, v10
	s_xor_b32 s4, exec_lo, s4
; %bb.32:
	s_mov_b32 s1, exec_lo
	v_add_nc_u32_e32 v8, v14, v16
; %bb.33:
	s_or_b32 exec_lo, exec_lo, s4
	s_and_b32 s1, s1, exec_lo
.LBB16_34:
	s_or_saveexec_b32 s3, s3
	v_lshl_or_b32 v2, v10, 9, v14
	v_mov_b32_e32 v4, 0
	v_mov_b32_e32 v5, 0
	v_mad_u32_u24 v9, 0x840, v13, v14
	v_lshl_add_u32 v11, v18, 4, v2
	s_xor_b32 exec_lo, exec_lo, s3
	s_cbranch_execz .LBB16_36
; %bb.35:
	ds_read_b128 v[2:5], v9
	v_mov_b32_e32 v8, v11
	s_or_b32 s1, s1, exec_lo
	s_waitcnt lgkmcnt(0)
	v_xor_b32_e32 v5, 0x80000000, v5
	ds_write_b64 v11, v[2:3]
.LBB16_36:
	s_or_b32 exec_lo, exec_lo, s3
	s_and_saveexec_b32 s3, s1
; %bb.37:
	ds_write_b64 v8, v[4:5] offset:8
; %bb.38:
	s_or_b32 exec_lo, exec_lo, s3
	v_or_b32_e32 v19, 1, v18
	v_cmp_ge_u32_e64 s3, v18, v10
	s_mov_b32 s1, 0
                                        ; implicit-def: $vgpr4_vgpr5
                                        ; implicit-def: $vgpr12
	v_mad_u32_u24 v8, 0x210, v19, v14
	s_and_saveexec_b32 s4, s3
	s_xor_b32 s4, exec_lo, s4
	s_cbranch_execnz .LBB16_78
; %bb.39:
	s_andn2_saveexec_b32 s4, s4
	s_cbranch_execnz .LBB16_79
.LBB16_40:
	s_or_b32 exec_lo, exec_lo, s4
	s_and_saveexec_b32 s4, s1
.LBB16_41:
	ds_write_b64 v12, v[4:5] offset:8
.LBB16_42:
	s_or_b32 exec_lo, exec_lo, s4
	v_or_b32_e32 v20, 2, v18
	s_mov_b32 s1, 0
                                        ; implicit-def: $vgpr12
	v_cmp_le_u32_e64 s4, v20, v10
	s_and_saveexec_b32 s5, s4
	s_xor_b32 s5, exec_lo, s5
	s_cbranch_execz .LBB16_46
; %bb.43:
	s_mov_b32 s8, exec_lo
                                        ; implicit-def: $vgpr12
	v_cmpx_eq_u32_e64 v20, v10
; %bb.44:
	v_add_nc_u32_e32 v12, v14, v16
	s_mov_b32 s1, exec_lo
; %bb.45:
	s_or_b32 exec_lo, exec_lo, s8
	s_and_b32 s1, s1, exec_lo
.LBB16_46:
	s_or_saveexec_b32 s5, s5
	v_mov_b32_e32 v4, 0
	v_mov_b32_e32 v5, 0
	s_xor_b32 exec_lo, exec_lo, s5
	s_cbranch_execz .LBB16_48
; %bb.47:
	v_mad_u32_u24 v2, 0x210, v20, v14
	v_add_nc_u32_e32 v12, 32, v11
	s_or_b32 s1, s1, exec_lo
	ds_read_b128 v[2:5], v2
	s_waitcnt lgkmcnt(0)
	v_xor_b32_e32 v5, 0x80000000, v5
	ds_write_b64 v11, v[2:3] offset:32
.LBB16_48:
	s_or_b32 exec_lo, exec_lo, s5
	s_and_saveexec_b32 s5, s1
; %bb.49:
	ds_write_b64 v12, v[4:5] offset:8
; %bb.50:
	s_or_b32 exec_lo, exec_lo, s5
	v_or_b32_e32 v21, 3, v18
	s_mov_b32 s1, 0
                                        ; implicit-def: $vgpr12
	v_cmp_le_u32_e64 s5, v21, v10
	s_and_saveexec_b32 s8, s5
	s_xor_b32 s8, exec_lo, s8
	s_cbranch_execz .LBB16_54
; %bb.51:
	s_mov_b32 s11, exec_lo
                                        ; implicit-def: $vgpr12
	v_cmpx_eq_u32_e64 v21, v10
; %bb.52:
	v_add_nc_u32_e32 v12, v14, v16
	s_mov_b32 s1, exec_lo
; %bb.53:
	s_or_b32 exec_lo, exec_lo, s11
	s_and_b32 s1, s1, exec_lo
                                        ; implicit-def: $vgpr11
.LBB16_54:
	s_or_saveexec_b32 s8, s8
	v_mov_b32_e32 v4, 0
	v_mov_b32_e32 v5, 0
	s_xor_b32 exec_lo, exec_lo, s8
	s_cbranch_execz .LBB16_56
; %bb.55:
	v_mad_u32_u24 v2, 0x210, v21, v14
	v_add_nc_u32_e32 v12, 48, v11
	s_or_b32 s1, s1, exec_lo
	ds_read_b128 v[2:5], v2
	s_waitcnt lgkmcnt(0)
	v_xor_b32_e32 v5, 0x80000000, v5
	ds_write_b64 v11, v[2:3] offset:48
.LBB16_56:
	s_or_b32 exec_lo, exec_lo, s8
	s_and_saveexec_b32 s8, s1
; %bb.57:
	ds_write_b64 v12, v[4:5] offset:8
; %bb.58:
	s_or_b32 exec_lo, exec_lo, s8
	v_lshlrev_b32_e32 v22, 4, v18
	s_waitcnt lgkmcnt(0)
	s_barrier
	buffer_gl0_inv
	ds_read_b128 v[2:5], v9
	ds_read_b128 v[23:26], v22 offset:18176
	ds_read_b128 v[27:30], v8
	ds_read_b128 v[31:34], v8 offset:1056
	ds_read_b128 v[45:48], v22 offset:18192
	;; [unrolled: 1-line block ×4, first 2 shown]
	v_cmp_gt_u32_e64 s1, 32, v44
	s_waitcnt lgkmcnt(5)
	v_mul_f64 v[11:12], v[25:26], v[4:5]
	v_mul_f64 v[4:5], v[23:24], v[4:5]
	s_waitcnt lgkmcnt(2)
	v_mul_f64 v[8:9], v[47:48], v[29:30]
	v_mul_f64 v[29:30], v[45:46], v[29:30]
	s_waitcnt lgkmcnt(0)
	v_mul_f64 v[35:36], v[53:54], v[51:52]
	v_fma_f64 v[11:12], v[23:24], v[2:3], -v[11:12]
	v_fma_f64 v[23:24], v[25:26], v[2:3], v[4:5]
	v_mul_f64 v[25:26], v[55:56], v[51:52]
	v_fma_f64 v[8:9], v[45:46], v[27:28], -v[8:9]
	v_fma_f64 v[27:28], v[47:48], v[27:28], v[29:30]
	ds_read_b128 v[2:5], v22 offset:18224
	v_fma_f64 v[35:36], v[55:56], v[49:50], v[35:36]
	s_waitcnt lgkmcnt(0)
	s_barrier
	buffer_gl0_inv
	v_add_f64 v[11:12], v[11:12], 0
	v_add_f64 v[23:24], v[23:24], 0
	v_fma_f64 v[25:26], v[53:54], v[49:50], -v[25:26]
	v_mul_f64 v[29:30], v[4:5], v[33:34]
	v_mul_f64 v[33:34], v[2:3], v[33:34]
	v_add_f64 v[8:9], v[11:12], v[8:9]
	v_add_f64 v[11:12], v[23:24], v[27:28]
	v_fma_f64 v[2:3], v[2:3], v[31:32], -v[29:30]
	v_fma_f64 v[4:5], v[4:5], v[31:32], v[33:34]
	v_add_f64 v[8:9], v[8:9], v[25:26]
	v_add_f64 v[11:12], v[11:12], v[35:36]
	;; [unrolled: 1-line block ×4, first 2 shown]
	v_mul_u32_u24_e32 v2, 33, v10
	v_mov_b32_e32 v4, 0
	v_mov_b32_e32 v5, 0
	v_lshlrev_b32_e32 v45, 4, v2
	v_mov_b32_e32 v2, 0
	v_mov_b32_e32 v3, 0
	v_lshl_add_u32 v46, v13, 4, v45
	ds_write_b128 v46, v[23:26]
	s_waitcnt lgkmcnt(0)
	s_barrier
	buffer_gl0_inv
	s_and_saveexec_b32 s8, s1
	s_cbranch_execz .LBB16_60
; %bb.59:
	ds_read_b128 v[2:5], v45
	ds_read_b128 v[23:26], v45 offset:16
	s_waitcnt lgkmcnt(0)
	v_add_f64 v[8:9], v[23:24], v[2:3]
	v_add_f64 v[11:12], v[25:26], v[4:5]
	ds_read_b128 v[2:5], v45 offset:32
	ds_read_b128 v[23:26], v45 offset:48
	s_waitcnt lgkmcnt(1)
	v_add_f64 v[2:3], v[8:9], v[2:3]
	v_add_f64 v[4:5], v[11:12], v[4:5]
	s_waitcnt lgkmcnt(0)
	v_add_f64 v[8:9], v[2:3], v[23:24]
	v_add_f64 v[11:12], v[4:5], v[25:26]
	ds_read_b128 v[2:5], v45 offset:64
	ds_read_b128 v[23:26], v45 offset:80
	s_waitcnt lgkmcnt(1)
	v_add_f64 v[2:3], v[8:9], v[2:3]
	v_add_f64 v[4:5], v[11:12], v[4:5]
	;; [unrolled: 8-line block ×3, first 2 shown]
	s_waitcnt lgkmcnt(0)
	v_add_f64 v[2:3], v[2:3], v[23:24]
	v_add_f64 v[4:5], v[4:5], v[25:26]
.LBB16_60:
	s_or_b32 exec_lo, exec_lo, s8
	s_lshl_b64 s[12:13], s[16:17], 9
	v_mad_u32_u24 v17, 0x210, v13, v14
	v_add_co_u32 v23, vcc_lo, v6, s12
	v_add_co_ci_u32_e64 v24, null, s13, v7, vcc_lo
	v_add_co_u32 v6, vcc_lo, 0x200, v23
	v_add_co_ci_u32_e64 v7, null, 0, v24, vcc_lo
	s_and_b32 vcc_lo, exec_lo, s15
	s_barrier
	buffer_gl0_inv
	s_cbranch_vccz .LBB16_82
; %bb.61:
	v_sub_co_u32 v8, vcc_lo, v23, v15
	s_ashr_i32 s11, s10, 31
	v_subrev_co_ci_u32_e64 v9, null, 0, v24, vcc_lo
	s_lshl_b64 s[12:13], s[10:11], 4
	v_or_b32_e32 v11, 32, v10
	v_add_co_u32 v8, vcc_lo, v8, s12
	v_add_co_ci_u32_e64 v9, null, s13, v9, vcc_lo
	s_sub_i32 s11, s10, 32
	v_add_co_u32 v8, vcc_lo, v8, -16
	v_add_co_ci_u32_e64 v9, null, -1, v9, vcc_lo
	v_cmp_gt_i32_e32 vcc_lo, s10, v11
	v_cmp_le_i32_e64 s8, s11, v13
	v_cndmask_b32_e32 v9, v9, v7, vcc_lo
	v_cndmask_b32_e32 v8, v8, v6, vcc_lo
	s_and_saveexec_b32 s18, s8
	s_xor_b32 s8, exec_lo, s18
	s_cbranch_execz .LBB16_63
; %bb.62:
	v_mov_b32_e32 v25, 0
	v_mov_b32_e32 v26, v25
	;; [unrolled: 1-line block ×4, first 2 shown]
	ds_write_b128 v17, v[25:28]
.LBB16_63:
	s_andn2_saveexec_b32 s8, s8
	s_cbranch_execz .LBB16_65
; %bb.64:
	global_load_dwordx4 v[25:28], v[8:9], off
	s_waitcnt vmcnt(0)
	ds_write2_b64 v17, v[25:26], v[27:28] offset1:1
.LBB16_65:
	s_or_b32 exec_lo, exec_lo, s8
	v_add_nc_u32_e32 v11, 8, v13
	v_cmp_le_i32_e64 s8, s11, v11
	v_mad_u32_u24 v11, 0x210, v11, v14
	s_and_saveexec_b32 s18, s8
	s_xor_b32 s8, exec_lo, s18
	s_cbranch_execz .LBB16_67
; %bb.66:
	v_mov_b32_e32 v25, 0
	v_mov_b32_e32 v26, v25
	;; [unrolled: 1-line block ×4, first 2 shown]
	ds_write_b128 v11, v[25:28]
                                        ; implicit-def: $vgpr11
.LBB16_67:
	s_andn2_saveexec_b32 s18, s8
	s_cbranch_execz .LBB16_69
; %bb.68:
	s_lshl_b64 s[28:29], s[16:17], 7
	v_add_co_u32 v25, s8, v8, s28
	v_add_co_ci_u32_e64 v26, null, s29, v9, s8
	global_load_dwordx4 v[25:28], v[25:26], off
	s_waitcnt vmcnt(0)
	ds_write2_b64 v11, v[25:26], v[27:28] offset1:1
.LBB16_69:
	s_or_b32 exec_lo, exec_lo, s18
	v_add_nc_u32_e32 v11, 16, v13
	v_cmp_le_i32_e64 s8, s11, v11
	v_mad_u32_u24 v11, 0x210, v11, v14
	s_and_saveexec_b32 s18, s8
	s_xor_b32 s8, exec_lo, s18
	s_cbranch_execz .LBB16_71
; %bb.70:
	v_mov_b32_e32 v25, 0
	v_mov_b32_e32 v26, v25
	;; [unrolled: 1-line block ×4, first 2 shown]
	ds_write_b128 v11, v[25:28]
                                        ; implicit-def: $vgpr11
.LBB16_71:
	s_andn2_saveexec_b32 s18, s8
	s_cbranch_execz .LBB16_73
; %bb.72:
	s_lshl_b64 s[28:29], s[16:17], 8
	v_add_co_u32 v25, s8, v8, s28
	v_add_co_ci_u32_e64 v26, null, s29, v9, s8
	global_load_dwordx4 v[25:28], v[25:26], off
	s_waitcnt vmcnt(0)
	ds_write2_b64 v11, v[25:26], v[27:28] offset1:1
.LBB16_73:
	s_or_b32 exec_lo, exec_lo, s18
	v_add_nc_u32_e32 v11, 24, v13
	v_cmp_le_i32_e64 s8, s11, v11
	v_mad_u32_u24 v11, 0x210, v11, v14
	s_and_saveexec_b32 s11, s8
	s_xor_b32 s8, exec_lo, s11
	s_cbranch_execz .LBB16_75
; %bb.74:
	v_mov_b32_e32 v25, 0
	v_mov_b32_e32 v26, v25
	;; [unrolled: 1-line block ×4, first 2 shown]
	ds_write_b128 v11, v[25:28]
                                        ; implicit-def: $vgpr11
.LBB16_75:
	s_andn2_saveexec_b32 s8, s8
	s_cbranch_execz .LBB16_77
; %bb.76:
	v_mad_u64_u32 v[25:26], null, 0x180, s16, v[8:9]
	v_mov_b32_e32 v12, v26
	v_mad_u64_u32 v[26:27], null, 0x180, s17, v[12:13]
	global_load_dwordx4 v[25:28], v[25:26], off
	s_waitcnt vmcnt(0)
	ds_write2_b64 v11, v[25:26], v[27:28] offset1:1
.LBB16_77:
	s_or_b32 exec_lo, exec_lo, s8
	v_add_co_u32 v8, s8, v8, v15
	v_add_co_ci_u32_e64 v9, null, 0, v9, s8
	v_sub_co_u32 v8, s8, v8, s12
	v_subrev_co_ci_u32_e64 v9, null, s13, v9, s8
	v_add_co_u32 v8, s8, 0x210, v8
	v_add_co_ci_u32_e64 v9, null, 0, v9, s8
	v_cndmask_b32_e32 v11, v8, v6, vcc_lo
	v_cndmask_b32_e32 v12, v9, v7, vcc_lo
	s_branch .LBB16_84
.LBB16_78:
	ds_read_b128 v[2:5], v8
	s_mov_b32 s1, exec_lo
	v_add_nc_u32_e32 v12, 16, v11
	s_waitcnt lgkmcnt(0)
	v_xor_b32_e32 v5, 0x80000000, v5
	ds_write_b64 v11, v[2:3] offset:16
	s_andn2_saveexec_b32 s4, s4
	s_cbranch_execz .LBB16_40
.LBB16_79:
	s_mov_b32 s5, s1
	s_mov_b32 s8, exec_lo
                                        ; implicit-def: $vgpr12
	v_cmpx_eq_u32_e64 v19, v10
; %bb.80:
	v_add_nc_u32_e32 v12, v14, v16
	s_or_b32 s5, s1, exec_lo
; %bb.81:
	s_or_b32 exec_lo, exec_lo, s8
	v_mov_b32_e32 v4, 0
	v_mov_b32_e32 v5, 0
	s_andn2_b32 s1, s1, exec_lo
	s_and_b32 s5, s5, exec_lo
	s_or_b32 s1, s1, s5
	s_or_b32 exec_lo, exec_lo, s4
	s_and_saveexec_b32 s4, s1
	s_cbranch_execnz .LBB16_41
	s_branch .LBB16_42
.LBB16_82:
                                        ; implicit-def: $vgpr11_vgpr12
	s_cbranch_execz .LBB16_84
; %bb.83:
	s_lshl_b64 s[12:13], s[16:17], 7
	v_add_co_u32 v8, vcc_lo, v23, s12
	v_add_co_ci_u32_e64 v9, null, s13, v24, vcc_lo
	v_add_co_u32 v11, vcc_lo, v8, s12
	v_add_co_ci_u32_e64 v12, null, s13, v9, vcc_lo
	;; [unrolled: 2-line block ×3, first 2 shown]
	s_clause 0x3
	global_load_dwordx4 v[23:26], v[6:7], off
	global_load_dwordx4 v[27:30], v[8:9], off offset:512
	global_load_dwordx4 v[31:34], v[11:12], off offset:512
	;; [unrolled: 1-line block ×3, first 2 shown]
	v_mov_b32_e32 v12, v7
	v_mov_b32_e32 v11, v6
	v_add_nc_u32_e32 v8, 0x1080, v17
	v_add_nc_u32_e32 v9, 0x2100, v17
	;; [unrolled: 1-line block ×3, first 2 shown]
	s_waitcnt vmcnt(3)
	ds_write2_b64 v17, v[23:24], v[25:26] offset1:1
	s_waitcnt vmcnt(2)
	ds_write2_b64 v8, v[27:28], v[29:30] offset1:1
	;; [unrolled: 2-line block ×4, first 2 shown]
.LBB16_84:
	v_mul_u32_u24_e32 v6, 0x840, v13
	s_mov_b32 s8, 0
	s_waitcnt lgkmcnt(0)
	s_barrier
	buffer_gl0_inv
                                        ; implicit-def: $vgpr23
	s_and_saveexec_b32 s11, s2
	s_xor_b32 s2, exec_lo, s11
	s_cbranch_execz .LBB16_88
; %bb.85:
	s_mov_b32 s11, exec_lo
                                        ; implicit-def: $vgpr23
	v_cmpx_eq_u32_e64 v18, v10
	s_xor_b32 s11, exec_lo, s11
; %bb.86:
	v_add_nc_u32_e32 v23, v14, v16
	s_mov_b32 s8, exec_lo
; %bb.87:
	s_or_b32 exec_lo, exec_lo, s11
	s_and_b32 s8, s8, exec_lo
.LBB16_88:
	s_or_saveexec_b32 s2, s2
	v_mov_b32_e32 v8, 0
	v_mov_b32_e32 v9, 0
	v_add_nc_u32_e32 v34, v14, v6
	v_lshl_add_u32 v18, v18, 4, v45
	s_xor_b32 exec_lo, exec_lo, s2
	s_cbranch_execz .LBB16_90
; %bb.89:
	ds_read_b128 v[6:9], v34
	v_mov_b32_e32 v23, v18
	s_or_b32 s8, s8, exec_lo
	s_waitcnt lgkmcnt(0)
	v_xor_b32_e32 v9, 0x80000000, v9
	ds_write_b64 v18, v[6:7]
.LBB16_90:
	s_or_b32 exec_lo, exec_lo, s2
	v_mul_u32_u24_e32 v6, 0x210, v19
	s_and_saveexec_b32 s2, s8
; %bb.91:
	ds_write_b64 v23, v[8:9] offset:8
; %bb.92:
	s_or_b32 exec_lo, exec_lo, s2
	v_add_nc_u32_e32 v47, v14, v6
	s_mov_b32 s2, 0
                                        ; implicit-def: $vgpr8_vgpr9
                                        ; implicit-def: $vgpr23
	s_and_saveexec_b32 s8, s3
	s_xor_b32 s3, exec_lo, s8
	s_cbranch_execnz .LBB16_132
; %bb.93:
	s_andn2_saveexec_b32 s3, s3
	s_cbranch_execnz .LBB16_133
.LBB16_94:
	s_or_b32 exec_lo, exec_lo, s3
	s_and_saveexec_b32 s3, s2
.LBB16_95:
	ds_write_b64 v23, v[8:9] offset:8
.LBB16_96:
	s_or_b32 exec_lo, exec_lo, s3
	s_mov_b32 s2, 0
                                        ; implicit-def: $vgpr19
	s_and_saveexec_b32 s3, s4
	s_xor_b32 s3, exec_lo, s3
	s_cbranch_execz .LBB16_100
; %bb.97:
	s_mov_b32 s4, exec_lo
                                        ; implicit-def: $vgpr19
	v_cmpx_eq_u32_e64 v20, v10
; %bb.98:
	v_add_nc_u32_e32 v19, v14, v16
	s_mov_b32 s2, exec_lo
; %bb.99:
	s_or_b32 exec_lo, exec_lo, s4
	s_and_b32 s2, s2, exec_lo
.LBB16_100:
	s_or_saveexec_b32 s3, s3
	v_mov_b32_e32 v8, 0
	v_mov_b32_e32 v9, 0
	s_xor_b32 exec_lo, exec_lo, s3
	s_cbranch_execz .LBB16_102
; %bb.101:
	ds_read_b128 v[6:9], v47 offset:528
	v_add_nc_u32_e32 v19, 32, v18
	s_or_b32 s2, s2, exec_lo
	s_waitcnt lgkmcnt(0)
	v_xor_b32_e32 v9, 0x80000000, v9
	ds_write_b64 v18, v[6:7] offset:32
.LBB16_102:
	s_or_b32 exec_lo, exec_lo, s3
	s_and_saveexec_b32 s3, s2
; %bb.103:
	ds_write_b64 v19, v[8:9] offset:8
; %bb.104:
	s_or_b32 exec_lo, exec_lo, s3
	s_mov_b32 s2, 0
                                        ; implicit-def: $vgpr19
	s_and_saveexec_b32 s3, s5
	s_xor_b32 s3, exec_lo, s3
	s_cbranch_execz .LBB16_108
; %bb.105:
	s_mov_b32 s4, exec_lo
                                        ; implicit-def: $vgpr19
	v_cmpx_eq_u32_e64 v21, v10
; %bb.106:
	v_add_nc_u32_e32 v19, v14, v16
	s_mov_b32 s2, exec_lo
; %bb.107:
	s_or_b32 exec_lo, exec_lo, s4
	s_and_b32 s2, s2, exec_lo
                                        ; implicit-def: $vgpr18
.LBB16_108:
	s_or_saveexec_b32 s3, s3
	v_mov_b32_e32 v8, 0
	v_mov_b32_e32 v9, 0
	s_xor_b32 exec_lo, exec_lo, s3
	s_cbranch_execz .LBB16_110
; %bb.109:
	ds_read_b128 v[6:9], v47 offset:1056
	v_add_nc_u32_e32 v19, 48, v18
	s_or_b32 s2, s2, exec_lo
	s_waitcnt lgkmcnt(0)
	v_xor_b32_e32 v9, 0x80000000, v9
	ds_write_b64 v18, v[6:7] offset:48
.LBB16_110:
	s_or_b32 exec_lo, exec_lo, s3
	v_add_nc_u32_e32 v16, 0x4700, v22
	s_and_saveexec_b32 s3, s2
; %bb.111:
	ds_write_b64 v19, v[8:9] offset:8
; %bb.112:
	s_or_b32 exec_lo, exec_lo, s3
	s_waitcnt lgkmcnt(0)
	s_barrier
	buffer_gl0_inv
	ds_read_b128 v[6:9], v34
	ds_read_b128 v[18:21], v16 offset:512
	ds_read_b128 v[22:25], v16 offset:528
	ds_read_b128 v[26:29], v47
	ds_read_b128 v[30:33], v47 offset:1056
	ds_read_b128 v[48:51], v16 offset:544
	;; [unrolled: 1-line block ×3, first 2 shown]
	v_cmp_eq_u32_e64 s2, 1, v13
	s_waitcnt lgkmcnt(5)
	v_mul_f64 v[35:36], v[20:21], v[8:9]
	v_mul_f64 v[8:9], v[18:19], v[8:9]
	s_waitcnt lgkmcnt(3)
	v_mul_f64 v[42:43], v[24:25], v[28:29]
	v_mul_f64 v[28:29], v[22:23], v[28:29]
	v_fma_f64 v[18:19], v[18:19], v[6:7], -v[35:36]
	v_fma_f64 v[20:21], v[20:21], v[6:7], v[8:9]
	s_waitcnt lgkmcnt(0)
	v_mul_f64 v[35:36], v[50:51], v[54:55]
	v_mul_f64 v[54:55], v[48:49], v[54:55]
	v_fma_f64 v[22:23], v[22:23], v[26:27], -v[42:43]
	v_fma_f64 v[24:25], v[24:25], v[26:27], v[28:29]
	ds_read_b128 v[6:9], v16 offset:560
	s_waitcnt lgkmcnt(0)
	s_barrier
	buffer_gl0_inv
	v_add_f64 v[18:19], v[18:19], 0
	v_add_f64 v[20:21], v[20:21], 0
	v_mul_f64 v[26:27], v[8:9], v[32:33]
	v_mul_f64 v[28:29], v[6:7], v[32:33]
	v_fma_f64 v[32:33], v[48:49], v[52:53], -v[35:36]
	v_fma_f64 v[35:36], v[50:51], v[52:53], v[54:55]
	v_add_f64 v[18:19], v[18:19], v[22:23]
	v_add_f64 v[20:21], v[20:21], v[24:25]
	v_fma_f64 v[6:7], v[6:7], v[30:31], -v[26:27]
	v_fma_f64 v[8:9], v[8:9], v[30:31], v[28:29]
	v_add_f64 v[18:19], v[18:19], v[32:33]
	v_add_f64 v[20:21], v[20:21], v[35:36]
	;; [unrolled: 1-line block ×4, first 2 shown]
	ds_write_b128 v46, v[6:9]
	s_waitcnt lgkmcnt(0)
	s_barrier
	buffer_gl0_inv
	s_and_saveexec_b32 s3, s2
	s_cbranch_execz .LBB16_114
; %bb.113:
	ds_read_b128 v[2:5], v45
	ds_read_b128 v[6:9], v45 offset:16
	s_waitcnt lgkmcnt(0)
	v_add_f64 v[18:19], v[6:7], v[2:3]
	v_add_f64 v[20:21], v[8:9], v[4:5]
	ds_read_b128 v[2:5], v45 offset:32
	ds_read_b128 v[6:9], v45 offset:48
	s_waitcnt lgkmcnt(1)
	v_add_f64 v[2:3], v[18:19], v[2:3]
	v_add_f64 v[4:5], v[20:21], v[4:5]
	s_waitcnt lgkmcnt(0)
	v_add_f64 v[18:19], v[2:3], v[6:7]
	v_add_f64 v[20:21], v[4:5], v[8:9]
	ds_read_b128 v[2:5], v45 offset:64
	ds_read_b128 v[6:9], v45 offset:80
	s_waitcnt lgkmcnt(1)
	v_add_f64 v[2:3], v[18:19], v[2:3]
	v_add_f64 v[4:5], v[20:21], v[4:5]
	;; [unrolled: 8-line block ×3, first 2 shown]
	s_waitcnt lgkmcnt(0)
	v_add_f64 v[2:3], v[2:3], v[6:7]
	v_add_f64 v[4:5], v[4:5], v[8:9]
.LBB16_114:
	s_or_b32 exec_lo, exec_lo, s3
	v_add_co_u32 v6, vcc_lo, 0xfffffe00, v11
	v_add_co_ci_u32_e64 v7, null, -1, v12, vcc_lo
	s_and_b32 vcc_lo, exec_lo, s15
	s_barrier
	buffer_gl0_inv
	s_cbranch_vccz .LBB16_136
; %bb.115:
	v_sub_co_u32 v8, vcc_lo, v11, v15
	s_ashr_i32 s11, s10, 31
	v_subrev_co_ci_u32_e64 v9, null, 0, v12, vcc_lo
	s_lshl_b64 s[4:5], s[10:11], 4
	s_sub_i32 s8, s10, 32
	v_add_co_u32 v8, vcc_lo, v8, s4
	v_add_co_ci_u32_e64 v9, null, s5, v9, vcc_lo
	v_cmp_le_i32_e64 s3, s8, v13
	v_add_co_u32 v8, vcc_lo, 0xfffffdf0, v8
	v_add_co_ci_u32_e64 v9, null, -1, v9, vcc_lo
	v_cmp_gt_i32_e32 vcc_lo, s10, v10
	v_cndmask_b32_e32 v9, v9, v7, vcc_lo
	v_cndmask_b32_e32 v8, v8, v6, vcc_lo
	s_and_saveexec_b32 s11, s3
	s_xor_b32 s3, exec_lo, s11
	s_cbranch_execz .LBB16_117
; %bb.116:
	v_mov_b32_e32 v18, 0
	v_mov_b32_e32 v19, v18
	;; [unrolled: 1-line block ×4, first 2 shown]
	ds_write_b128 v17, v[18:21]
.LBB16_117:
	s_andn2_saveexec_b32 s3, s3
	s_cbranch_execz .LBB16_119
; %bb.118:
	global_load_dwordx4 v[18:21], v[8:9], off
	s_waitcnt vmcnt(0)
	ds_write2_b64 v17, v[18:19], v[20:21] offset1:1
.LBB16_119:
	s_or_b32 exec_lo, exec_lo, s3
	v_add_nc_u32_e32 v10, 8, v13
	v_cmp_le_i32_e64 s3, s8, v10
	v_mad_u32_u24 v18, 0x210, v10, v14
	s_and_saveexec_b32 s11, s3
	s_xor_b32 s3, exec_lo, s11
	s_cbranch_execz .LBB16_121
; %bb.120:
	v_mov_b32_e32 v19, 0
	v_mov_b32_e32 v20, v19
	;; [unrolled: 1-line block ×4, first 2 shown]
	ds_write_b128 v18, v[19:22]
                                        ; implicit-def: $vgpr18
.LBB16_121:
	s_andn2_saveexec_b32 s11, s3
	s_cbranch_execz .LBB16_123
; %bb.122:
	s_lshl_b64 s[12:13], s[16:17], 7
	v_add_co_u32 v19, s3, v8, s12
	v_add_co_ci_u32_e64 v20, null, s13, v9, s3
	global_load_dwordx4 v[19:22], v[19:20], off
	s_waitcnt vmcnt(0)
	ds_write2_b64 v18, v[19:20], v[21:22] offset1:1
.LBB16_123:
	s_or_b32 exec_lo, exec_lo, s11
	v_add_nc_u32_e32 v19, 16, v13
	v_cmp_le_i32_e64 s3, s8, v19
	v_mad_u32_u24 v18, 0x210, v19, v14
	s_and_saveexec_b32 s11, s3
	s_xor_b32 s3, exec_lo, s11
	s_cbranch_execz .LBB16_125
; %bb.124:
	v_mov_b32_e32 v20, 0
	v_mov_b32_e32 v21, v20
	;; [unrolled: 1-line block ×4, first 2 shown]
	ds_write_b128 v18, v[20:23]
                                        ; implicit-def: $vgpr18
.LBB16_125:
	s_andn2_saveexec_b32 s11, s3
	s_cbranch_execz .LBB16_127
; %bb.126:
	s_lshl_b64 s[12:13], s[16:17], 8
	v_add_co_u32 v20, s3, v8, s12
	v_add_co_ci_u32_e64 v21, null, s13, v9, s3
	global_load_dwordx4 v[20:23], v[20:21], off
	s_waitcnt vmcnt(0)
	ds_write2_b64 v18, v[20:21], v[22:23] offset1:1
.LBB16_127:
	s_or_b32 exec_lo, exec_lo, s11
	v_add_nc_u32_e32 v18, 24, v13
	v_cmp_le_i32_e64 s3, s8, v18
	v_mad_u32_u24 v20, 0x210, v18, v14
	s_and_saveexec_b32 s8, s3
	s_xor_b32 s3, exec_lo, s8
	s_cbranch_execz .LBB16_129
; %bb.128:
	v_mov_b32_e32 v21, 0
	v_mov_b32_e32 v22, v21
	;; [unrolled: 1-line block ×4, first 2 shown]
	ds_write_b128 v20, v[21:24]
                                        ; implicit-def: $vgpr20
.LBB16_129:
	s_andn2_saveexec_b32 s3, s3
	s_cbranch_execz .LBB16_131
; %bb.130:
	v_mad_u64_u32 v[21:22], null, 0x180, s16, v[8:9]
	v_mad_u64_u32 v[22:23], null, 0x180, s17, v[22:23]
	global_load_dwordx4 v[21:24], v[21:22], off
	s_waitcnt vmcnt(0)
	ds_write2_b64 v20, v[21:22], v[23:24] offset1:1
.LBB16_131:
	s_or_b32 exec_lo, exec_lo, s3
	v_add_co_u32 v8, s3, v8, v15
	v_add_co_ci_u32_e64 v9, null, 0, v9, s3
	v_sub_co_u32 v8, s3, v8, s4
	v_subrev_co_ci_u32_e64 v9, null, s5, v9, s3
	v_add_co_u32 v8, s3, v8, 16
	v_add_co_ci_u32_e64 v9, null, 0, v9, s3
	v_cndmask_b32_e32 v42, v8, v6, vcc_lo
	v_cndmask_b32_e32 v43, v9, v7, vcc_lo
	s_branch .LBB16_138
.LBB16_132:
	ds_read_b128 v[6:9], v47
	s_mov_b32 s2, exec_lo
	v_add_nc_u32_e32 v23, 16, v18
                                        ; implicit-def: $vgpr19
	s_waitcnt lgkmcnt(0)
	v_xor_b32_e32 v9, 0x80000000, v9
	ds_write_b64 v18, v[6:7] offset:16
	s_andn2_saveexec_b32 s3, s3
	s_cbranch_execz .LBB16_94
.LBB16_133:
	s_mov_b32 s8, s2
	s_mov_b32 s11, exec_lo
                                        ; implicit-def: $vgpr23
	v_cmpx_eq_u32_e64 v19, v10
; %bb.134:
	v_add_nc_u32_e32 v23, v14, v16
	s_or_b32 s8, s2, exec_lo
; %bb.135:
	s_or_b32 exec_lo, exec_lo, s11
	v_mov_b32_e32 v8, 0
	v_mov_b32_e32 v9, 0
	s_andn2_b32 s2, s2, exec_lo
	s_and_b32 s8, s8, exec_lo
	s_or_b32 s2, s2, s8
	s_or_b32 exec_lo, exec_lo, s3
	s_and_saveexec_b32 s3, s2
	s_cbranch_execnz .LBB16_95
	s_branch .LBB16_96
.LBB16_136:
                                        ; implicit-def: $vgpr42_vgpr43
                                        ; implicit-def: $vgpr10
                                        ; implicit-def: $vgpr19
                                        ; implicit-def: $vgpr18
	s_cbranch_execz .LBB16_138
; %bb.137:
	s_lshl_b64 s[4:5], s[16:17], 7
	v_mov_b32_e32 v43, v7
	v_add_co_u32 v8, vcc_lo, v11, s4
	v_add_co_ci_u32_e64 v9, null, s5, v12, vcc_lo
	v_mov_b32_e32 v42, v6
	v_add_co_u32 v10, vcc_lo, v8, s4
	v_add_co_ci_u32_e64 v11, null, s5, v9, vcc_lo
	v_add_co_u32 v18, vcc_lo, v10, s4
	v_add_co_ci_u32_e64 v19, null, s5, v11, vcc_lo
	s_clause 0x3
	global_load_dwordx4 v[20:23], v[6:7], off
	global_load_dwordx4 v[24:27], v[8:9], off offset:-512
	global_load_dwordx4 v[28:31], v[10:11], off offset:-512
	;; [unrolled: 1-line block ×3, first 2 shown]
	v_add_nc_u32_e32 v10, 8, v13
	v_add_nc_u32_e32 v19, 16, v13
	;; [unrolled: 1-line block ×3, first 2 shown]
	v_mad_u32_u24 v8, 0x210, v10, v14
	v_add_nc_u32_e32 v9, 0x1080, v8
	v_add_nc_u32_e32 v11, 0x2100, v8
	s_waitcnt vmcnt(3)
	ds_write2_b64 v17, v[20:21], v[22:23] offset1:1
	s_waitcnt vmcnt(2)
	ds_write2_b64 v8, v[24:25], v[26:27] offset1:1
	;; [unrolled: 2-line block ×4, first 2 shown]
.LBB16_138:
	v_lshlrev_b32_e32 v11, 4, v13
	s_waitcnt lgkmcnt(0)
	s_barrier
	buffer_gl0_inv
	v_lshlrev_b32_e32 v10, 4, v10
	v_add_nc_u32_e32 v6, v45, v11
	ds_read_b128 v[6:9], v6
	ds_read_b128 v[11:14], v11 offset:18176
	v_add_nc_u32_e32 v15, v45, v10
	ds_read_b128 v[20:23], v15
	ds_read_b128 v[24:27], v10 offset:18176
	v_lshlrev_b32_e32 v10, 4, v19
	v_add_nc_u32_e32 v15, v45, v10
	ds_read_b128 v[28:31], v15
	ds_read_b128 v[48:51], v10 offset:18176
	v_lshlrev_b32_e32 v10, 4, v18
	s_waitcnt lgkmcnt(4)
	v_mul_f64 v[32:33], v[8:9], v[13:14]
	v_mul_f64 v[8:9], v[8:9], v[11:12]
	s_waitcnt lgkmcnt(2)
	v_mul_f64 v[35:36], v[22:23], v[26:27]
	v_mul_f64 v[22:23], v[22:23], v[24:25]
	;; [unrolled: 3-line block ×3, first 2 shown]
	v_fma_f64 v[32:33], v[6:7], v[11:12], v[32:33]
	v_fma_f64 v[14:15], v[6:7], v[13:14], -v[8:9]
	v_add_nc_u32_e32 v6, v45, v10
	ds_read_b128 v[6:9], v6
	ds_read_b128 v[10:13], v10 offset:18176
	v_fma_f64 v[24:25], v[20:21], v[24:25], v[35:36]
	v_fma_f64 v[19:20], v[20:21], v[26:27], -v[22:23]
	v_fma_f64 v[17:18], v[28:29], v[48:49], v[17:18]
	v_fma_f64 v[28:29], v[28:29], v[50:51], -v[30:31]
	v_add_f64 v[21:22], v[32:33], 0
	v_add_f64 v[14:15], v[14:15], 0
	s_waitcnt lgkmcnt(0)
	v_mul_f64 v[26:27], v[8:9], v[12:13]
	v_mul_f64 v[8:9], v[8:9], v[10:11]
	v_add_f64 v[21:22], v[21:22], v[24:25]
	v_add_f64 v[14:15], v[14:15], v[19:20]
	v_fma_f64 v[10:11], v[6:7], v[10:11], v[26:27]
	v_fma_f64 v[6:7], v[6:7], v[12:13], -v[8:9]
	v_add_f64 v[8:9], v[21:22], v[17:18]
	v_add_f64 v[12:13], v[14:15], v[28:29]
	ds_read_b128 v[30:33], v16 offset:512
	ds_read_b128 v[22:25], v16 offset:528
	v_add_f64 v[48:49], v[8:9], v[10:11]
	v_add_f64 v[50:51], v[12:13], v[6:7]
	ds_read_b128 v[10:13], v16 offset:544
	ds_read_b128 v[6:9], v16 offset:560
	ds_read_b128 v[26:29], v47
	ds_read_b128 v[18:21], v47 offset:528
	ds_read_b128 v[34:37], v34
	ds_read_b128 v[14:17], v47 offset:1056
	s_waitcnt lgkmcnt(0)
	s_barrier
	buffer_gl0_inv
	ds_write_b128 v46, v[48:51]
	s_waitcnt lgkmcnt(0)
	s_barrier
	buffer_gl0_inv
	s_and_saveexec_b32 s3, s2
	s_cbranch_execz .LBB16_140
; %bb.139:
	ds_read_b128 v[47:50], v45
	ds_read_b128 v[51:54], v45 offset:16
	s_waitcnt lgkmcnt(1)
	v_add_f64 v[2:3], v[2:3], v[47:48]
	v_add_f64 v[4:5], v[4:5], v[49:50]
	s_waitcnt lgkmcnt(0)
	v_add_f64 v[51:52], v[2:3], v[51:52]
	v_add_f64 v[53:54], v[4:5], v[53:54]
	ds_read_b128 v[2:5], v45 offset:32
	ds_read_b128 v[47:50], v45 offset:48
	s_waitcnt lgkmcnt(1)
	v_add_f64 v[2:3], v[51:52], v[2:3]
	v_add_f64 v[4:5], v[53:54], v[4:5]
	s_waitcnt lgkmcnt(0)
	v_add_f64 v[51:52], v[2:3], v[47:48]
	v_add_f64 v[53:54], v[4:5], v[49:50]
	ds_read_b128 v[2:5], v45 offset:64
	;; [unrolled: 8-line block ×3, first 2 shown]
	ds_read_b128 v[47:50], v45 offset:112
	s_waitcnt lgkmcnt(1)
	v_add_f64 v[2:3], v[51:52], v[2:3]
	v_add_f64 v[4:5], v[53:54], v[4:5]
	s_waitcnt lgkmcnt(0)
	v_add_f64 v[2:3], v[2:3], v[47:48]
	v_add_f64 v[4:5], v[4:5], v[49:50]
.LBB16_140:
	s_or_b32 exec_lo, exec_lo, s3
	v_mul_f64 v[47:48], v[32:33], v[36:37]
	v_mul_f64 v[36:37], v[30:31], v[36:37]
	;; [unrolled: 1-line block ×4, first 2 shown]
	s_barrier
	buffer_gl0_inv
	v_fma_f64 v[30:31], v[30:31], v[34:35], -v[47:48]
	v_fma_f64 v[32:33], v[32:33], v[34:35], v[36:37]
	v_mul_f64 v[34:35], v[12:13], v[20:21]
	v_mul_f64 v[20:21], v[10:11], v[20:21]
	v_fma_f64 v[22:23], v[22:23], v[26:27], -v[49:50]
	v_fma_f64 v[24:25], v[24:25], v[26:27], v[28:29]
	v_add_f64 v[26:27], v[30:31], 0
	v_add_f64 v[28:29], v[32:33], 0
	v_mul_f64 v[30:31], v[8:9], v[16:17]
	v_mul_f64 v[16:17], v[6:7], v[16:17]
	v_fma_f64 v[10:11], v[10:11], v[18:19], -v[34:35]
	v_fma_f64 v[12:13], v[12:13], v[18:19], v[20:21]
	v_add_f64 v[18:19], v[26:27], v[22:23]
	v_add_f64 v[20:21], v[28:29], v[24:25]
	v_fma_f64 v[6:7], v[6:7], v[14:15], -v[30:31]
	v_fma_f64 v[8:9], v[8:9], v[14:15], v[16:17]
	v_add_f64 v[10:11], v[18:19], v[10:11]
	v_add_f64 v[12:13], v[20:21], v[12:13]
	v_add_f64 v[6:7], v[10:11], v[6:7]
	v_add_f64 v[8:9], v[12:13], v[8:9]
	ds_write_b128 v46, v[6:9]
	s_waitcnt lgkmcnt(0)
	s_barrier
	buffer_gl0_inv
	s_and_saveexec_b32 s2, s1
	s_cbranch_execz .LBB16_142
; %bb.141:
	ds_read_b128 v[6:9], v45
	ds_read_b128 v[10:13], v45 offset:16
	s_waitcnt lgkmcnt(1)
	v_add_f64 v[2:3], v[2:3], v[6:7]
	v_add_f64 v[4:5], v[4:5], v[8:9]
	s_waitcnt lgkmcnt(0)
	v_add_f64 v[10:11], v[2:3], v[10:11]
	v_add_f64 v[12:13], v[4:5], v[12:13]
	ds_read_b128 v[2:5], v45 offset:32
	ds_read_b128 v[6:9], v45 offset:48
	s_waitcnt lgkmcnt(1)
	v_add_f64 v[2:3], v[10:11], v[2:3]
	v_add_f64 v[4:5], v[12:13], v[4:5]
	s_waitcnt lgkmcnt(0)
	v_add_f64 v[10:11], v[2:3], v[6:7]
	v_add_f64 v[12:13], v[4:5], v[8:9]
	ds_read_b128 v[2:5], v45 offset:64
	;; [unrolled: 8-line block ×3, first 2 shown]
	ds_read_b128 v[6:9], v45 offset:112
	s_waitcnt lgkmcnt(1)
	v_add_f64 v[2:3], v[10:11], v[2:3]
	v_add_f64 v[4:5], v[12:13], v[4:5]
	s_waitcnt lgkmcnt(0)
	v_add_f64 v[2:3], v[2:3], v[6:7]
	v_add_f64 v[4:5], v[4:5], v[8:9]
.LBB16_142:
	s_or_b32 exec_lo, exec_lo, s2
	s_mul_hi_u32 s1, s23, s7
	s_mul_i32 s26, s26, s7
	s_mul_i32 s2, s23, s7
	s_add_i32 s1, s1, s26
	s_mul_hi_u32 s3, s2, s9
	s_mul_i32 s1, s1, s9
	s_mul_i32 s2, s2, s9
	s_add_i32 s3, s3, s1
	s_mul_hi_i32 s5, s23, s6
	s_lshl_b64 s[2:3], s[2:3], 4
	s_mul_i32 s4, s23, s6
	s_add_u32 s1, s34, s2
	s_addc_u32 s2, s35, s3
	s_lshl_b64 s[4:5], s[4:5], 4
	v_lshlrev_b32_e32 v169, 4, v0
	s_add_u32 s3, s1, s4
	s_addc_u32 s7, s2, s5
	s_add_i32 s1, s6, 1
	s_cmp_ge_u32 s1, s9
	s_barrier
	buffer_gl0_inv
	s_cbranch_scc1 .LBB16_200
; %bb.143:
	v_and_b32_e32 v8, 48, v0
	v_lshlrev_b32_e32 v15, 6, v1
	v_lshrrev_b32_e32 v6, 4, v44
	v_and_b32_e32 v7, 15, v0
	v_or_b32_e32 v10, 0xf0, v169
	v_lshlrev_b32_e32 v8, 4, v8
	v_add_nc_u32_e32 v11, 0x530, v15
	v_lshlrev_b32_e32 v9, 6, v6
	v_mul_i32_i24_e32 v16, 0xffffffd0, v6
	v_mad_u32_u24 v179, 0x430, v7, v10
	v_mad_u32_u24 v178, 0x430, v7, v8
	v_add_nc_u32_e32 v8, 0x200, v15
	v_mad_u32_u24 v177, 0x430, v7, v9
	s_mul_i32 s1, s24, s21
	s_mul_hi_u32 s2, s24, s20
	s_mul_i32 s4, s25, s20
	v_mad_u64_u32 v[6:7], null, s16, v8, 0
	s_add_i32 s1, s2, s1
	v_add_nc_u32_e32 v13, 0x220, v15
	s_add_i32 s5, s1, s4
	s_mul_i32 s4, s24, s20
	v_add_nc_u32_e32 v18, 0x210, v15
	s_lshl_b64 s[4:5], s[4:5], 4
	v_mad_u64_u32 v[7:8], null, s17, v8, v[7:8]
	v_mad_u64_u32 v[8:9], null, s16, v11, 0
	v_sub_co_u32 v171, vcc_lo, v40, s4
	v_subrev_co_ci_u32_e64 v172, null, s5, v41, vcc_lo
	v_sub_co_u32 v6, vcc_lo, v6, v38
	v_sub_co_ci_u32_e64 v14, null, v7, v39, vcc_lo
	v_mov_b32_e32 v7, v9
	v_mad_u64_u32 v[9:10], null, s16, v13, 0
	v_or_b32_e32 v17, 8, v6
	v_add_nc_u32_e32 v174, 0x4300, v15
	v_mad_u64_u32 v[11:12], null, s17, v11, v[7:8]
	v_lshlrev_b32_e32 v170, 2, v1
	v_add_co_u32 v195, vcc_lo, v42, v17
	v_add_co_ci_u32_e64 v196, null, v43, v14, vcc_lo
	v_mov_b32_e32 v7, v10
	v_add_nc_u32_e32 v14, 0x520, v15
	v_sub_co_u32 v12, vcc_lo, v8, v38
	v_sub_co_ci_u32_e64 v17, null, v11, v39, vcc_lo
	v_mad_u64_u32 v[7:8], null, s17, v13, v[7:8]
	v_mad_u64_u32 v[10:11], null, s16, v14, 0
	v_add_co_u32 v197, vcc_lo, v42, v12
	v_mad_u64_u32 v[12:13], null, s16, v18, 0
	v_add_co_ci_u32_e64 v198, null, v43, v17, vcc_lo
	v_sub_co_u32 v8, vcc_lo, v9, v38
	v_sub_co_ci_u32_e64 v9, null, v7, v39, vcc_lo
	v_mov_b32_e32 v7, v11
	v_add_co_u32 v199, vcc_lo, v42, v8
	v_mov_b32_e32 v8, v13
	v_add_nc_u32_e32 v11, 0x510, v15
	v_add_co_ci_u32_e64 v200, null, v43, v9, vcc_lo
	v_add_nc_u32_e32 v17, 0x230, v15
	v_mad_u64_u32 v[13:14], null, s17, v14, v[7:8]
	v_mad_u64_u32 v[7:8], null, s17, v18, v[8:9]
	;; [unrolled: 1-line block ×3, first 2 shown]
	v_sub_co_u32 v12, vcc_lo, v12, v38
	v_sub_co_u32 v14, s2, v10, v38
	v_sub_co_ci_u32_e64 v18, null, v7, v39, vcc_lo
	v_mov_b32_e32 v7, v9
	v_mad_u64_u32 v[9:10], null, s16, v17, 0
	v_sub_co_ci_u32_e64 v13, null, v13, v39, s2
	v_or_b32_e32 v19, 8, v12
	v_mad_u64_u32 v[11:12], null, s17, v11, v[7:8]
	v_add_co_u32 v201, vcc_lo, v42, v14
	v_mov_b32_e32 v7, v10
	v_add_co_ci_u32_e64 v202, null, v43, v13, vcc_lo
	v_add_co_u32 v203, vcc_lo, v42, v19
	v_add_co_ci_u32_e64 v204, null, v43, v18, vcc_lo
	v_sub_co_u32 v12, vcc_lo, v8, v38
	v_add_nc_u32_e32 v14, 0x500, v15
	v_mad_u64_u32 v[7:8], null, s17, v17, v[7:8]
	v_add_nc_u32_e32 v17, 0x300, v15
	v_sub_co_ci_u32_e64 v13, null, v11, v39, vcc_lo
	v_mad_u64_u32 v[10:11], null, s16, v14, 0
	v_sub_co_u32 v18, vcc_lo, v9, v38
	v_mad_u64_u32 v[8:9], null, s16, v17, 0
	v_add_co_u32 v205, s2, v42, v12
	v_or_b32_e32 v18, 8, v18
	v_add_co_ci_u32_e64 v206, null, v43, v13, s2
	v_sub_co_ci_u32_e64 v13, null, v7, v39, vcc_lo
	v_mad_u64_u32 v[11:12], null, s17, v14, v[11:12]
	v_mov_b32_e32 v7, v9
	v_add_co_u32 v207, vcc_lo, v42, v18
	v_add_co_ci_u32_e64 v208, null, v43, v13, vcc_lo
	v_mad_u64_u32 v[12:13], null, s17, v17, v[7:8]
	v_sub_co_u32 v13, vcc_lo, v10, v38
	v_sub_co_ci_u32_e64 v11, null, v11, v39, vcc_lo
	v_add_nc_u32_e32 v14, 0x430, v15
	v_sub_co_u32 v9, vcc_lo, v8, v38
	v_add_nc_u32_e32 v17, 0x310, v15
	v_sub_co_ci_u32_e64 v12, null, v12, v39, vcc_lo
	v_mad_u64_u32 v[7:8], null, s16, v14, 0
	v_or_b32_e32 v18, 8, v9
	v_mad_u64_u32 v[9:10], null, s16, v17, 0
	v_add_co_u32 v209, vcc_lo, v42, v13
	v_add_co_ci_u32_e64 v210, null, v43, v11, vcc_lo
	v_add_co_u32 v211, vcc_lo, v42, v18
	v_add_co_ci_u32_e64 v212, null, v43, v12, vcc_lo
	v_mad_u64_u32 v[11:12], null, s17, v14, v[8:9]
	v_add_nc_u32_e32 v14, 0x420, v15
	v_add_nc_u32_e32 v173, 0x4300, v169
	;; [unrolled: 1-line block ×3, first 2 shown]
	v_mad_u32_u24 v176, 0x10c0, v1, v169
	v_cmp_gt_u32_e64 s1, 64, v44
	v_or_b32_e32 v180, 1, v170
	v_mad_u64_u32 v[12:13], null, s17, v17, v[10:11]
	v_sub_co_u32 v10, vcc_lo, v9, v38
	v_mad_u64_u32 v[8:9], null, s16, v14, 0
	v_add_nc_u32_e32 v17, 0x320, v15
	v_sub_co_u32 v13, s2, v7, v38
	v_sub_co_ci_u32_e64 v11, null, v11, v39, s2
	v_or_b32_e32 v19, 8, v10
	v_mov_b32_e32 v7, v9
	v_mad_u64_u32 v[9:10], null, s16, v17, 0
	v_sub_co_ci_u32_e64 v18, null, v12, v39, vcc_lo
	v_add_co_u32 v213, vcc_lo, v42, v13
	v_add_co_ci_u32_e64 v214, null, v43, v11, vcc_lo
	v_mad_u64_u32 v[11:12], null, s17, v14, v[7:8]
	v_mov_b32_e32 v7, v10
	v_add_nc_u32_e32 v12, 0x410, v15
	v_add_co_u32 v215, vcc_lo, v42, v19
	v_add_co_ci_u32_e64 v216, null, v43, v18, vcc_lo
	v_sub_co_u32 v13, vcc_lo, v8, v38
	v_sub_co_ci_u32_e64 v14, null, v11, v39, vcc_lo
	v_mad_u64_u32 v[7:8], null, s17, v17, v[7:8]
	v_mad_u64_u32 v[10:11], null, s16, v12, 0
	v_sub_co_u32 v8, vcc_lo, v9, v38
	v_add_co_u32 v217, s2, v42, v13
	v_sub_co_ci_u32_e64 v13, null, v7, v39, vcc_lo
	v_mov_b32_e32 v7, v11
	v_add_nc_u32_e32 v17, 0x330, v15
	v_add_nc_u32_e32 v15, 0x400, v15
	v_add_co_ci_u32_e64 v218, null, v43, v14, s2
	v_or_b32_e32 v14, 8, v8
	v_mad_u64_u32 v[7:8], null, s17, v12, v[7:8]
	v_mad_u64_u32 v[8:9], null, s16, v17, 0
	;; [unrolled: 1-line block ×3, first 2 shown]
	v_add_co_u32 v219, vcc_lo, v42, v14
	v_add_co_ci_u32_e64 v220, null, v43, v13, vcc_lo
	v_sub_co_u32 v10, vcc_lo, v10, v38
	v_sub_co_ci_u32_e64 v13, null, v7, v39, vcc_lo
	v_mov_b32_e32 v7, v9
	v_mov_b32_e32 v9, v12
	v_add_co_u32 v221, vcc_lo, v42, v10
	v_add_co_ci_u32_e64 v222, null, v43, v13, vcc_lo
	v_mad_u64_u32 v[12:13], null, s17, v17, v[7:8]
	v_sub_co_u32 v7, vcc_lo, v8, v38
	v_mad_u64_u32 v[9:10], null, s17, v15, v[9:10]
	v_sub_co_u32 v8, s2, v11, v38
	v_or_b32_e32 v7, 8, v7
	v_sub_co_ci_u32_e64 v10, null, v12, v39, vcc_lo
	v_or_b32_e32 v8, 8, v8
	v_sub_co_ci_u32_e64 v9, null, v9, v39, s2
	v_add_co_u32 v223, vcc_lo, v42, v7
	v_add_co_ci_u32_e64 v224, null, v43, v10, vcc_lo
	v_add_co_u32 v225, vcc_lo, v42, v8
	v_or_b32_e32 v181, 2, v170
	v_or_b32_e32 v182, 3, v170
	v_add_nc_u32_e32 v183, 16, v170
	v_add_nc_u32_e32 v184, 17, v170
	;; [unrolled: 1-line block ×12, first 2 shown]
	v_mov_b32_e32 v6, 0
	v_add_co_ci_u32_e64 v226, null, v43, v9, vcc_lo
	v_add_nc_u32_e32 v227, v177, v16
	s_add_i32 s8, s9, -2
	s_add_i32 s11, s20, 64
	s_lshl_b64 s[4:5], s[16:17], 10
	s_cmp_eq_u32 s8, s6
	s_cselect_b32 s12, s22, 0
	s_and_saveexec_b32 s2, s0
	s_cbranch_execz .LBB16_148
.LBB16_144:
	v_cmp_le_i32_e32 vcc_lo, s12, v0
	s_cmp_lg_u32 s12, 0
	s_cselect_b32 s13, -1, 0
	s_and_b32 s13, s13, vcc_lo
	s_and_saveexec_b32 s15, s13
	s_xor_b32 s13, exec_lo, s15
	s_cbranch_execz .LBB16_146
; %bb.145:
	v_mov_b32_e32 v7, v6
	v_mov_b32_e32 v8, v6
	;; [unrolled: 1-line block ×3, first 2 shown]
	ds_write_b128 v173, v[6:9]
.LBB16_146:
	s_andn2_saveexec_b32 s13, s13
	s_cbranch_execz .LBB16_148
; %bb.147:
	s_ashr_i32 s13, s11, 31
	s_mul_hi_u32 s15, s24, s11
	s_mul_i32 s13, s24, s13
	s_mul_i32 s17, s25, s11
	s_add_i32 s13, s15, s13
	s_mul_i32 s16, s24, s11
	s_add_i32 s17, s13, s17
	s_lshl_b64 s[16:17], s[16:17], 4
	v_add_co_u32 v7, vcc_lo, v171, s16
	v_add_co_ci_u32_e64 v8, null, s17, v172, vcc_lo
	global_load_dwordx4 v[7:10], v[7:8], off
	s_waitcnt vmcnt(0)
	ds_write2_b64 v173, v[7:8], v[9:10] offset1:1
.LBB16_148:                             ; =>This Inner Loop Header: Depth=1
	s_or_b32 exec_lo, exec_lo, s2
	s_cmp_eq_u32 s12, 0
	v_add_co_u32 v19, vcc_lo, v195, v169
	s_cselect_b32 s13, -1, 0
	s_cmp_lg_u32 s12, 0
	v_add_co_ci_u32_e64 v20, null, 0, v196, vcc_lo
	s_cselect_b32 s2, -1, 0
	s_waitcnt lgkmcnt(0)
	s_and_b32 vcc_lo, exec_lo, s2
	s_barrier
	buffer_gl0_inv
	s_cbranch_vccz .LBB16_156
; %bb.149:                              ;   in Loop: Header=BB16_148 Depth=1
	v_mov_b32_e32 v7, 0
	v_mov_b32_e32 v11, 0
	v_mov_b32_e32 v13, 0
	v_mov_b32_e32 v8, 0
	v_mov_b32_e32 v12, 0
	v_mov_b32_e32 v14, 0
	s_mov_b32 s15, exec_lo
	v_cmpx_gt_i32_e64 s12, v170
	s_cbranch_execz .LBB16_151
; %bb.150:                              ;   in Loop: Header=BB16_148 Depth=1
	global_load_dwordx4 v[11:14], v[19:20], off offset:-8
.LBB16_151:                             ;   in Loop: Header=BB16_148 Depth=1
	s_or_b32 exec_lo, exec_lo, s15
	v_mov_b32_e32 v9, 0
	v_mov_b32_e32 v10, 0
	s_mov_b32 s15, exec_lo
	v_cmpx_gt_i32_e64 s12, v180
	s_cbranch_execz .LBB16_153
; %bb.152:                              ;   in Loop: Header=BB16_148 Depth=1
	v_add_co_u32 v7, vcc_lo, v203, v169
	v_add_co_ci_u32_e64 v8, null, 0, v204, vcc_lo
	global_load_dwordx4 v[7:10], v[7:8], off offset:-8
.LBB16_153:                             ;   in Loop: Header=BB16_148 Depth=1
	s_or_b32 exec_lo, exec_lo, s15
	v_mov_b32_e32 v15, 0
	v_mov_b32_e32 v17, 0
	;; [unrolled: 1-line block ×4, first 2 shown]
	s_mov_b32 s15, exec_lo
	v_cmpx_gt_i32_e64 s12, v181
	s_cbranch_execz .LBB16_155
; %bb.154:                              ;   in Loop: Header=BB16_148 Depth=1
	v_add_co_u32 v15, vcc_lo, v199, v169
	v_add_co_ci_u32_e64 v16, null, 0, v200, vcc_lo
	global_load_dwordx4 v[15:18], v[15:16], off
.LBB16_155:                             ;   in Loop: Header=BB16_148 Depth=1
	s_or_b32 exec_lo, exec_lo, s15
	v_cmp_gt_i32_e64 s15, s12, v182
	s_branch .LBB16_158
.LBB16_156:                             ;   in Loop: Header=BB16_148 Depth=1
	s_mov_b32 s15, 0
                                        ; implicit-def: $vgpr17_vgpr18
                                        ; implicit-def: $vgpr9_vgpr10
                                        ; implicit-def: $vgpr13_vgpr14
	s_cbranch_execz .LBB16_158
; %bb.157:                              ;   in Loop: Header=BB16_148 Depth=1
	s_waitcnt vmcnt(0)
	v_add_co_u32 v7, vcc_lo, v203, v169
	v_add_co_ci_u32_e64 v8, null, 0, v204, vcc_lo
	v_add_co_u32 v15, vcc_lo, v199, v169
	v_add_co_ci_u32_e64 v16, null, 0, v200, vcc_lo
	global_load_dwordx4 v[11:14], v[19:20], off offset:-8
	global_load_dwordx4 v[7:10], v[7:8], off offset:-8
	global_load_dwordx4 v[15:18], v[15:16], off
	s_or_b32 s15, s15, exec_lo
.LBB16_158:                             ;   in Loop: Header=BB16_148 Depth=1
	v_mov_b32_e32 v19, 0
	v_mov_b32_e32 v21, 0
	;; [unrolled: 1-line block ×4, first 2 shown]
	s_and_saveexec_b32 s16, s15
	s_cbranch_execz .LBB16_160
; %bb.159:                              ;   in Loop: Header=BB16_148 Depth=1
	v_add_co_u32 v19, vcc_lo, v207, v169
	v_add_co_ci_u32_e64 v20, null, 0, v208, vcc_lo
	global_load_dwordx4 v[19:22], v[19:20], off offset:-8
.LBB16_160:                             ;   in Loop: Header=BB16_148 Depth=1
	s_or_b32 exec_lo, exec_lo, s16
	ds_read_b128 v[23:26], v175
	v_cndmask_b32_e64 v119, 0, 1, s2
	s_waitcnt vmcnt(0) lgkmcnt(0)
	v_mul_f64 v[27:28], v[13:14], v[25:26]
	v_mul_f64 v[29:30], v[13:14], v[23:24]
	;; [unrolled: 1-line block ×8, first 2 shown]
	v_fma_f64 v[39:40], v[11:12], v[23:24], v[27:28]
	v_fma_f64 v[41:42], v[11:12], v[25:26], -v[29:30]
	v_fma_f64 v[43:44], v[7:8], v[23:24], v[31:32]
	v_fma_f64 v[45:46], v[7:8], v[25:26], -v[33:34]
	;; [unrolled: 2-line block ×4, first 2 shown]
	ds_read_b128 v[35:38], v174
	ds_read_b128 v[31:34], v174 offset:16
	ds_read_b128 v[27:30], v174 offset:32
	;; [unrolled: 1-line block ×3, first 2 shown]
	ds_write_b128 v176, v[39:42]
	ds_write_b128 v176, v[43:46] offset:1072
	ds_write_b128 v176, v[47:50] offset:2144
	;; [unrolled: 1-line block ×3, first 2 shown]
	s_waitcnt lgkmcnt(0)
	s_barrier
	buffer_gl0_inv
	ds_read_b128 v[99:102], v177
	ds_read_b128 v[95:98], v177 offset:16
	ds_read_b128 v[91:94], v177 offset:32
	;; [unrolled: 1-line block ×3, first 2 shown]
	v_add_co_u32 v51, vcc_lo, v211, v169
	v_add_co_ci_u32_e64 v52, null, 0, v212, vcc_lo
	s_andn2_b32 vcc_lo, exec_lo, s2
	s_waitcnt lgkmcnt(0)
	s_barrier
	buffer_gl0_inv
	s_cbranch_vccnz .LBB16_168
; %bb.161:                              ;   in Loop: Header=BB16_148 Depth=1
	v_mov_b32_e32 v39, 0
	v_mov_b32_e32 v43, 0
	;; [unrolled: 1-line block ×6, first 2 shown]
	s_mov_b32 s2, exec_lo
	v_cmpx_gt_i32_e64 s12, v183
	s_cbranch_execz .LBB16_163
; %bb.162:                              ;   in Loop: Header=BB16_148 Depth=1
	global_load_dwordx4 v[43:46], v[51:52], off offset:-8
.LBB16_163:                             ;   in Loop: Header=BB16_148 Depth=1
	s_or_b32 exec_lo, exec_lo, s2
	v_mov_b32_e32 v41, 0
	v_mov_b32_e32 v42, 0
	s_mov_b32 s2, exec_lo
	v_cmpx_gt_i32_e64 s12, v184
	s_cbranch_execz .LBB16_165
; %bb.164:                              ;   in Loop: Header=BB16_148 Depth=1
	v_add_co_u32 v39, vcc_lo, v215, v169
	v_add_co_ci_u32_e64 v40, null, 0, v216, vcc_lo
	global_load_dwordx4 v[39:42], v[39:40], off offset:-8
.LBB16_165:                             ;   in Loop: Header=BB16_148 Depth=1
	s_or_b32 exec_lo, exec_lo, s2
	v_mov_b32_e32 v47, 0
	v_mov_b32_e32 v49, 0
	;; [unrolled: 1-line block ×4, first 2 shown]
	s_mov_b32 s2, exec_lo
	v_cmpx_gt_i32_e64 s12, v185
	s_cbranch_execz .LBB16_167
; %bb.166:                              ;   in Loop: Header=BB16_148 Depth=1
	v_add_co_u32 v47, vcc_lo, v219, v169
	v_add_co_ci_u32_e64 v48, null, 0, v220, vcc_lo
	global_load_dwordx4 v[47:50], v[47:48], off offset:-8
.LBB16_167:                             ;   in Loop: Header=BB16_148 Depth=1
	s_or_b32 exec_lo, exec_lo, s2
	v_cmp_gt_i32_e64 s2, s12, v186
	s_branch .LBB16_170
.LBB16_168:                             ;   in Loop: Header=BB16_148 Depth=1
	s_mov_b32 s2, 0
                                        ; implicit-def: $vgpr49_vgpr50
                                        ; implicit-def: $vgpr41_vgpr42
                                        ; implicit-def: $vgpr45_vgpr46
	s_cbranch_execz .LBB16_170
; %bb.169:                              ;   in Loop: Header=BB16_148 Depth=1
	s_waitcnt vmcnt(0)
	v_add_co_u32 v39, vcc_lo, v215, v169
	v_add_co_ci_u32_e64 v40, null, 0, v216, vcc_lo
	v_add_co_u32 v47, vcc_lo, v219, v169
	v_add_co_ci_u32_e64 v48, null, 0, v220, vcc_lo
	global_load_dwordx4 v[43:46], v[51:52], off offset:-8
	global_load_dwordx4 v[39:42], v[39:40], off offset:-8
	;; [unrolled: 1-line block ×3, first 2 shown]
	s_or_b32 s2, s2, exec_lo
.LBB16_170:                             ;   in Loop: Header=BB16_148 Depth=1
	v_mov_b32_e32 v51, 0
	v_mov_b32_e32 v53, 0
	;; [unrolled: 1-line block ×4, first 2 shown]
	s_and_saveexec_b32 s15, s2
	s_cbranch_execz .LBB16_172
; %bb.171:                              ;   in Loop: Header=BB16_148 Depth=1
	v_add_co_u32 v51, vcc_lo, v223, v169
	v_add_co_ci_u32_e64 v52, null, 0, v224, vcc_lo
	global_load_dwordx4 v[51:54], v[51:52], off offset:-8
.LBB16_172:                             ;   in Loop: Header=BB16_148 Depth=1
	s_or_b32 exec_lo, exec_lo, s15
	ds_read_b128 v[55:58], v175
	v_cmp_ne_u32_e32 vcc_lo, 1, v119
	s_and_b32 vcc_lo, exec_lo, vcc_lo
	s_waitcnt vmcnt(0) lgkmcnt(0)
	v_mul_f64 v[59:60], v[45:46], v[57:58]
	v_mul_f64 v[61:62], v[45:46], v[55:56]
	;; [unrolled: 1-line block ×8, first 2 shown]
	v_fma_f64 v[71:72], v[43:44], v[55:56], v[59:60]
	v_fma_f64 v[73:74], v[43:44], v[57:58], -v[61:62]
	v_fma_f64 v[75:76], v[39:40], v[55:56], v[63:64]
	v_fma_f64 v[77:78], v[39:40], v[57:58], -v[65:66]
	;; [unrolled: 2-line block ×4, first 2 shown]
	ds_read_b128 v[67:70], v174 offset:256
	ds_read_b128 v[63:66], v174 offset:272
	;; [unrolled: 1-line block ×4, first 2 shown]
	ds_write_b128 v176, v[71:74]
	ds_write_b128 v176, v[75:78] offset:1072
	ds_write_b128 v176, v[79:82] offset:2144
	;; [unrolled: 1-line block ×3, first 2 shown]
	s_waitcnt lgkmcnt(0)
	s_barrier
	buffer_gl0_inv
	ds_read_b128 v[147:150], v177
	ds_read_b128 v[143:146], v177 offset:16
	ds_read_b128 v[139:142], v177 offset:32
	;; [unrolled: 1-line block ×3, first 2 shown]
	v_add_co_u32 v87, s2, v225, v169
	v_add_co_ci_u32_e64 v88, null, 0, v226, s2
	s_waitcnt lgkmcnt(0)
	s_barrier
	buffer_gl0_inv
	s_cbranch_vccnz .LBB16_180
; %bb.173:                              ;   in Loop: Header=BB16_148 Depth=1
	v_mov_b32_e32 v71, 0
	v_mov_b32_e32 v75, 0
	;; [unrolled: 1-line block ×6, first 2 shown]
	s_mov_b32 s2, exec_lo
	v_cmpx_gt_i32_e64 s12, v187
	s_cbranch_execz .LBB16_175
; %bb.174:                              ;   in Loop: Header=BB16_148 Depth=1
	global_load_dwordx4 v[75:78], v[87:88], off offset:-8
.LBB16_175:                             ;   in Loop: Header=BB16_148 Depth=1
	s_or_b32 exec_lo, exec_lo, s2
	v_mov_b32_e32 v73, 0
	v_mov_b32_e32 v74, 0
	s_mov_b32 s2, exec_lo
	v_cmpx_gt_i32_e64 s12, v188
	s_cbranch_execz .LBB16_177
; %bb.176:                              ;   in Loop: Header=BB16_148 Depth=1
	v_add_co_u32 v71, vcc_lo, v221, v169
	v_add_co_ci_u32_e64 v72, null, 0, v222, vcc_lo
	global_load_dwordx4 v[71:74], v[71:72], off
.LBB16_177:                             ;   in Loop: Header=BB16_148 Depth=1
	s_or_b32 exec_lo, exec_lo, s2
	v_mov_b32_e32 v79, 0
	v_mov_b32_e32 v81, 0
	;; [unrolled: 1-line block ×4, first 2 shown]
	s_mov_b32 s2, exec_lo
	v_cmpx_gt_i32_e64 s12, v189
	s_cbranch_execz .LBB16_179
; %bb.178:                              ;   in Loop: Header=BB16_148 Depth=1
	v_add_co_u32 v79, vcc_lo, v217, v169
	v_add_co_ci_u32_e64 v80, null, 0, v218, vcc_lo
	global_load_dwordx4 v[79:82], v[79:80], off
.LBB16_179:                             ;   in Loop: Header=BB16_148 Depth=1
	s_or_b32 exec_lo, exec_lo, s2
	v_cmp_gt_i32_e64 s2, s12, v190
	s_branch .LBB16_182
.LBB16_180:                             ;   in Loop: Header=BB16_148 Depth=1
	s_mov_b32 s2, 0
                                        ; implicit-def: $vgpr81_vgpr82
                                        ; implicit-def: $vgpr73_vgpr74
                                        ; implicit-def: $vgpr77_vgpr78
	s_cbranch_execz .LBB16_182
; %bb.181:                              ;   in Loop: Header=BB16_148 Depth=1
	s_waitcnt vmcnt(0)
	v_add_co_u32 v71, vcc_lo, v221, v169
	v_add_co_ci_u32_e64 v72, null, 0, v222, vcc_lo
	v_add_co_u32 v79, vcc_lo, v217, v169
	v_add_co_ci_u32_e64 v80, null, 0, v218, vcc_lo
	global_load_dwordx4 v[75:78], v[87:88], off offset:-8
	global_load_dwordx4 v[71:74], v[71:72], off
	global_load_dwordx4 v[79:82], v[79:80], off
	s_or_b32 s2, s2, exec_lo
.LBB16_182:                             ;   in Loop: Header=BB16_148 Depth=1
	v_mov_b32_e32 v87, 0
	v_mov_b32_e32 v89, 0
	;; [unrolled: 1-line block ×4, first 2 shown]
	s_and_saveexec_b32 s15, s2
	s_cbranch_execz .LBB16_184
; %bb.183:                              ;   in Loop: Header=BB16_148 Depth=1
	v_add_co_u32 v87, vcc_lo, v213, v169
	v_add_co_ci_u32_e64 v88, null, 0, v214, vcc_lo
	global_load_dwordx4 v[87:90], v[87:88], off
.LBB16_184:                             ;   in Loop: Header=BB16_148 Depth=1
	s_or_b32 exec_lo, exec_lo, s15
	ds_read_b128 v[103:106], v175
	v_cmp_ne_u32_e32 vcc_lo, 1, v119
	s_and_b32 vcc_lo, exec_lo, vcc_lo
	s_waitcnt vmcnt(0) lgkmcnt(0)
	v_mul_f64 v[107:108], v[77:78], v[105:106]
	v_mul_f64 v[109:110], v[77:78], v[103:104]
	v_mul_f64 v[111:112], v[73:74], v[105:106]
	v_mul_f64 v[113:114], v[73:74], v[103:104]
	v_mul_f64 v[115:116], v[81:82], v[105:106]
	v_mul_f64 v[117:118], v[81:82], v[103:104]
	v_mul_f64 v[132:133], v[89:90], v[105:106]
	v_mul_f64 v[153:154], v[89:90], v[103:104]
	v_fma_f64 v[120:121], v[75:76], v[103:104], v[107:108]
	v_fma_f64 v[122:123], v[75:76], v[105:106], -v[109:110]
	v_fma_f64 v[124:125], v[71:72], v[103:104], v[111:112]
	v_fma_f64 v[126:127], v[71:72], v[105:106], -v[113:114]
	;; [unrolled: 2-line block ×4, first 2 shown]
	ds_read_b128 v[115:118], v174 offset:512
	ds_read_b128 v[111:114], v174 offset:528
	;; [unrolled: 1-line block ×4, first 2 shown]
	ds_write_b128 v176, v[120:123]
	ds_write_b128 v176, v[124:127] offset:1072
	ds_write_b128 v176, v[128:131] offset:2144
	;; [unrolled: 1-line block ×3, first 2 shown]
	s_waitcnt lgkmcnt(0)
	s_barrier
	buffer_gl0_inv
	ds_read_b128 v[163:166], v177
	ds_read_b128 v[159:162], v177 offset:16
	ds_read_b128 v[155:158], v177 offset:32
	;; [unrolled: 1-line block ×3, first 2 shown]
	v_add_co_u32 v131, s2, v209, v169
	v_add_co_ci_u32_e64 v132, null, 0, v210, s2
	s_waitcnt lgkmcnt(0)
	s_barrier
	buffer_gl0_inv
	s_cbranch_vccnz .LBB16_192
; %bb.185:                              ;   in Loop: Header=BB16_148 Depth=1
	v_mov_b32_e32 v119, 0
	v_mov_b32_e32 v123, 0
	;; [unrolled: 1-line block ×6, first 2 shown]
	s_mov_b32 s2, exec_lo
	v_cmpx_gt_i32_e64 s12, v191
	s_cbranch_execz .LBB16_187
; %bb.186:                              ;   in Loop: Header=BB16_148 Depth=1
	global_load_dwordx4 v[123:126], v[131:132], off
.LBB16_187:                             ;   in Loop: Header=BB16_148 Depth=1
	s_or_b32 exec_lo, exec_lo, s2
	v_mov_b32_e32 v121, 0
	v_mov_b32_e32 v122, 0
	s_mov_b32 s2, exec_lo
	v_cmpx_gt_i32_e64 s12, v192
	s_cbranch_execz .LBB16_189
; %bb.188:                              ;   in Loop: Header=BB16_148 Depth=1
	v_add_co_u32 v119, vcc_lo, v205, v169
	v_add_co_ci_u32_e64 v120, null, 0, v206, vcc_lo
	global_load_dwordx4 v[119:122], v[119:120], off
.LBB16_189:                             ;   in Loop: Header=BB16_148 Depth=1
	s_or_b32 exec_lo, exec_lo, s2
	v_mov_b32_e32 v127, 0
	v_mov_b32_e32 v129, 0
	;; [unrolled: 1-line block ×4, first 2 shown]
	s_mov_b32 s2, exec_lo
	v_cmpx_gt_i32_e64 s12, v193
	s_cbranch_execz .LBB16_191
; %bb.190:                              ;   in Loop: Header=BB16_148 Depth=1
	v_add_co_u32 v127, vcc_lo, v201, v169
	v_add_co_ci_u32_e64 v128, null, 0, v202, vcc_lo
	global_load_dwordx4 v[127:130], v[127:128], off
.LBB16_191:                             ;   in Loop: Header=BB16_148 Depth=1
	s_or_b32 exec_lo, exec_lo, s2
	v_cmp_gt_i32_e64 s2, s12, v194
	s_branch .LBB16_194
.LBB16_192:                             ;   in Loop: Header=BB16_148 Depth=1
	s_mov_b32 s2, 0
                                        ; implicit-def: $vgpr129_vgpr130
                                        ; implicit-def: $vgpr121_vgpr122
                                        ; implicit-def: $vgpr125_vgpr126
	s_cbranch_execz .LBB16_194
; %bb.193:                              ;   in Loop: Header=BB16_148 Depth=1
	s_waitcnt vmcnt(0)
	v_add_co_u32 v119, vcc_lo, v205, v169
	v_add_co_ci_u32_e64 v120, null, 0, v206, vcc_lo
	v_add_co_u32 v127, vcc_lo, v201, v169
	v_add_co_ci_u32_e64 v128, null, 0, v202, vcc_lo
	global_load_dwordx4 v[123:126], v[131:132], off
	global_load_dwordx4 v[119:122], v[119:120], off
	;; [unrolled: 1-line block ×3, first 2 shown]
	s_or_b32 s2, s2, exec_lo
.LBB16_194:                             ;   in Loop: Header=BB16_148 Depth=1
	v_mov_b32_e32 v131, 0
	v_mov_b32_e32 v133, 0
	;; [unrolled: 1-line block ×4, first 2 shown]
	s_and_saveexec_b32 s15, s2
	s_cbranch_execz .LBB16_196
; %bb.195:                              ;   in Loop: Header=BB16_148 Depth=1
	v_add_co_u32 v131, vcc_lo, v197, v169
	v_add_co_ci_u32_e64 v132, null, 0, v198, vcc_lo
	global_load_dwordx4 v[131:134], v[131:132], off
.LBB16_196:                             ;   in Loop: Header=BB16_148 Depth=1
	s_or_b32 exec_lo, exec_lo, s15
	ds_read_b128 v[228:231], v175
	v_add_f64 v[163:164], v[163:164], 0
	v_add_f64 v[165:166], v[165:166], 0
	;; [unrolled: 1-line block ×6, first 2 shown]
	v_cmp_gt_i32_e32 vcc_lo, s12, v0
	s_or_b32 s2, s13, vcc_lo
	s_and_b32 s12, s1, s2
	s_waitcnt vmcnt(0) lgkmcnt(0)
	v_mul_f64 v[232:233], v[125:126], v[230:231]
	v_mul_f64 v[234:235], v[125:126], v[228:229]
	v_mul_f64 v[236:237], v[121:122], v[230:231]
	v_mul_f64 v[238:239], v[121:122], v[228:229]
	v_mul_f64 v[240:241], v[129:130], v[230:231]
	v_mul_f64 v[242:243], v[129:130], v[228:229]
	v_mul_f64 v[244:245], v[133:134], v[230:231]
	v_mul_f64 v[246:247], v[133:134], v[228:229]
	v_add_f64 v[159:160], v[163:164], v[159:160]
	v_add_f64 v[161:162], v[165:166], v[161:162]
	;; [unrolled: 1-line block ×6, first 2 shown]
	v_fma_f64 v[232:233], v[123:124], v[228:229], v[232:233]
	v_fma_f64 v[234:235], v[123:124], v[230:231], -v[234:235]
	v_fma_f64 v[236:237], v[119:120], v[228:229], v[236:237]
	v_fma_f64 v[238:239], v[119:120], v[230:231], -v[238:239]
	;; [unrolled: 2-line block ×4, first 2 shown]
	v_add_f64 v[147:148], v[159:160], v[155:156]
	v_add_f64 v[149:150], v[161:162], v[157:158]
	;; [unrolled: 1-line block ×6, first 2 shown]
	ds_write_b128 v176, v[232:235]
	ds_write_b128 v176, v[236:239] offset:1072
	ds_write_b128 v176, v[240:243] offset:2144
	ds_read_b128 v[139:142], v174 offset:768
	ds_read_b128 v[99:102], v174 offset:784
	ds_write_b128 v176, v[228:231] offset:3216
	v_add_f64 v[143:144], v[147:148], v[151:152]
	v_add_f64 v[145:146], v[149:150], v[153:154]
	ds_read_b128 v[95:98], v174 offset:800
	ds_read_b128 v[91:94], v174 offset:816
	s_waitcnt lgkmcnt(0)
	s_barrier
	buffer_gl0_inv
	ds_read_b128 v[147:150], v177
	ds_read_b128 v[151:154], v177 offset:16
	v_add_f64 v[135:136], v[155:156], v[135:136]
	v_add_f64 v[137:138], v[157:158], v[137:138]
	;; [unrolled: 1-line block ×4, first 2 shown]
	s_waitcnt lgkmcnt(1)
	v_add_f64 v[147:148], v[147:148], 0
	v_add_f64 v[149:150], v[149:150], 0
	s_waitcnt lgkmcnt(0)
	v_add_f64 v[155:156], v[147:148], v[151:152]
	v_add_f64 v[157:158], v[149:150], v[153:154]
	ds_read_b128 v[147:150], v177 offset:32
	ds_read_b128 v[151:154], v177 offset:48
	s_waitcnt lgkmcnt(0)
	s_barrier
	buffer_gl0_inv
	v_add_f64 v[147:148], v[155:156], v[147:148]
	v_add_f64 v[149:150], v[157:158], v[149:150]
	;; [unrolled: 1-line block ×4, first 2 shown]
	ds_write_b128 v227, v[83:86]
	ds_write_b128 v227, v[135:138] offset:256
	ds_write_b128 v227, v[143:146] offset:512
	;; [unrolled: 1-line block ×3, first 2 shown]
	s_waitcnt lgkmcnt(0)
	s_barrier
	buffer_gl0_inv
	s_and_saveexec_b32 s2, s12
	s_cbranch_execz .LBB16_198
; %bb.197:                              ;   in Loop: Header=BB16_148 Depth=1
	ds_read_b128 v[83:86], v178
	ds_read_b128 v[135:138], v178 offset:16
	s_waitcnt lgkmcnt(0)
	v_add_f64 v[143:144], v[135:136], v[83:84]
	v_add_f64 v[145:146], v[137:138], v[85:86]
	ds_read_b128 v[83:86], v178 offset:32
	ds_read_b128 v[135:138], v178 offset:48
	s_waitcnt lgkmcnt(1)
	v_add_f64 v[83:84], v[143:144], v[83:84]
	v_add_f64 v[85:86], v[145:146], v[85:86]
	s_waitcnt lgkmcnt(0)
	v_add_f64 v[143:144], v[83:84], v[135:136]
	v_add_f64 v[145:146], v[85:86], v[137:138]
	ds_read_b128 v[83:86], v178 offset:64
	ds_read_b128 v[135:138], v178 offset:80
	s_waitcnt lgkmcnt(1)
	v_add_f64 v[83:84], v[143:144], v[83:84]
	v_add_f64 v[85:86], v[145:146], v[85:86]
	;; [unrolled: 8-line block ×6, first 2 shown]
	s_waitcnt lgkmcnt(0)
	v_add_f64 v[143:144], v[83:84], v[135:136]
	v_add_f64 v[145:146], v[85:86], v[137:138]
	ds_read_b128 v[83:86], v178 offset:224
	ds_read_b128 v[135:138], v179
	s_waitcnt lgkmcnt(1)
	v_add_f64 v[83:84], v[143:144], v[83:84]
	v_add_f64 v[85:86], v[145:146], v[85:86]
	v_add_nc_u32_e32 v143, s11, v0
	v_ashrrev_i32_e32 v144, 31, v143
	s_waitcnt lgkmcnt(0)
	v_add_f64 v[83:84], v[83:84], v[135:136]
	v_add_f64 v[85:86], v[85:86], v[137:138]
	v_lshlrev_b64 v[135:136], 4, v[143:144]
	v_add_co_u32 v135, vcc_lo, s3, v135
	v_add_co_ci_u32_e64 v136, null, s7, v136, vcc_lo
	global_store_dwordx4 v[135:136], v[83:86], off
.LBB16_198:                             ;   in Loop: Header=BB16_148 Depth=1
	s_or_b32 exec_lo, exec_lo, s2
	v_mul_f64 v[83:84], v[13:14], v[37:38]
	v_mul_f64 v[37:38], v[11:12], v[37:38]
	;; [unrolled: 1-line block ×4, first 2 shown]
	v_add_co_u32 v195, vcc_lo, v195, s4
	v_add_co_ci_u32_e64 v196, null, s5, v196, vcc_lo
	v_add_co_u32 v197, vcc_lo, v197, s4
	v_add_co_ci_u32_e64 v198, null, s5, v198, vcc_lo
	;; [unrolled: 2-line block ×4, first 2 shown]
	v_add_co_u32 v203, vcc_lo, v203, s4
	v_fma_f64 v[11:12], v[11:12], v[35:36], -v[83:84]
	v_fma_f64 v[13:14], v[13:14], v[35:36], v[37:38]
	v_mul_f64 v[35:36], v[17:18], v[29:30]
	v_mul_f64 v[29:30], v[15:16], v[29:30]
	v_fma_f64 v[7:8], v[7:8], v[31:32], -v[85:86]
	v_fma_f64 v[9:10], v[9:10], v[31:32], v[33:34]
	v_add_co_ci_u32_e64 v204, null, s5, v204, vcc_lo
	v_add_co_u32 v205, vcc_lo, v205, s4
	v_add_co_ci_u32_e64 v206, null, s5, v206, vcc_lo
	v_add_co_u32 v207, vcc_lo, v207, s4
	;; [unrolled: 2-line block ×4, first 2 shown]
	v_add_f64 v[2:3], v[2:3], v[11:12]
	v_add_f64 v[4:5], v[4:5], v[13:14]
	v_mul_f64 v[11:12], v[21:22], v[25:26]
	v_mul_f64 v[13:14], v[19:20], v[25:26]
	v_fma_f64 v[15:16], v[15:16], v[27:28], -v[35:36]
	v_fma_f64 v[17:18], v[17:18], v[27:28], v[29:30]
	v_add_co_ci_u32_e64 v212, null, s5, v212, vcc_lo
	v_add_co_u32 v213, vcc_lo, v213, s4
	v_add_co_ci_u32_e64 v214, null, s5, v214, vcc_lo
	v_add_co_u32 v215, vcc_lo, v215, s4
	;; [unrolled: 2-line block ×4, first 2 shown]
	v_add_f64 v[2:3], v[2:3], v[7:8]
	v_add_f64 v[4:5], v[4:5], v[9:10]
	v_mul_f64 v[7:8], v[45:46], v[69:70]
	v_mul_f64 v[9:10], v[43:44], v[69:70]
	v_fma_f64 v[11:12], v[19:20], v[23:24], -v[11:12]
	v_fma_f64 v[13:14], v[21:22], v[23:24], v[13:14]
	v_add_co_ci_u32_e64 v220, null, s5, v220, vcc_lo
	v_add_co_u32 v221, vcc_lo, v221, s4
	v_add_co_ci_u32_e64 v222, null, s5, v222, vcc_lo
	v_add_co_u32 v223, vcc_lo, v223, s4
	;; [unrolled: 2-line block ×3, first 2 shown]
	v_add_co_ci_u32_e64 v226, null, s5, v226, vcc_lo
	s_add_i32 s2, s6, 1
	s_add_i32 s6, s6, 2
	v_add_f64 v[2:3], v[2:3], v[15:16]
	v_add_f64 v[4:5], v[4:5], v[17:18]
	v_mul_f64 v[15:16], v[41:42], v[65:66]
	v_mul_f64 v[17:18], v[39:40], v[65:66]
	v_fma_f64 v[7:8], v[43:44], v[67:68], -v[7:8]
	v_fma_f64 v[9:10], v[45:46], v[67:68], v[9:10]
	s_add_i32 s11, s11, 64
	s_cmp_ge_u32 s6, s9
	s_waitcnt_vscnt null, 0x0
	s_barrier
	buffer_gl0_inv
	v_add_f64 v[2:3], v[2:3], v[11:12]
	v_add_f64 v[4:5], v[4:5], v[13:14]
	v_mul_f64 v[11:12], v[49:50], v[61:62]
	v_mul_f64 v[13:14], v[47:48], v[61:62]
	v_fma_f64 v[15:16], v[39:40], v[63:64], -v[15:16]
	v_fma_f64 v[17:18], v[41:42], v[63:64], v[17:18]
	v_add_f64 v[2:3], v[2:3], v[7:8]
	v_add_f64 v[4:5], v[4:5], v[9:10]
	v_mul_f64 v[7:8], v[53:54], v[57:58]
	v_mul_f64 v[9:10], v[51:52], v[57:58]
	v_fma_f64 v[11:12], v[47:48], v[59:60], -v[11:12]
	v_fma_f64 v[13:14], v[49:50], v[59:60], v[13:14]
	;; [unrolled: 6-line block ×10, first 2 shown]
	v_add_f64 v[2:3], v[2:3], v[7:8]
	v_add_f64 v[4:5], v[4:5], v[9:10]
	v_fma_f64 v[7:8], v[131:132], v[91:92], -v[11:12]
	v_fma_f64 v[9:10], v[133:134], v[91:92], v[13:14]
	v_add_f64 v[2:3], v[2:3], v[15:16]
	v_add_f64 v[4:5], v[4:5], v[17:18]
	;; [unrolled: 1-line block ×4, first 2 shown]
	s_cbranch_scc1 .LBB16_200
; %bb.199:                              ;   in Loop: Header=BB16_148 Depth=1
	s_mov_b32 s6, s2
	s_cmp_eq_u32 s8, s6
	s_cselect_b32 s12, s22, 0
	s_and_saveexec_b32 s2, s0
	s_cbranch_execnz .LBB16_144
	s_branch .LBB16_148
.LBB16_200:
	v_cmp_gt_i32_e32 vcc_lo, s10, v0
	v_mad_u32_u24 v1, 0x430, v1, v169
	s_or_b32 s1, s14, vcc_lo
	ds_write_b128 v1, v[2:5]
	s_and_b32 s0, s0, s1
	s_waitcnt lgkmcnt(0)
	s_barrier
	buffer_gl0_inv
	s_and_saveexec_b32 s1, s0
	s_cbranch_execz .LBB16_202
; %bb.201:
	ds_read_b128 v[0:3], v169 offset:1072
	ds_read_b128 v[4:7], v169
	s_waitcnt lgkmcnt(0)
	v_add_f64 v[8:9], v[0:1], v[4:5]
	v_add_f64 v[10:11], v[2:3], v[6:7]
	ds_read_b128 v[0:3], v169 offset:2144
	ds_read_b128 v[4:7], v169 offset:3216
	s_waitcnt lgkmcnt(1)
	v_add_f64 v[0:1], v[8:9], v[0:1]
	v_add_f64 v[2:3], v[10:11], v[2:3]
	s_waitcnt lgkmcnt(0)
	v_add_f64 v[0:1], v[0:1], v[4:5]
	v_add_f64 v[2:3], v[2:3], v[6:7]
	v_lshlrev_b64 v[4:5], 4, v[167:168]
	v_add_co_u32 v4, vcc_lo, s3, v4
	v_add_co_ci_u32_e64 v5, null, s7, v5, vcc_lo
	global_store_dwordx4 v[4:5], v[0:3], off
.LBB16_202:
	s_endpgm
	.section	.rodata,"a",@progbits
	.p2align	6, 0x0
	.amdhsa_kernel _ZL26rocblas_hemvn_kernel_upperILb1ELi64ELi4ELi33ELi32ELi16ElPK19rocblas_complex_numIdES3_PS1_EviT6_lT7_lT5_lS6_lS7_lS5_lT8_i
		.amdhsa_group_segment_fixed_size 19200
		.amdhsa_private_segment_fixed_size 0
		.amdhsa_kernarg_size 376
		.amdhsa_user_sgpr_count 6
		.amdhsa_user_sgpr_private_segment_buffer 1
		.amdhsa_user_sgpr_dispatch_ptr 0
		.amdhsa_user_sgpr_queue_ptr 0
		.amdhsa_user_sgpr_kernarg_segment_ptr 1
		.amdhsa_user_sgpr_dispatch_id 0
		.amdhsa_user_sgpr_flat_scratch_init 0
		.amdhsa_user_sgpr_private_segment_size 0
		.amdhsa_wavefront_size32 1
		.amdhsa_uses_dynamic_stack 0
		.amdhsa_system_sgpr_private_segment_wavefront_offset 0
		.amdhsa_system_sgpr_workgroup_id_x 1
		.amdhsa_system_sgpr_workgroup_id_y 0
		.amdhsa_system_sgpr_workgroup_id_z 1
		.amdhsa_system_sgpr_workgroup_info 0
		.amdhsa_system_vgpr_workitem_id 1
		.amdhsa_next_free_vgpr 248
		.amdhsa_next_free_sgpr 36
		.amdhsa_reserve_vcc 1
		.amdhsa_reserve_flat_scratch 0
		.amdhsa_float_round_mode_32 0
		.amdhsa_float_round_mode_16_64 0
		.amdhsa_float_denorm_mode_32 3
		.amdhsa_float_denorm_mode_16_64 3
		.amdhsa_dx10_clamp 1
		.amdhsa_ieee_mode 1
		.amdhsa_fp16_overflow 0
		.amdhsa_workgroup_processor_mode 1
		.amdhsa_memory_ordered 1
		.amdhsa_forward_progress 1
		.amdhsa_shared_vgpr_count 0
		.amdhsa_exception_fp_ieee_invalid_op 0
		.amdhsa_exception_fp_denorm_src 0
		.amdhsa_exception_fp_ieee_div_zero 0
		.amdhsa_exception_fp_ieee_overflow 0
		.amdhsa_exception_fp_ieee_underflow 0
		.amdhsa_exception_fp_ieee_inexact 0
		.amdhsa_exception_int_div_zero 0
	.end_amdhsa_kernel
	.section	.text._ZL26rocblas_hemvn_kernel_upperILb1ELi64ELi4ELi33ELi32ELi16ElPK19rocblas_complex_numIdES3_PS1_EviT6_lT7_lT5_lS6_lS7_lS5_lT8_i,"axG",@progbits,_ZL26rocblas_hemvn_kernel_upperILb1ELi64ELi4ELi33ELi32ELi16ElPK19rocblas_complex_numIdES3_PS1_EviT6_lT7_lT5_lS6_lS7_lS5_lT8_i,comdat
.Lfunc_end16:
	.size	_ZL26rocblas_hemvn_kernel_upperILb1ELi64ELi4ELi33ELi32ELi16ElPK19rocblas_complex_numIdES3_PS1_EviT6_lT7_lT5_lS6_lS7_lS5_lT8_i, .Lfunc_end16-_ZL26rocblas_hemvn_kernel_upperILb1ELi64ELi4ELi33ELi32ELi16ElPK19rocblas_complex_numIdES3_PS1_EviT6_lT7_lT5_lS6_lS7_lS5_lT8_i
                                        ; -- End function
	.set _ZL26rocblas_hemvn_kernel_upperILb1ELi64ELi4ELi33ELi32ELi16ElPK19rocblas_complex_numIdES3_PS1_EviT6_lT7_lT5_lS6_lS7_lS5_lT8_i.num_vgpr, 248
	.set _ZL26rocblas_hemvn_kernel_upperILb1ELi64ELi4ELi33ELi32ELi16ElPK19rocblas_complex_numIdES3_PS1_EviT6_lT7_lT5_lS6_lS7_lS5_lT8_i.num_agpr, 0
	.set _ZL26rocblas_hemvn_kernel_upperILb1ELi64ELi4ELi33ELi32ELi16ElPK19rocblas_complex_numIdES3_PS1_EviT6_lT7_lT5_lS6_lS7_lS5_lT8_i.numbered_sgpr, 36
	.set _ZL26rocblas_hemvn_kernel_upperILb1ELi64ELi4ELi33ELi32ELi16ElPK19rocblas_complex_numIdES3_PS1_EviT6_lT7_lT5_lS6_lS7_lS5_lT8_i.num_named_barrier, 0
	.set _ZL26rocblas_hemvn_kernel_upperILb1ELi64ELi4ELi33ELi32ELi16ElPK19rocblas_complex_numIdES3_PS1_EviT6_lT7_lT5_lS6_lS7_lS5_lT8_i.private_seg_size, 0
	.set _ZL26rocblas_hemvn_kernel_upperILb1ELi64ELi4ELi33ELi32ELi16ElPK19rocblas_complex_numIdES3_PS1_EviT6_lT7_lT5_lS6_lS7_lS5_lT8_i.uses_vcc, 1
	.set _ZL26rocblas_hemvn_kernel_upperILb1ELi64ELi4ELi33ELi32ELi16ElPK19rocblas_complex_numIdES3_PS1_EviT6_lT7_lT5_lS6_lS7_lS5_lT8_i.uses_flat_scratch, 0
	.set _ZL26rocblas_hemvn_kernel_upperILb1ELi64ELi4ELi33ELi32ELi16ElPK19rocblas_complex_numIdES3_PS1_EviT6_lT7_lT5_lS6_lS7_lS5_lT8_i.has_dyn_sized_stack, 0
	.set _ZL26rocblas_hemvn_kernel_upperILb1ELi64ELi4ELi33ELi32ELi16ElPK19rocblas_complex_numIdES3_PS1_EviT6_lT7_lT5_lS6_lS7_lS5_lT8_i.has_recursion, 0
	.set _ZL26rocblas_hemvn_kernel_upperILb1ELi64ELi4ELi33ELi32ELi16ElPK19rocblas_complex_numIdES3_PS1_EviT6_lT7_lT5_lS6_lS7_lS5_lT8_i.has_indirect_call, 0
	.section	.AMDGPU.csdata,"",@progbits
; Kernel info:
; codeLenInByte = 12500
; TotalNumSgprs: 38
; NumVgprs: 248
; ScratchSize: 0
; MemoryBound: 1
; FloatMode: 240
; IeeeMode: 1
; LDSByteSize: 19200 bytes/workgroup (compile time only)
; SGPRBlocks: 0
; VGPRBlocks: 30
; NumSGPRsForWavesPerEU: 38
; NumVGPRsForWavesPerEU: 248
; Occupancy: 4
; WaveLimiterHint : 0
; COMPUTE_PGM_RSRC2:SCRATCH_EN: 0
; COMPUTE_PGM_RSRC2:USER_SGPR: 6
; COMPUTE_PGM_RSRC2:TRAP_HANDLER: 0
; COMPUTE_PGM_RSRC2:TGID_X_EN: 1
; COMPUTE_PGM_RSRC2:TGID_Y_EN: 0
; COMPUTE_PGM_RSRC2:TGID_Z_EN: 1
; COMPUTE_PGM_RSRC2:TIDIG_COMP_CNT: 1
	.section	.text._ZL36rocblas_hemvn_kernel_upper_block_sumILi64ElPK19rocblas_complex_numIdEPS1_S1_EviT1_lS5_lT2_lT0_lPT3_i,"axG",@progbits,_ZL36rocblas_hemvn_kernel_upper_block_sumILi64ElPK19rocblas_complex_numIdEPS1_S1_EviT1_lS5_lT2_lT0_lPT3_i,comdat
	.globl	_ZL36rocblas_hemvn_kernel_upper_block_sumILi64ElPK19rocblas_complex_numIdEPS1_S1_EviT1_lS5_lT2_lT0_lPT3_i ; -- Begin function _ZL36rocblas_hemvn_kernel_upper_block_sumILi64ElPK19rocblas_complex_numIdEPS1_S1_EviT1_lS5_lT2_lT0_lPT3_i
	.p2align	8
	.type	_ZL36rocblas_hemvn_kernel_upper_block_sumILi64ElPK19rocblas_complex_numIdEPS1_S1_EviT1_lS5_lT2_lT0_lPT3_i,@function
_ZL36rocblas_hemvn_kernel_upper_block_sumILi64ElPK19rocblas_complex_numIdEPS1_S1_EviT1_lS5_lT2_lT0_lPT3_i: ; @_ZL36rocblas_hemvn_kernel_upper_block_sumILi64ElPK19rocblas_complex_numIdEPS1_S1_EviT1_lS5_lT2_lT0_lPT3_i
; %bb.0:
	s_load_dwordx8 s[8:15], s[4:5], 0x8
	s_waitcnt lgkmcnt(0)
	s_mul_i32 s1, s11, s7
	s_mul_hi_u32 s2, s10, s7
	s_mul_i32 s0, s10, s7
	s_add_i32 s1, s2, s1
	s_lshl_b64 s[0:1], s[0:1], 4
	s_add_u32 s0, s8, s0
	s_addc_u32 s1, s9, s1
	s_load_dwordx4 s[20:23], s[0:1], 0x0
	s_mul_i32 s0, s15, s7
	s_mul_hi_u32 s1, s14, s7
	s_add_i32 s1, s1, s0
	s_mul_i32 s0, s14, s7
	s_lshl_b64 s[0:1], s[0:1], 4
	s_add_u32 s0, s12, s0
	s_addc_u32 s1, s13, s1
	s_load_dwordx4 s[16:19], s[0:1], 0x0
	s_mov_b32 s1, -1
	s_waitcnt lgkmcnt(0)
	v_cmp_neq_f64_e64 s2, s[20:21], 0
	v_cmp_neq_f64_e64 s3, s[22:23], 0
	s_or_b32 s0, s2, s3
	s_and_b32 vcc_lo, exec_lo, s0
	s_cbranch_vccnz .LBB17_2
; %bb.1:
	v_cmp_neq_f64_e64 s1, s[16:17], 1.0
	v_cmp_neq_f64_e64 s2, s[18:19], 0
	s_or_b32 s1, s1, s2
.LBB17_2:
	s_andn2_b32 vcc_lo, exec_lo, s1
	s_cbranch_vccnz .LBB17_22
; %bb.3:
	s_clause 0x2
	s_load_dwordx8 s[8:15], s[4:5], 0x30
	s_load_dwordx2 s[24:25], s[4:5], 0x28
	s_load_dword s2, s[4:5], 0x0
	s_xor_b32 s3, s0, -1
	v_lshl_or_b32 v4, s6, 6, v0
	s_waitcnt lgkmcnt(0)
	s_mul_i32 s1, s13, s7
	s_mul_hi_u32 s13, s12, s7
	s_mul_i32 s0, s12, s7
	s_add_i32 s1, s13, s1
	s_lshl_b64 s[0:1], s[0:1], 4
	s_add_u32 s12, s24, s0
	s_addc_u32 s1, s25, s1
	s_lshl_b64 s[8:9], s[8:9], 4
	v_cmp_gt_i32_e64 s0, s2, v4
	s_add_u32 s8, s12, s8
	s_addc_u32 s9, s1, s9
	s_andn2_b32 vcc_lo, exec_lo, s3
	s_mov_b32 s12, 0
	s_cbranch_vccnz .LBB17_8
; %bb.4:
	s_mov_b32 s1, 0
                                        ; implicit-def: $vgpr2_vgpr3
                                        ; implicit-def: $vgpr5_vgpr6
	s_and_saveexec_b32 s3, s0
	s_cbranch_execz .LBB17_9
; %bb.5:
	v_cmp_neq_f64_e64 s0, s[16:17], 0
	v_cmp_neq_f64_e64 s12, s[18:19], 0
	v_ashrrev_i32_e32 v0, 31, v4
	v_mul_lo_u32 v7, s11, v4
	v_mad_u64_u32 v[5:6], null, s10, v4, 0
	v_mov_b32_e32 v2, 0
	v_mul_lo_u32 v8, s10, v0
	v_mov_b32_e32 v0, 0
	v_mov_b32_e32 v3, 0
	;; [unrolled: 1-line block ×3, first 2 shown]
	v_add3_u32 v6, v6, v8, v7
	s_or_b32 s0, s0, s12
	s_andn2_b32 vcc_lo, exec_lo, s0
	s_cbranch_vccnz .LBB17_7
; %bb.6:
	v_lshlrev_b64 v[0:1], 4, v[5:6]
	v_add_co_u32 v0, vcc_lo, s8, v0
	v_add_co_ci_u32_e64 v1, null, s9, v1, vcc_lo
	global_load_dwordx4 v[7:10], v[0:1], off
	s_waitcnt vmcnt(0)
	v_mul_f64 v[0:1], s[18:19], v[9:10]
	v_mul_f64 v[2:3], s[16:17], v[9:10]
	v_fma_f64 v[0:1], s[16:17], v[7:8], -v[0:1]
	v_fma_f64 v[2:3], s[18:19], v[7:8], v[2:3]
.LBB17_7:
	s_mov_b32 s12, exec_lo
	s_or_b32 exec_lo, exec_lo, s3
	s_and_b32 vcc_lo, exec_lo, s1
	s_cbranch_vccnz .LBB17_10
	s_branch .LBB17_20
.LBB17_8:
                                        ; implicit-def: $vgpr2_vgpr3
                                        ; implicit-def: $vgpr5_vgpr6
	s_cbranch_execnz .LBB17_10
	s_branch .LBB17_20
.LBB17_9:
	s_or_b32 exec_lo, exec_lo, s3
	s_and_b32 vcc_lo, exec_lo, s1
	s_cbranch_vccz .LBB17_20
.LBB17_10:
	s_mov_b32 s13, exec_lo
                                        ; implicit-def: $vgpr2_vgpr3
                                        ; implicit-def: $vgpr5_vgpr6
	v_cmpx_gt_i32_e64 s2, v4
	s_cbranch_execz .LBB17_19
; %bb.11:
	v_mov_b32_e32 v0, 0
	v_mov_b32_e32 v2, 0
	;; [unrolled: 1-line block ×4, first 2 shown]
	v_ashrrev_i32_e32 v5, 31, v4
	s_cmp_lt_i32 s6, 0
	s_cbranch_scc1 .LBB17_14
; %bb.12:
	s_load_dword s0, s[4:5], 0x58
	s_ashr_i32 s3, s2, 31
	s_mul_hi_u32 s1, s2, s7
	s_mul_i32 s5, s3, s7
	s_add_i32 s4, s6, 1
	s_add_i32 s1, s1, s5
	s_mul_i32 s5, s2, s7
	v_lshlrev_b64 v[2:3], 4, v[4:5]
	v_mov_b32_e32 v0, 0
	v_mov_b32_e32 v1, 0
	s_waitcnt lgkmcnt(0)
	s_mul_i32 s1, s1, s0
	s_mul_hi_u32 s6, s5, s0
	s_mul_i32 s0, s5, s0
	s_add_i32 s1, s6, s1
	s_lshl_b64 s[0:1], s[0:1], 4
	s_add_u32 s0, s14, s0
	s_addc_u32 s1, s15, s1
	v_add_co_u32 v6, vcc_lo, s0, v2
	v_add_co_ci_u32_e64 v7, null, s1, v3, vcc_lo
	v_mov_b32_e32 v2, 0
	v_add_co_u32 v6, vcc_lo, v6, 8
	v_mov_b32_e32 v3, 0
	v_add_co_ci_u32_e64 v7, null, 0, v7, vcc_lo
	s_lshl_b64 s[0:1], s[2:3], 4
.LBB17_13:                              ; =>This Inner Loop Header: Depth=1
	global_load_dwordx4 v[8:11], v[6:7], off offset:-8
	v_add_co_u32 v6, vcc_lo, v6, s0
	v_add_co_ci_u32_e64 v7, null, s1, v7, vcc_lo
	s_add_i32 s4, s4, -1
	s_cmp_eq_u32 s4, 0
	s_waitcnt vmcnt(0)
	v_add_f64 v[2:3], v[2:3], v[8:9]
	v_add_f64 v[0:1], v[0:1], v[10:11]
	s_cbranch_scc0 .LBB17_13
.LBB17_14:
	v_mul_f64 v[6:7], s[22:23], v[0:1]
	v_mul_f64 v[8:9], s[20:21], v[0:1]
	v_cmp_neq_f64_e64 s0, s[16:17], 0
	v_cmp_neq_f64_e64 s1, s[18:19], 0
	v_fma_f64 v[0:1], s[20:21], v[2:3], -v[6:7]
	v_fma_f64 v[2:3], s[22:23], v[2:3], v[8:9]
	v_mul_lo_u32 v7, s11, v4
	v_mul_lo_u32 v8, s10, v5
	s_or_b32 s0, s0, s1
	s_andn2_b32 vcc_lo, exec_lo, s0
	s_cbranch_vccz .LBB17_16
; %bb.15:
	v_mad_u64_u32 v[5:6], null, s10, v4, 0
	v_add3_u32 v6, v6, v8, v7
	s_cbranch_execz .LBB17_17
	s_branch .LBB17_18
.LBB17_16:
                                        ; implicit-def: $vgpr5_vgpr6
.LBB17_17:
	v_mad_u64_u32 v[5:6], null, s10, v4, 0
	v_add3_u32 v6, v6, v8, v7
	v_lshlrev_b64 v[7:8], 4, v[5:6]
	v_add_co_u32 v7, vcc_lo, s8, v7
	v_add_co_ci_u32_e64 v8, null, s9, v8, vcc_lo
	global_load_dwordx4 v[7:10], v[7:8], off
	s_waitcnt vmcnt(0)
	v_mul_f64 v[11:12], s[18:19], v[9:10]
	v_mul_f64 v[9:10], s[16:17], v[9:10]
	v_fma_f64 v[11:12], s[16:17], v[7:8], -v[11:12]
	v_fma_f64 v[7:8], s[18:19], v[7:8], v[9:10]
	v_add_f64 v[0:1], v[0:1], v[11:12]
	v_add_f64 v[2:3], v[2:3], v[7:8]
.LBB17_18:
	s_or_b32 s12, s12, exec_lo
.LBB17_19:
	s_or_b32 exec_lo, exec_lo, s13
.LBB17_20:
	s_and_saveexec_b32 s0, s12
	s_cbranch_execz .LBB17_22
; %bb.21:
	v_lshlrev_b64 v[4:5], 4, v[5:6]
	v_add_co_u32 v4, vcc_lo, s8, v4
	v_add_co_ci_u32_e64 v5, null, s9, v5, vcc_lo
	global_store_dwordx4 v[4:5], v[0:3], off
.LBB17_22:
	s_endpgm
	.section	.rodata,"a",@progbits
	.p2align	6, 0x0
	.amdhsa_kernel _ZL36rocblas_hemvn_kernel_upper_block_sumILi64ElPK19rocblas_complex_numIdEPS1_S1_EviT1_lS5_lT2_lT0_lPT3_i
		.amdhsa_group_segment_fixed_size 0
		.amdhsa_private_segment_fixed_size 0
		.amdhsa_kernarg_size 344
		.amdhsa_user_sgpr_count 6
		.amdhsa_user_sgpr_private_segment_buffer 1
		.amdhsa_user_sgpr_dispatch_ptr 0
		.amdhsa_user_sgpr_queue_ptr 0
		.amdhsa_user_sgpr_kernarg_segment_ptr 1
		.amdhsa_user_sgpr_dispatch_id 0
		.amdhsa_user_sgpr_flat_scratch_init 0
		.amdhsa_user_sgpr_private_segment_size 0
		.amdhsa_wavefront_size32 1
		.amdhsa_uses_dynamic_stack 0
		.amdhsa_system_sgpr_private_segment_wavefront_offset 0
		.amdhsa_system_sgpr_workgroup_id_x 1
		.amdhsa_system_sgpr_workgroup_id_y 0
		.amdhsa_system_sgpr_workgroup_id_z 1
		.amdhsa_system_sgpr_workgroup_info 0
		.amdhsa_system_vgpr_workitem_id 0
		.amdhsa_next_free_vgpr 13
		.amdhsa_next_free_sgpr 26
		.amdhsa_reserve_vcc 1
		.amdhsa_reserve_flat_scratch 0
		.amdhsa_float_round_mode_32 0
		.amdhsa_float_round_mode_16_64 0
		.amdhsa_float_denorm_mode_32 3
		.amdhsa_float_denorm_mode_16_64 3
		.amdhsa_dx10_clamp 1
		.amdhsa_ieee_mode 1
		.amdhsa_fp16_overflow 0
		.amdhsa_workgroup_processor_mode 1
		.amdhsa_memory_ordered 1
		.amdhsa_forward_progress 1
		.amdhsa_shared_vgpr_count 0
		.amdhsa_exception_fp_ieee_invalid_op 0
		.amdhsa_exception_fp_denorm_src 0
		.amdhsa_exception_fp_ieee_div_zero 0
		.amdhsa_exception_fp_ieee_overflow 0
		.amdhsa_exception_fp_ieee_underflow 0
		.amdhsa_exception_fp_ieee_inexact 0
		.amdhsa_exception_int_div_zero 0
	.end_amdhsa_kernel
	.section	.text._ZL36rocblas_hemvn_kernel_upper_block_sumILi64ElPK19rocblas_complex_numIdEPS1_S1_EviT1_lS5_lT2_lT0_lPT3_i,"axG",@progbits,_ZL36rocblas_hemvn_kernel_upper_block_sumILi64ElPK19rocblas_complex_numIdEPS1_S1_EviT1_lS5_lT2_lT0_lPT3_i,comdat
.Lfunc_end17:
	.size	_ZL36rocblas_hemvn_kernel_upper_block_sumILi64ElPK19rocblas_complex_numIdEPS1_S1_EviT1_lS5_lT2_lT0_lPT3_i, .Lfunc_end17-_ZL36rocblas_hemvn_kernel_upper_block_sumILi64ElPK19rocblas_complex_numIdEPS1_S1_EviT1_lS5_lT2_lT0_lPT3_i
                                        ; -- End function
	.set _ZL36rocblas_hemvn_kernel_upper_block_sumILi64ElPK19rocblas_complex_numIdEPS1_S1_EviT1_lS5_lT2_lT0_lPT3_i.num_vgpr, 13
	.set _ZL36rocblas_hemvn_kernel_upper_block_sumILi64ElPK19rocblas_complex_numIdEPS1_S1_EviT1_lS5_lT2_lT0_lPT3_i.num_agpr, 0
	.set _ZL36rocblas_hemvn_kernel_upper_block_sumILi64ElPK19rocblas_complex_numIdEPS1_S1_EviT1_lS5_lT2_lT0_lPT3_i.numbered_sgpr, 26
	.set _ZL36rocblas_hemvn_kernel_upper_block_sumILi64ElPK19rocblas_complex_numIdEPS1_S1_EviT1_lS5_lT2_lT0_lPT3_i.num_named_barrier, 0
	.set _ZL36rocblas_hemvn_kernel_upper_block_sumILi64ElPK19rocblas_complex_numIdEPS1_S1_EviT1_lS5_lT2_lT0_lPT3_i.private_seg_size, 0
	.set _ZL36rocblas_hemvn_kernel_upper_block_sumILi64ElPK19rocblas_complex_numIdEPS1_S1_EviT1_lS5_lT2_lT0_lPT3_i.uses_vcc, 1
	.set _ZL36rocblas_hemvn_kernel_upper_block_sumILi64ElPK19rocblas_complex_numIdEPS1_S1_EviT1_lS5_lT2_lT0_lPT3_i.uses_flat_scratch, 0
	.set _ZL36rocblas_hemvn_kernel_upper_block_sumILi64ElPK19rocblas_complex_numIdEPS1_S1_EviT1_lS5_lT2_lT0_lPT3_i.has_dyn_sized_stack, 0
	.set _ZL36rocblas_hemvn_kernel_upper_block_sumILi64ElPK19rocblas_complex_numIdEPS1_S1_EviT1_lS5_lT2_lT0_lPT3_i.has_recursion, 0
	.set _ZL36rocblas_hemvn_kernel_upper_block_sumILi64ElPK19rocblas_complex_numIdEPS1_S1_EviT1_lS5_lT2_lT0_lPT3_i.has_indirect_call, 0
	.section	.AMDGPU.csdata,"",@progbits
; Kernel info:
; codeLenInByte = 928
; TotalNumSgprs: 28
; NumVgprs: 13
; ScratchSize: 0
; MemoryBound: 0
; FloatMode: 240
; IeeeMode: 1
; LDSByteSize: 0 bytes/workgroup (compile time only)
; SGPRBlocks: 0
; VGPRBlocks: 1
; NumSGPRsForWavesPerEU: 28
; NumVGPRsForWavesPerEU: 13
; Occupancy: 16
; WaveLimiterHint : 0
; COMPUTE_PGM_RSRC2:SCRATCH_EN: 0
; COMPUTE_PGM_RSRC2:USER_SGPR: 6
; COMPUTE_PGM_RSRC2:TRAP_HANDLER: 0
; COMPUTE_PGM_RSRC2:TGID_X_EN: 1
; COMPUTE_PGM_RSRC2:TGID_Y_EN: 0
; COMPUTE_PGM_RSRC2:TGID_Z_EN: 1
; COMPUTE_PGM_RSRC2:TIDIG_COMP_CNT: 0
	.section	.text._ZL26rocblas_hemvn_kernel_upperILb1ELi64ELi4ELi33ELi32ELi16EiPK19rocblas_complex_numIdES3_PS1_EviT6_lT7_lT5_lS6_lS7_lS5_lT8_i,"axG",@progbits,_ZL26rocblas_hemvn_kernel_upperILb1ELi64ELi4ELi33ELi32ELi16EiPK19rocblas_complex_numIdES3_PS1_EviT6_lT7_lT5_lS6_lS7_lS5_lT8_i,comdat
	.globl	_ZL26rocblas_hemvn_kernel_upperILb1ELi64ELi4ELi33ELi32ELi16EiPK19rocblas_complex_numIdES3_PS1_EviT6_lT7_lT5_lS6_lS7_lS5_lT8_i ; -- Begin function _ZL26rocblas_hemvn_kernel_upperILb1ELi64ELi4ELi33ELi32ELi16EiPK19rocblas_complex_numIdES3_PS1_EviT6_lT7_lT5_lS6_lS7_lS5_lT8_i
	.p2align	8
	.type	_ZL26rocblas_hemvn_kernel_upperILb1ELi64ELi4ELi33ELi32ELi16EiPK19rocblas_complex_numIdES3_PS1_EviT6_lT7_lT5_lS6_lS7_lS5_lT8_i,@function
_ZL26rocblas_hemvn_kernel_upperILb1ELi64ELi4ELi33ELi32ELi16EiPK19rocblas_complex_numIdES3_PS1_EviT6_lT7_lT5_lS6_lS7_lS5_lT8_i: ; @_ZL26rocblas_hemvn_kernel_upperILb1ELi64ELi4ELi33ELi32ELi16EiPK19rocblas_complex_numIdES3_PS1_EviT6_lT7_lT5_lS6_lS7_lS5_lT8_i
; %bb.0:
	s_load_dwordx2 s[2:3], s[4:5], 0x84
	s_add_u32 s0, s4, 0x78
	s_addc_u32 s1, s5, 0
	s_waitcnt lgkmcnt(0)
	s_lshr_b32 s8, s2, 16
	s_and_b32 s2, s2, 0xffff
	s_and_b32 s3, s3, 0xffff
	s_mul_i32 s2, s8, s2
	s_mul_i32 s2, s2, s3
	s_cmpk_lg_i32 s2, 0x100
	s_cbranch_scc1 .LBB18_202
; %bb.1:
	s_load_dwordx8 s[12:19], s[4:5], 0x8
	s_waitcnt lgkmcnt(0)
	s_mul_i32 s3, s15, s7
	s_mul_hi_u32 s8, s14, s7
	s_mul_i32 s2, s14, s7
	s_add_i32 s3, s8, s3
	s_lshl_b64 s[2:3], s[2:3], 4
	s_add_u32 s2, s12, s2
	s_addc_u32 s3, s13, s3
	s_load_dwordx4 s[8:11], s[2:3], 0x0
	s_waitcnt lgkmcnt(0)
	v_cmp_neq_f64_e64 s2, s[8:9], 0
	v_cmp_neq_f64_e64 s3, s[10:11], 0
	s_load_dwordx8 s[8:15], s[4:5], 0x50
	s_or_b32 s2, s2, s3
	s_mov_b32 s3, -1
	s_and_b32 vcc_lo, exec_lo, s2
	s_cbranch_vccnz .LBB18_3
; %bb.2:
	s_waitcnt lgkmcnt(0)
	s_mul_i32 s3, s13, s7
	s_mul_hi_u32 s13, s12, s7
	s_mul_i32 s12, s12, s7
	s_add_i32 s13, s13, s3
	s_lshl_b64 s[12:13], s[12:13], 4
	s_add_u32 s10, s10, s12
	s_addc_u32 s11, s11, s13
	s_load_dwordx4 s[20:23], s[10:11], 0x0
	s_waitcnt lgkmcnt(0)
	v_cmp_neq_f64_e64 s3, s[20:21], 1.0
	v_cmp_neq_f64_e64 s10, s[22:23], 0
	s_or_b32 s3, s3, s10
.LBB18_3:
	s_andn2_b32 vcc_lo, exec_lo, s3
	s_cbranch_vccnz .LBB18_202
; %bb.4:
	s_andn2_b32 vcc_lo, exec_lo, s2
	s_cbranch_vccnz .LBB18_202
; %bb.5:
	s_clause 0x2
	s_load_dwordx4 s[20:23], s[4:5], 0x30
	s_load_dwordx2 s[2:3], s[4:5], 0x40
	s_load_dword s26, s[4:5], 0x48
	s_waitcnt lgkmcnt(0)
	s_mul_i32 s9, s9, s7
	s_mul_hi_u32 s10, s8, s7
	s_mul_i32 s8, s8, s7
	s_add_i32 s9, s10, s9
	s_load_dword s24, s[0:1], 0x0
	s_lshl_b64 s[10:11], s[8:9], 4
	s_load_dword s9, s[4:5], 0x0
	s_add_u32 s8, s22, s10
	s_addc_u32 s10, s23, s11
	s_lshl_b64 s[2:3], s[2:3], 4
	s_add_u32 s2, s8, s2
	s_addc_u32 s3, s10, s3
	s_lshl_b32 s22, s6, 6
	s_waitcnt lgkmcnt(0)
	s_add_i32 s1, s24, -1
	v_add_nc_u32_e32 v167, s22, v0
	s_ashr_i32 s27, s9, 31
	s_lshr_b32 s0, s27, 26
	v_mul_lo_u32 v2, s26, v167
	s_add_i32 s0, s9, s0
	s_andn2_b32 s0, s0, 63
	s_sub_i32 s25, s9, s0
	v_cmp_eq_u32_e64 s0, 0, v1
	s_cmp_eq_u32 s6, s1
	v_ashrrev_i32_e32 v3, 31, v2
	s_cselect_b32 s10, s25, 0
	v_lshlrev_b64 v[2:3], 4, v[2:3]
	v_add_co_u32 v38, vcc_lo, s2, v2
	v_add_co_ci_u32_e64 v39, null, s3, v3, vcc_lo
	s_mov_b32 s3, -1
	s_and_saveexec_b32 s1, s0
	s_cbranch_execz .LBB18_10
; %bb.6:
	v_cmp_le_i32_e32 vcc_lo, s10, v0
	s_cmp_lg_u32 s10, 0
	v_lshl_add_u32 v2, v0, 4, 0x4700
	s_cselect_b32 s2, -1, 0
	s_and_b32 s2, s2, vcc_lo
	s_and_saveexec_b32 s8, s2
	s_xor_b32 s2, exec_lo, s8
	s_cbranch_execz .LBB18_8
; %bb.7:
	v_mov_b32_e32 v3, 0
	v_mov_b32_e32 v4, v3
	;; [unrolled: 1-line block ×4, first 2 shown]
	ds_write_b128 v2, v[3:6]
                                        ; implicit-def: $vgpr2
.LBB18_8:
	s_andn2_saveexec_b32 s2, s2
	s_cbranch_execz .LBB18_10
; %bb.9:
	global_load_dwordx4 v[3:6], v[38:39], off
	s_waitcnt vmcnt(0)
	ds_write2_b64 v2, v[3:4], v[5:6] offset1:1
.LBB18_10:
	s_or_b32 exec_lo, exec_lo, s1
	s_load_dword s12, s[4:5], 0x28
	v_lshl_add_u32 v44, v1, 6, v0
	v_and_b32_e32 v10, 31, v0
	s_mul_i32 s1, s21, s7
	s_mul_hi_u32 s2, s20, s7
	s_mul_i32 s4, s20, s7
	v_lshrrev_b32_e32 v13, 5, v44
	s_add_i32 s5, s2, s1
	v_lshlrev_b32_e32 v14, 4, v10
	s_lshl_b64 s[4:5], s[4:5], 4
                                        ; implicit-def: $vgpr6_vgpr7
	s_add_u32 s1, s16, s4
	s_addc_u32 s2, s17, s5
	s_lshl_b64 s[4:5], s[18:19], 4
	s_add_u32 s1, s1, s4
	s_addc_u32 s2, s2, s5
	s_ashr_i32 s23, s22, 31
	s_lshl_b64 s[4:5], s[22:23], 4
	s_waitcnt lgkmcnt(0)
	v_mad_u64_u32 v[2:3], null, s12, v13, v[10:11]
	s_add_u32 s8, s1, s4
	s_mul_i32 s4, s12, s22
	s_addc_u32 s2, s2, s5
	s_ashr_i32 s5, s4, 31
	v_cmp_gt_i32_e64 s1, s10, v10
	s_lshl_b64 s[4:5], s[4:5], 4
	v_ashrrev_i32_e32 v3, 31, v2
	s_cmp_eq_u32 s10, 0
	s_cselect_b32 s23, -1, 0
	s_cmp_lg_u32 s10, 0
	v_lshlrev_b64 v[40:41], 4, v[2:3]
	s_cselect_b32 s28, -1, 0
	v_add_co_u32 v2, vcc_lo, s8, v40
	v_add_co_ci_u32_e64 v3, null, s2, v41, vcc_lo
	s_and_b32 vcc_lo, exec_lo, s28
	v_add_co_u32 v2, s2, v2, s4
	v_add_co_ci_u32_e64 v3, null, s5, v3, s2
	s_cbranch_vccz .LBB18_28
; %bb.11:
	v_sub_co_u32 v4, vcc_lo, v2, v14
	s_ashr_i32 s11, s10, 31
	v_subrev_co_ci_u32_e64 v5, null, 0, v3, vcc_lo
	s_lshl_b64 s[2:3], s[10:11], 4
	v_mad_u32_u24 v7, 0x210, v13, v14
	v_add_co_u32 v4, vcc_lo, v4, s2
	v_add_co_ci_u32_e64 v5, null, s3, v5, vcc_lo
	s_mov_b32 s4, exec_lo
	v_add_co_u32 v4, vcc_lo, v4, -16
	v_add_co_ci_u32_e64 v5, null, -1, v5, vcc_lo
	v_cndmask_b32_e64 v4, v4, v2, s1
	v_cndmask_b32_e64 v5, v5, v3, s1
	v_cmpx_le_i32_e64 s10, v13
	s_xor_b32 s4, exec_lo, s4
	s_cbranch_execz .LBB18_13
; %bb.12:
	v_mov_b32_e32 v15, 0
	v_mov_b32_e32 v16, v15
	;; [unrolled: 1-line block ×4, first 2 shown]
	ds_write_b128 v7, v[15:18]
                                        ; implicit-def: $vgpr7
.LBB18_13:
	s_or_saveexec_b32 s4, s4
	v_mul_u32_u24_e32 v6, 0x210, v13
	s_xor_b32 exec_lo, exec_lo, s4
	s_cbranch_execz .LBB18_15
; %bb.14:
	global_load_dwordx4 v[15:18], v[4:5], off
	s_waitcnt vmcnt(0)
	ds_write2_b64 v7, v[15:16], v[17:18] offset1:1
.LBB18_15:
	s_or_b32 exec_lo, exec_lo, s4
	v_add_nc_u32_e32 v7, 8, v13
	v_cmp_le_i32_e32 vcc_lo, s10, v7
	v_add_nc_u32_e32 v7, v6, v14
	s_and_saveexec_b32 s4, vcc_lo
	s_xor_b32 s4, exec_lo, s4
	s_cbranch_execz .LBB18_17
; %bb.16:
	v_mov_b32_e32 v15, 0
	v_mov_b32_e32 v16, v15
	;; [unrolled: 1-line block ×4, first 2 shown]
	ds_write_b128 v7, v[15:18] offset:4224
.LBB18_17:
	s_andn2_saveexec_b32 s4, s4
	s_cbranch_execz .LBB18_19
; %bb.18:
	s_lshl_b32 s16, s12, 3
	s_ashr_i32 s17, s16, 31
	s_lshl_b64 s[16:17], s[16:17], 4
	v_add_co_u32 v8, vcc_lo, v4, s16
	v_add_co_ci_u32_e64 v9, null, s17, v5, vcc_lo
	global_load_dwordx4 v[15:18], v[8:9], off
	v_add3_u32 v8, v6, v14, 0x1080
	s_waitcnt vmcnt(0)
	ds_write2_b64 v8, v[15:16], v[17:18] offset1:1
.LBB18_19:
	s_or_b32 exec_lo, exec_lo, s4
	v_add_nc_u32_e32 v8, 16, v13
	s_mov_b32 s4, exec_lo
	v_cmpx_le_i32_e64 s10, v8
	s_xor_b32 s4, exec_lo, s4
	s_cbranch_execz .LBB18_21
; %bb.20:
	v_mov_b32_e32 v15, 0
	v_mov_b32_e32 v16, v15
	;; [unrolled: 1-line block ×4, first 2 shown]
	ds_write_b128 v7, v[15:18] offset:8448
.LBB18_21:
	s_andn2_saveexec_b32 s4, s4
	s_cbranch_execz .LBB18_23
; %bb.22:
	s_lshl_b32 s16, s12, 4
	s_ashr_i32 s17, s16, 31
	s_lshl_b64 s[16:17], s[16:17], 4
	v_add_co_u32 v8, vcc_lo, v4, s16
	v_add_co_ci_u32_e64 v9, null, s17, v5, vcc_lo
	global_load_dwordx4 v[15:18], v[8:9], off
	v_add3_u32 v8, v6, v14, 0x2100
	s_waitcnt vmcnt(0)
	ds_write2_b64 v8, v[15:16], v[17:18] offset1:1
.LBB18_23:
	s_or_b32 exec_lo, exec_lo, s4
	v_add_nc_u32_e32 v8, 24, v13
	s_mov_b32 s4, exec_lo
	v_cmpx_le_i32_e64 s10, v8
	s_xor_b32 s4, exec_lo, s4
	s_cbranch_execz .LBB18_25
; %bb.24:
	v_mov_b32_e32 v15, 0
                                        ; implicit-def: $vgpr6
	v_mov_b32_e32 v16, v15
	v_mov_b32_e32 v17, v15
	;; [unrolled: 1-line block ×3, first 2 shown]
	ds_write_b128 v7, v[15:18] offset:12672
.LBB18_25:
	s_andn2_saveexec_b32 s4, s4
	s_cbranch_execz .LBB18_27
; %bb.26:
	s_mul_i32 s16, s12, 24
	v_add3_u32 v6, v6, v14, 0x3180
	s_ashr_i32 s17, s16, 31
	s_lshl_b64 s[16:17], s[16:17], 4
	v_add_co_u32 v7, vcc_lo, v4, s16
	v_add_co_ci_u32_e64 v8, null, s17, v5, vcc_lo
	global_load_dwordx4 v[15:18], v[7:8], off
	s_waitcnt vmcnt(0)
	ds_write2_b64 v6, v[15:16], v[17:18] offset1:1
.LBB18_27:
	s_or_b32 exec_lo, exec_lo, s4
	v_add_co_u32 v4, vcc_lo, v4, v14
	v_add_co_ci_u32_e64 v5, null, 0, v5, vcc_lo
	v_sub_co_u32 v4, vcc_lo, v4, s2
	v_subrev_co_ci_u32_e64 v5, null, s3, v5, vcc_lo
	s_mov_b32 s3, 0
	v_add_co_u32 v4, vcc_lo, v4, 16
	v_add_co_ci_u32_e64 v5, null, 0, v5, vcc_lo
	v_cndmask_b32_e64 v6, v4, v2, s1
	v_cndmask_b32_e64 v7, v5, v3, s1
.LBB18_28:
	v_mul_u32_u24_e32 v15, 0x210, v13
	s_and_b32 vcc_lo, exec_lo, s3
	s_cbranch_vccz .LBB18_30
; %bb.29:
	s_lshl_b32 s2, s12, 3
	s_ashr_i32 s13, s12, 31
	s_ashr_i32 s3, s2, 31
	s_lshl_b64 s[2:3], s[2:3], 4
	v_add_co_u32 v4, vcc_lo, v2, s2
	v_add_co_ci_u32_e64 v5, null, s3, v3, vcc_lo
	s_lshl_b64 s[2:3], s[12:13], 7
	v_add_co_u32 v6, vcc_lo, v4, s2
	v_add_co_ci_u32_e64 v7, null, s3, v5, vcc_lo
	v_add_co_u32 v8, vcc_lo, v6, s2
	v_add_co_ci_u32_e64 v9, null, s3, v7, vcc_lo
	s_clause 0x3
	global_load_dwordx4 v[16:19], v[2:3], off
	global_load_dwordx4 v[20:23], v[4:5], off
	;; [unrolled: 1-line block ×4, first 2 shown]
	v_lshl_add_u32 v4, v10, 4, v15
	v_mov_b32_e32 v7, v3
	v_mov_b32_e32 v6, v2
	v_add_nc_u32_e32 v5, 0x1080, v4
	v_add_nc_u32_e32 v8, 0x2100, v4
	;; [unrolled: 1-line block ×3, first 2 shown]
	s_waitcnt vmcnt(3)
	ds_write2_b64 v4, v[16:17], v[18:19] offset1:1
	s_waitcnt vmcnt(2)
	ds_write2_b64 v5, v[20:21], v[22:23] offset1:1
	s_waitcnt vmcnt(1)
	ds_write2_b64 v8, v[24:25], v[26:27] offset1:1
	s_waitcnt vmcnt(0)
	ds_write2_b64 v9, v[28:29], v[30:31] offset1:1
.LBB18_30:
	v_lshlrev_b32_e32 v18, 2, v13
	v_mul_u32_u24_e32 v16, 0x210, v10
	s_mov_b32 s1, 0
	s_waitcnt lgkmcnt(0)
	s_barrier
	v_cmp_le_u32_e64 s2, v18, v10
	buffer_gl0_inv
                                        ; implicit-def: $vgpr8
	s_and_saveexec_b32 s3, s2
	s_xor_b32 s3, exec_lo, s3
	s_cbranch_execz .LBB18_34
; %bb.31:
	s_mov_b32 s4, exec_lo
                                        ; implicit-def: $vgpr8
	v_cmpx_eq_u32_e64 v18, v10
	s_xor_b32 s4, exec_lo, s4
; %bb.32:
	s_mov_b32 s1, exec_lo
	v_add_nc_u32_e32 v8, v14, v16
; %bb.33:
	s_or_b32 exec_lo, exec_lo, s4
	s_and_b32 s1, s1, exec_lo
.LBB18_34:
	s_or_saveexec_b32 s3, s3
	v_lshl_or_b32 v2, v10, 9, v14
	v_mov_b32_e32 v4, 0
	v_mov_b32_e32 v5, 0
	v_mad_u32_u24 v9, 0x840, v13, v14
	v_lshl_add_u32 v11, v18, 4, v2
	s_xor_b32 exec_lo, exec_lo, s3
	s_cbranch_execz .LBB18_36
; %bb.35:
	ds_read_b128 v[2:5], v9
	v_mov_b32_e32 v8, v11
	s_or_b32 s1, s1, exec_lo
	s_waitcnt lgkmcnt(0)
	v_xor_b32_e32 v5, 0x80000000, v5
	ds_write_b64 v11, v[2:3]
.LBB18_36:
	s_or_b32 exec_lo, exec_lo, s3
	s_and_saveexec_b32 s3, s1
; %bb.37:
	ds_write_b64 v8, v[4:5] offset:8
; %bb.38:
	s_or_b32 exec_lo, exec_lo, s3
	v_or_b32_e32 v19, 1, v18
	v_cmp_ge_u32_e64 s3, v18, v10
	s_mov_b32 s1, 0
                                        ; implicit-def: $vgpr4_vgpr5
                                        ; implicit-def: $vgpr12
	v_mad_u32_u24 v8, 0x210, v19, v14
	s_and_saveexec_b32 s4, s3
	s_xor_b32 s4, exec_lo, s4
	s_cbranch_execnz .LBB18_78
; %bb.39:
	s_andn2_saveexec_b32 s4, s4
	s_cbranch_execnz .LBB18_79
.LBB18_40:
	s_or_b32 exec_lo, exec_lo, s4
	s_and_saveexec_b32 s4, s1
.LBB18_41:
	ds_write_b64 v12, v[4:5] offset:8
.LBB18_42:
	s_or_b32 exec_lo, exec_lo, s4
	v_or_b32_e32 v20, 2, v18
	s_mov_b32 s1, 0
                                        ; implicit-def: $vgpr12
	v_cmp_le_u32_e64 s4, v20, v10
	s_and_saveexec_b32 s5, s4
	s_xor_b32 s5, exec_lo, s5
	s_cbranch_execz .LBB18_46
; %bb.43:
	s_mov_b32 s8, exec_lo
                                        ; implicit-def: $vgpr12
	v_cmpx_eq_u32_e64 v20, v10
; %bb.44:
	v_add_nc_u32_e32 v12, v14, v16
	s_mov_b32 s1, exec_lo
; %bb.45:
	s_or_b32 exec_lo, exec_lo, s8
	s_and_b32 s1, s1, exec_lo
.LBB18_46:
	s_or_saveexec_b32 s5, s5
	v_mov_b32_e32 v4, 0
	v_mov_b32_e32 v5, 0
	s_xor_b32 exec_lo, exec_lo, s5
	s_cbranch_execz .LBB18_48
; %bb.47:
	v_mad_u32_u24 v2, 0x210, v20, v14
	v_add_nc_u32_e32 v12, 32, v11
	s_or_b32 s1, s1, exec_lo
	ds_read_b128 v[2:5], v2
	s_waitcnt lgkmcnt(0)
	v_xor_b32_e32 v5, 0x80000000, v5
	ds_write_b64 v11, v[2:3] offset:32
.LBB18_48:
	s_or_b32 exec_lo, exec_lo, s5
	s_and_saveexec_b32 s5, s1
; %bb.49:
	ds_write_b64 v12, v[4:5] offset:8
; %bb.50:
	s_or_b32 exec_lo, exec_lo, s5
	v_or_b32_e32 v21, 3, v18
	s_mov_b32 s1, 0
                                        ; implicit-def: $vgpr12
	v_cmp_le_u32_e64 s5, v21, v10
	s_and_saveexec_b32 s8, s5
	s_xor_b32 s8, exec_lo, s8
	s_cbranch_execz .LBB18_54
; %bb.51:
	s_mov_b32 s11, exec_lo
                                        ; implicit-def: $vgpr12
	v_cmpx_eq_u32_e64 v21, v10
; %bb.52:
	v_add_nc_u32_e32 v12, v14, v16
	s_mov_b32 s1, exec_lo
; %bb.53:
	s_or_b32 exec_lo, exec_lo, s11
	s_and_b32 s1, s1, exec_lo
                                        ; implicit-def: $vgpr11
.LBB18_54:
	s_or_saveexec_b32 s8, s8
	v_mov_b32_e32 v4, 0
	v_mov_b32_e32 v5, 0
	s_xor_b32 exec_lo, exec_lo, s8
	s_cbranch_execz .LBB18_56
; %bb.55:
	v_mad_u32_u24 v2, 0x210, v21, v14
	v_add_nc_u32_e32 v12, 48, v11
	s_or_b32 s1, s1, exec_lo
	ds_read_b128 v[2:5], v2
	s_waitcnt lgkmcnt(0)
	v_xor_b32_e32 v5, 0x80000000, v5
	ds_write_b64 v11, v[2:3] offset:48
.LBB18_56:
	s_or_b32 exec_lo, exec_lo, s8
	s_and_saveexec_b32 s8, s1
; %bb.57:
	ds_write_b64 v12, v[4:5] offset:8
; %bb.58:
	s_or_b32 exec_lo, exec_lo, s8
	v_lshlrev_b32_e32 v22, 4, v18
	s_waitcnt lgkmcnt(0)
	s_barrier
	buffer_gl0_inv
	ds_read_b128 v[2:5], v9
	ds_read_b128 v[23:26], v22 offset:18176
	ds_read_b128 v[27:30], v8
	ds_read_b128 v[31:34], v8 offset:1056
	ds_read_b128 v[45:48], v22 offset:18192
	;; [unrolled: 1-line block ×4, first 2 shown]
	v_cmp_gt_u32_e64 s1, 32, v44
	s_waitcnt lgkmcnt(5)
	v_mul_f64 v[11:12], v[25:26], v[4:5]
	v_mul_f64 v[4:5], v[23:24], v[4:5]
	s_waitcnt lgkmcnt(2)
	v_mul_f64 v[8:9], v[47:48], v[29:30]
	v_mul_f64 v[29:30], v[45:46], v[29:30]
	s_waitcnt lgkmcnt(0)
	v_mul_f64 v[35:36], v[53:54], v[51:52]
	v_fma_f64 v[11:12], v[23:24], v[2:3], -v[11:12]
	v_fma_f64 v[23:24], v[25:26], v[2:3], v[4:5]
	v_mul_f64 v[25:26], v[55:56], v[51:52]
	v_fma_f64 v[8:9], v[45:46], v[27:28], -v[8:9]
	v_fma_f64 v[27:28], v[47:48], v[27:28], v[29:30]
	ds_read_b128 v[2:5], v22 offset:18224
	v_fma_f64 v[35:36], v[55:56], v[49:50], v[35:36]
	s_waitcnt lgkmcnt(0)
	s_barrier
	buffer_gl0_inv
	v_add_f64 v[11:12], v[11:12], 0
	v_add_f64 v[23:24], v[23:24], 0
	v_fma_f64 v[25:26], v[53:54], v[49:50], -v[25:26]
	v_mul_f64 v[29:30], v[4:5], v[33:34]
	v_mul_f64 v[33:34], v[2:3], v[33:34]
	v_add_f64 v[8:9], v[11:12], v[8:9]
	v_add_f64 v[11:12], v[23:24], v[27:28]
	v_fma_f64 v[2:3], v[2:3], v[31:32], -v[29:30]
	v_fma_f64 v[4:5], v[4:5], v[31:32], v[33:34]
	v_add_f64 v[8:9], v[8:9], v[25:26]
	v_add_f64 v[11:12], v[11:12], v[35:36]
	;; [unrolled: 1-line block ×4, first 2 shown]
	v_mul_u32_u24_e32 v2, 33, v10
	v_mov_b32_e32 v4, 0
	v_mov_b32_e32 v5, 0
	v_lshlrev_b32_e32 v45, 4, v2
	v_mov_b32_e32 v2, 0
	v_mov_b32_e32 v3, 0
	v_lshl_add_u32 v46, v13, 4, v45
	ds_write_b128 v46, v[23:26]
	s_waitcnt lgkmcnt(0)
	s_barrier
	buffer_gl0_inv
	s_and_saveexec_b32 s8, s1
	s_cbranch_execz .LBB18_60
; %bb.59:
	ds_read_b128 v[2:5], v45
	ds_read_b128 v[23:26], v45 offset:16
	s_waitcnt lgkmcnt(0)
	v_add_f64 v[8:9], v[23:24], v[2:3]
	v_add_f64 v[11:12], v[25:26], v[4:5]
	ds_read_b128 v[2:5], v45 offset:32
	ds_read_b128 v[23:26], v45 offset:48
	s_waitcnt lgkmcnt(1)
	v_add_f64 v[2:3], v[8:9], v[2:3]
	v_add_f64 v[4:5], v[11:12], v[4:5]
	s_waitcnt lgkmcnt(0)
	v_add_f64 v[8:9], v[2:3], v[23:24]
	v_add_f64 v[11:12], v[4:5], v[25:26]
	ds_read_b128 v[2:5], v45 offset:64
	ds_read_b128 v[23:26], v45 offset:80
	s_waitcnt lgkmcnt(1)
	v_add_f64 v[2:3], v[8:9], v[2:3]
	v_add_f64 v[4:5], v[11:12], v[4:5]
	;; [unrolled: 8-line block ×3, first 2 shown]
	s_waitcnt lgkmcnt(0)
	v_add_f64 v[2:3], v[2:3], v[23:24]
	v_add_f64 v[4:5], v[4:5], v[25:26]
.LBB18_60:
	s_or_b32 exec_lo, exec_lo, s8
	s_lshl_b32 s18, s12, 5
	v_mad_u32_u24 v17, 0x210, v13, v14
	s_ashr_i32 s19, s18, 31
	s_lshl_b64 s[16:17], s[18:19], 4
	s_barrier
	v_add_co_u32 v23, vcc_lo, v6, s16
	v_add_co_ci_u32_e64 v24, null, s17, v7, vcc_lo
	buffer_gl0_inv
	v_add_co_u32 v6, vcc_lo, 0x200, v23
	v_add_co_ci_u32_e64 v7, null, 0, v24, vcc_lo
	s_and_b32 vcc_lo, exec_lo, s28
	s_cbranch_vccz .LBB18_82
; %bb.61:
	v_sub_co_u32 v8, vcc_lo, v23, v14
	s_ashr_i32 s11, s10, 31
	v_subrev_co_ci_u32_e64 v9, null, 0, v24, vcc_lo
	s_lshl_b64 s[20:21], s[10:11], 4
	v_or_b32_e32 v11, 32, v10
	v_add_co_u32 v8, vcc_lo, v8, s20
	v_add_co_ci_u32_e64 v9, null, s21, v9, vcc_lo
	s_sub_i32 s11, s10, 32
	v_add_co_u32 v8, vcc_lo, v8, -16
	v_add_co_ci_u32_e64 v9, null, -1, v9, vcc_lo
	v_cmp_gt_i32_e32 vcc_lo, s10, v11
	v_cmp_le_i32_e64 s8, s11, v13
	v_cndmask_b32_e32 v9, v9, v7, vcc_lo
	v_cndmask_b32_e32 v8, v8, v6, vcc_lo
	s_and_saveexec_b32 s13, s8
	s_xor_b32 s8, exec_lo, s13
	s_cbranch_execz .LBB18_63
; %bb.62:
	v_mov_b32_e32 v25, 0
	v_mov_b32_e32 v26, v25
	;; [unrolled: 1-line block ×4, first 2 shown]
	ds_write_b128 v17, v[25:28]
.LBB18_63:
	s_andn2_saveexec_b32 s8, s8
	s_cbranch_execz .LBB18_65
; %bb.64:
	global_load_dwordx4 v[25:28], v[8:9], off
	s_waitcnt vmcnt(0)
	ds_write2_b64 v17, v[25:26], v[27:28] offset1:1
.LBB18_65:
	s_or_b32 exec_lo, exec_lo, s8
	v_add_nc_u32_e32 v11, 8, v13
	v_cmp_le_i32_e64 s8, s11, v11
	v_add_nc_u32_e32 v11, v15, v14
	s_and_saveexec_b32 s13, s8
	s_xor_b32 s8, exec_lo, s13
	s_cbranch_execz .LBB18_67
; %bb.66:
	v_mov_b32_e32 v25, 0
	v_mov_b32_e32 v26, v25
	;; [unrolled: 1-line block ×4, first 2 shown]
	ds_write_b128 v11, v[25:28] offset:4224
.LBB18_67:
	s_andn2_saveexec_b32 s13, s8
	s_cbranch_execz .LBB18_69
; %bb.68:
	s_lshl_b32 s30, s12, 3
	v_add3_u32 v12, v15, v14, 0x1080
	s_ashr_i32 s31, s30, 31
	s_lshl_b64 s[30:31], s[30:31], 4
	v_add_co_u32 v25, s8, v8, s30
	v_add_co_ci_u32_e64 v26, null, s31, v9, s8
	global_load_dwordx4 v[25:28], v[25:26], off
	s_waitcnt vmcnt(0)
	ds_write2_b64 v12, v[25:26], v[27:28] offset1:1
.LBB18_69:
	s_or_b32 exec_lo, exec_lo, s13
	v_add_nc_u32_e32 v12, 16, v13
	v_cmp_le_i32_e64 s8, s11, v12
	s_and_saveexec_b32 s13, s8
	s_xor_b32 s8, exec_lo, s13
	s_cbranch_execz .LBB18_71
; %bb.70:
	v_mov_b32_e32 v25, 0
	v_mov_b32_e32 v26, v25
	;; [unrolled: 1-line block ×4, first 2 shown]
	ds_write_b128 v11, v[25:28] offset:8448
.LBB18_71:
	s_andn2_saveexec_b32 s13, s8
	s_cbranch_execz .LBB18_73
; %bb.72:
	s_lshl_b32 s30, s12, 4
	v_add3_u32 v12, v15, v14, 0x2100
	s_ashr_i32 s31, s30, 31
	s_lshl_b64 s[30:31], s[30:31], 4
	v_add_co_u32 v25, s8, v8, s30
	v_add_co_ci_u32_e64 v26, null, s31, v9, s8
	global_load_dwordx4 v[25:28], v[25:26], off
	s_waitcnt vmcnt(0)
	ds_write2_b64 v12, v[25:26], v[27:28] offset1:1
.LBB18_73:
	s_or_b32 exec_lo, exec_lo, s13
	v_add_nc_u32_e32 v12, 24, v13
	v_cmp_le_i32_e64 s8, s11, v12
	s_and_saveexec_b32 s11, s8
	s_xor_b32 s8, exec_lo, s11
	s_cbranch_execz .LBB18_75
; %bb.74:
	v_mov_b32_e32 v25, 0
	v_mov_b32_e32 v26, v25
	;; [unrolled: 1-line block ×4, first 2 shown]
	ds_write_b128 v11, v[25:28] offset:12672
.LBB18_75:
	s_andn2_saveexec_b32 s11, s8
	s_cbranch_execz .LBB18_77
; %bb.76:
	s_mul_i32 s30, s12, 24
	s_ashr_i32 s31, s30, 31
	s_lshl_b64 s[30:31], s[30:31], 4
	v_add_co_u32 v11, s8, v8, s30
	v_add_co_ci_u32_e64 v12, null, s31, v9, s8
	global_load_dwordx4 v[25:28], v[11:12], off
	v_add3_u32 v11, v15, v14, 0x3180
	s_waitcnt vmcnt(0)
	ds_write2_b64 v11, v[25:26], v[27:28] offset1:1
.LBB18_77:
	s_or_b32 exec_lo, exec_lo, s11
	v_add_co_u32 v8, s8, v8, v14
	v_add_co_ci_u32_e64 v9, null, 0, v9, s8
	v_sub_co_u32 v8, s8, v8, s20
	v_subrev_co_ci_u32_e64 v9, null, s21, v9, s8
	v_add_co_u32 v8, s8, 0x210, v8
	v_add_co_ci_u32_e64 v9, null, 0, v9, s8
	v_cndmask_b32_e32 v11, v8, v6, vcc_lo
	v_cndmask_b32_e32 v12, v9, v7, vcc_lo
	s_branch .LBB18_84
.LBB18_78:
	ds_read_b128 v[2:5], v8
	s_mov_b32 s1, exec_lo
	v_add_nc_u32_e32 v12, 16, v11
	s_waitcnt lgkmcnt(0)
	v_xor_b32_e32 v5, 0x80000000, v5
	ds_write_b64 v11, v[2:3] offset:16
	s_andn2_saveexec_b32 s4, s4
	s_cbranch_execz .LBB18_40
.LBB18_79:
	s_mov_b32 s5, s1
	s_mov_b32 s8, exec_lo
                                        ; implicit-def: $vgpr12
	v_cmpx_eq_u32_e64 v19, v10
; %bb.80:
	v_add_nc_u32_e32 v12, v14, v16
	s_or_b32 s5, s1, exec_lo
; %bb.81:
	s_or_b32 exec_lo, exec_lo, s8
	v_mov_b32_e32 v4, 0
	v_mov_b32_e32 v5, 0
	s_andn2_b32 s1, s1, exec_lo
	s_and_b32 s5, s5, exec_lo
	s_or_b32 s1, s1, s5
	s_or_b32 exec_lo, exec_lo, s4
	s_and_saveexec_b32 s4, s1
	s_cbranch_execnz .LBB18_41
	s_branch .LBB18_42
.LBB18_82:
                                        ; implicit-def: $vgpr11_vgpr12
	s_cbranch_execz .LBB18_84
; %bb.83:
	s_lshl_b32 s20, s12, 3
	s_ashr_i32 s13, s12, 31
	s_ashr_i32 s21, s20, 31
	s_lshl_b64 s[20:21], s[20:21], 4
	v_add_co_u32 v8, vcc_lo, v23, s20
	v_add_co_ci_u32_e64 v9, null, s21, v24, vcc_lo
	s_lshl_b64 s[20:21], s[12:13], 7
	v_add_co_u32 v11, vcc_lo, v8, s20
	v_add_co_ci_u32_e64 v12, null, s21, v9, vcc_lo
	v_add_co_u32 v35, vcc_lo, v11, s20
	v_add_co_ci_u32_e64 v36, null, s21, v12, vcc_lo
	s_clause 0x3
	global_load_dwordx4 v[23:26], v[6:7], off
	global_load_dwordx4 v[27:30], v[8:9], off offset:512
	global_load_dwordx4 v[31:34], v[11:12], off offset:512
	global_load_dwordx4 v[47:50], v[35:36], off offset:512
	v_mov_b32_e32 v12, v7
	v_mov_b32_e32 v11, v6
	v_add_nc_u32_e32 v8, 0x1080, v17
	v_add_nc_u32_e32 v9, 0x2100, v17
	;; [unrolled: 1-line block ×3, first 2 shown]
	s_waitcnt vmcnt(3)
	ds_write2_b64 v17, v[23:24], v[25:26] offset1:1
	s_waitcnt vmcnt(2)
	ds_write2_b64 v8, v[27:28], v[29:30] offset1:1
	;; [unrolled: 2-line block ×4, first 2 shown]
.LBB18_84:
	v_mul_u32_u24_e32 v6, 0x840, v13
	s_mov_b32 s8, 0
	s_waitcnt lgkmcnt(0)
	s_barrier
	buffer_gl0_inv
                                        ; implicit-def: $vgpr23
	s_and_saveexec_b32 s11, s2
	s_xor_b32 s2, exec_lo, s11
	s_cbranch_execz .LBB18_88
; %bb.85:
	s_mov_b32 s11, exec_lo
                                        ; implicit-def: $vgpr23
	v_cmpx_eq_u32_e64 v18, v10
	s_xor_b32 s11, exec_lo, s11
; %bb.86:
	v_add_nc_u32_e32 v23, v14, v16
	s_mov_b32 s8, exec_lo
; %bb.87:
	s_or_b32 exec_lo, exec_lo, s11
	s_and_b32 s8, s8, exec_lo
.LBB18_88:
	s_or_saveexec_b32 s2, s2
	v_mov_b32_e32 v8, 0
	v_mov_b32_e32 v9, 0
	v_add_nc_u32_e32 v34, v14, v6
	v_lshl_add_u32 v18, v18, 4, v45
	s_xor_b32 exec_lo, exec_lo, s2
	s_cbranch_execz .LBB18_90
; %bb.89:
	ds_read_b128 v[6:9], v34
	v_mov_b32_e32 v23, v18
	s_or_b32 s8, s8, exec_lo
	s_waitcnt lgkmcnt(0)
	v_xor_b32_e32 v9, 0x80000000, v9
	ds_write_b64 v18, v[6:7]
.LBB18_90:
	s_or_b32 exec_lo, exec_lo, s2
	v_mul_u32_u24_e32 v6, 0x210, v19
	s_and_saveexec_b32 s2, s8
; %bb.91:
	ds_write_b64 v23, v[8:9] offset:8
; %bb.92:
	s_or_b32 exec_lo, exec_lo, s2
	v_add_nc_u32_e32 v47, v14, v6
	s_mov_b32 s2, 0
                                        ; implicit-def: $vgpr8_vgpr9
                                        ; implicit-def: $vgpr23
	s_and_saveexec_b32 s8, s3
	s_xor_b32 s3, exec_lo, s8
	s_cbranch_execnz .LBB18_132
; %bb.93:
	s_andn2_saveexec_b32 s3, s3
	s_cbranch_execnz .LBB18_133
.LBB18_94:
	s_or_b32 exec_lo, exec_lo, s3
	s_and_saveexec_b32 s3, s2
.LBB18_95:
	ds_write_b64 v23, v[8:9] offset:8
.LBB18_96:
	s_or_b32 exec_lo, exec_lo, s3
	s_mov_b32 s2, 0
                                        ; implicit-def: $vgpr19
	s_and_saveexec_b32 s3, s4
	s_xor_b32 s3, exec_lo, s3
	s_cbranch_execz .LBB18_100
; %bb.97:
	s_mov_b32 s4, exec_lo
                                        ; implicit-def: $vgpr19
	v_cmpx_eq_u32_e64 v20, v10
; %bb.98:
	v_add_nc_u32_e32 v19, v14, v16
	s_mov_b32 s2, exec_lo
; %bb.99:
	s_or_b32 exec_lo, exec_lo, s4
	s_and_b32 s2, s2, exec_lo
.LBB18_100:
	s_or_saveexec_b32 s3, s3
	v_mov_b32_e32 v8, 0
	v_mov_b32_e32 v9, 0
	s_xor_b32 exec_lo, exec_lo, s3
	s_cbranch_execz .LBB18_102
; %bb.101:
	ds_read_b128 v[6:9], v47 offset:528
	v_add_nc_u32_e32 v19, 32, v18
	s_or_b32 s2, s2, exec_lo
	s_waitcnt lgkmcnt(0)
	v_xor_b32_e32 v9, 0x80000000, v9
	ds_write_b64 v18, v[6:7] offset:32
.LBB18_102:
	s_or_b32 exec_lo, exec_lo, s3
	s_and_saveexec_b32 s3, s2
; %bb.103:
	ds_write_b64 v19, v[8:9] offset:8
; %bb.104:
	s_or_b32 exec_lo, exec_lo, s3
	s_mov_b32 s2, 0
                                        ; implicit-def: $vgpr19
	s_and_saveexec_b32 s3, s5
	s_xor_b32 s3, exec_lo, s3
	s_cbranch_execz .LBB18_108
; %bb.105:
	s_mov_b32 s4, exec_lo
                                        ; implicit-def: $vgpr19
	v_cmpx_eq_u32_e64 v21, v10
; %bb.106:
	v_add_nc_u32_e32 v19, v14, v16
	s_mov_b32 s2, exec_lo
; %bb.107:
	s_or_b32 exec_lo, exec_lo, s4
	s_and_b32 s2, s2, exec_lo
                                        ; implicit-def: $vgpr18
.LBB18_108:
	s_or_saveexec_b32 s3, s3
	v_mov_b32_e32 v8, 0
	v_mov_b32_e32 v9, 0
	s_xor_b32 exec_lo, exec_lo, s3
	s_cbranch_execz .LBB18_110
; %bb.109:
	ds_read_b128 v[6:9], v47 offset:1056
	v_add_nc_u32_e32 v19, 48, v18
	s_or_b32 s2, s2, exec_lo
	s_waitcnt lgkmcnt(0)
	v_xor_b32_e32 v9, 0x80000000, v9
	ds_write_b64 v18, v[6:7] offset:48
.LBB18_110:
	s_or_b32 exec_lo, exec_lo, s3
	v_add_nc_u32_e32 v16, 0x4700, v22
	s_and_saveexec_b32 s3, s2
; %bb.111:
	ds_write_b64 v19, v[8:9] offset:8
; %bb.112:
	s_or_b32 exec_lo, exec_lo, s3
	s_waitcnt lgkmcnt(0)
	s_barrier
	buffer_gl0_inv
	ds_read_b128 v[6:9], v34
	ds_read_b128 v[18:21], v16 offset:512
	ds_read_b128 v[22:25], v16 offset:528
	ds_read_b128 v[26:29], v47
	ds_read_b128 v[30:33], v47 offset:1056
	ds_read_b128 v[48:51], v16 offset:544
	;; [unrolled: 1-line block ×3, first 2 shown]
	v_cmp_eq_u32_e64 s2, 1, v13
	s_waitcnt lgkmcnt(5)
	v_mul_f64 v[35:36], v[20:21], v[8:9]
	v_mul_f64 v[8:9], v[18:19], v[8:9]
	s_waitcnt lgkmcnt(3)
	v_mul_f64 v[42:43], v[24:25], v[28:29]
	v_mul_f64 v[28:29], v[22:23], v[28:29]
	v_fma_f64 v[18:19], v[18:19], v[6:7], -v[35:36]
	v_fma_f64 v[20:21], v[20:21], v[6:7], v[8:9]
	s_waitcnt lgkmcnt(0)
	v_mul_f64 v[35:36], v[50:51], v[54:55]
	v_mul_f64 v[54:55], v[48:49], v[54:55]
	v_fma_f64 v[22:23], v[22:23], v[26:27], -v[42:43]
	v_fma_f64 v[24:25], v[24:25], v[26:27], v[28:29]
	ds_read_b128 v[6:9], v16 offset:560
	s_waitcnt lgkmcnt(0)
	s_barrier
	buffer_gl0_inv
	v_add_f64 v[18:19], v[18:19], 0
	v_add_f64 v[20:21], v[20:21], 0
	v_mul_f64 v[26:27], v[8:9], v[32:33]
	v_mul_f64 v[28:29], v[6:7], v[32:33]
	v_fma_f64 v[32:33], v[48:49], v[52:53], -v[35:36]
	v_fma_f64 v[35:36], v[50:51], v[52:53], v[54:55]
	v_add_f64 v[18:19], v[18:19], v[22:23]
	v_add_f64 v[20:21], v[20:21], v[24:25]
	v_fma_f64 v[6:7], v[6:7], v[30:31], -v[26:27]
	v_fma_f64 v[8:9], v[8:9], v[30:31], v[28:29]
	v_add_f64 v[18:19], v[18:19], v[32:33]
	v_add_f64 v[20:21], v[20:21], v[35:36]
	v_add_f64 v[6:7], v[18:19], v[6:7]
	v_add_f64 v[8:9], v[20:21], v[8:9]
	ds_write_b128 v46, v[6:9]
	s_waitcnt lgkmcnt(0)
	s_barrier
	buffer_gl0_inv
	s_and_saveexec_b32 s3, s2
	s_cbranch_execz .LBB18_114
; %bb.113:
	ds_read_b128 v[2:5], v45
	ds_read_b128 v[6:9], v45 offset:16
	s_waitcnt lgkmcnt(0)
	v_add_f64 v[18:19], v[6:7], v[2:3]
	v_add_f64 v[20:21], v[8:9], v[4:5]
	ds_read_b128 v[2:5], v45 offset:32
	ds_read_b128 v[6:9], v45 offset:48
	s_waitcnt lgkmcnt(1)
	v_add_f64 v[2:3], v[18:19], v[2:3]
	v_add_f64 v[4:5], v[20:21], v[4:5]
	s_waitcnt lgkmcnt(0)
	v_add_f64 v[18:19], v[2:3], v[6:7]
	v_add_f64 v[20:21], v[4:5], v[8:9]
	ds_read_b128 v[2:5], v45 offset:64
	ds_read_b128 v[6:9], v45 offset:80
	s_waitcnt lgkmcnt(1)
	v_add_f64 v[2:3], v[18:19], v[2:3]
	v_add_f64 v[4:5], v[20:21], v[4:5]
	;; [unrolled: 8-line block ×3, first 2 shown]
	s_waitcnt lgkmcnt(0)
	v_add_f64 v[2:3], v[2:3], v[6:7]
	v_add_f64 v[4:5], v[4:5], v[8:9]
.LBB18_114:
	s_or_b32 exec_lo, exec_lo, s3
	v_add_co_u32 v6, vcc_lo, 0xfffffe00, v11
	v_add_co_ci_u32_e64 v7, null, -1, v12, vcc_lo
	s_and_b32 vcc_lo, exec_lo, s28
	s_barrier
	buffer_gl0_inv
	s_cbranch_vccz .LBB18_136
; %bb.115:
	v_sub_co_u32 v8, vcc_lo, v11, v14
	s_ashr_i32 s11, s10, 31
	v_subrev_co_ci_u32_e64 v9, null, 0, v12, vcc_lo
	s_lshl_b64 s[4:5], s[10:11], 4
	s_sub_i32 s8, s10, 32
	v_add_co_u32 v8, vcc_lo, v8, s4
	v_add_co_ci_u32_e64 v9, null, s5, v9, vcc_lo
	v_cmp_le_i32_e64 s3, s8, v13
	v_add_co_u32 v8, vcc_lo, 0xfffffdf0, v8
	v_add_co_ci_u32_e64 v9, null, -1, v9, vcc_lo
	v_cmp_gt_i32_e32 vcc_lo, s10, v10
	v_cndmask_b32_e32 v9, v9, v7, vcc_lo
	v_cndmask_b32_e32 v8, v8, v6, vcc_lo
	s_and_saveexec_b32 s11, s3
	s_xor_b32 s3, exec_lo, s11
	s_cbranch_execz .LBB18_117
; %bb.116:
	v_mov_b32_e32 v18, 0
	v_mov_b32_e32 v19, v18
	v_mov_b32_e32 v20, v18
	v_mov_b32_e32 v21, v18
	ds_write_b128 v17, v[18:21]
.LBB18_117:
	s_andn2_saveexec_b32 s3, s3
	s_cbranch_execz .LBB18_119
; %bb.118:
	global_load_dwordx4 v[18:21], v[8:9], off
	s_waitcnt vmcnt(0)
	ds_write2_b64 v17, v[18:19], v[20:21] offset1:1
.LBB18_119:
	s_or_b32 exec_lo, exec_lo, s3
	v_add_nc_u32_e32 v10, 8, v13
	v_add_nc_u32_e32 v20, v15, v14
	v_cmp_le_i32_e64 s3, s8, v10
	s_and_saveexec_b32 s11, s3
	s_xor_b32 s3, exec_lo, s11
	s_cbranch_execz .LBB18_121
; %bb.120:
	v_mov_b32_e32 v21, 0
	v_mov_b32_e32 v22, v21
	;; [unrolled: 1-line block ×4, first 2 shown]
	ds_write_b128 v20, v[21:24] offset:4224
.LBB18_121:
	s_andn2_saveexec_b32 s11, s3
	s_cbranch_execz .LBB18_123
; %bb.122:
	s_lshl_b32 s20, s12, 3
	s_ashr_i32 s21, s20, 31
	s_lshl_b64 s[20:21], s[20:21], 4
	v_add_co_u32 v18, s3, v8, s20
	v_add_co_ci_u32_e64 v19, null, s21, v9, s3
	global_load_dwordx4 v[21:24], v[18:19], off
	v_add3_u32 v18, v15, v14, 0x1080
	s_waitcnt vmcnt(0)
	ds_write2_b64 v18, v[21:22], v[23:24] offset1:1
.LBB18_123:
	s_or_b32 exec_lo, exec_lo, s11
	v_add_nc_u32_e32 v19, 16, v13
	v_cmp_le_i32_e64 s3, s8, v19
	s_and_saveexec_b32 s11, s3
	s_xor_b32 s3, exec_lo, s11
	s_cbranch_execz .LBB18_125
; %bb.124:
	v_mov_b32_e32 v21, 0
	v_mov_b32_e32 v22, v21
	;; [unrolled: 1-line block ×4, first 2 shown]
	ds_write_b128 v20, v[21:24] offset:8448
.LBB18_125:
	s_andn2_saveexec_b32 s11, s3
	s_cbranch_execz .LBB18_127
; %bb.126:
	s_lshl_b32 s20, s12, 4
	v_add3_u32 v18, v15, v14, 0x2100
	s_ashr_i32 s21, s20, 31
	s_lshl_b64 s[20:21], s[20:21], 4
	v_add_co_u32 v21, s3, v8, s20
	v_add_co_ci_u32_e64 v22, null, s21, v9, s3
	global_load_dwordx4 v[21:24], v[21:22], off
	s_waitcnt vmcnt(0)
	ds_write2_b64 v18, v[21:22], v[23:24] offset1:1
.LBB18_127:
	s_or_b32 exec_lo, exec_lo, s11
	v_add_nc_u32_e32 v18, 24, v13
	v_cmp_le_i32_e64 s3, s8, v18
	s_and_saveexec_b32 s8, s3
	s_xor_b32 s3, exec_lo, s8
	s_cbranch_execz .LBB18_129
; %bb.128:
	v_mov_b32_e32 v21, 0
                                        ; implicit-def: $vgpr15
	v_mov_b32_e32 v22, v21
	v_mov_b32_e32 v23, v21
	;; [unrolled: 1-line block ×3, first 2 shown]
	ds_write_b128 v20, v[21:24] offset:12672
.LBB18_129:
	s_andn2_saveexec_b32 s8, s3
	s_cbranch_execz .LBB18_131
; %bb.130:
	s_mul_i32 s20, s12, 24
	v_add3_u32 v15, v15, v14, 0x3180
	s_ashr_i32 s21, s20, 31
	s_lshl_b64 s[20:21], s[20:21], 4
	v_add_co_u32 v20, s3, v8, s20
	v_add_co_ci_u32_e64 v21, null, s21, v9, s3
	global_load_dwordx4 v[20:23], v[20:21], off
	s_waitcnt vmcnt(0)
	ds_write2_b64 v15, v[20:21], v[22:23] offset1:1
.LBB18_131:
	s_or_b32 exec_lo, exec_lo, s8
	v_add_co_u32 v8, s3, v8, v14
	v_add_co_ci_u32_e64 v9, null, 0, v9, s3
	v_sub_co_u32 v8, s3, v8, s4
	v_subrev_co_ci_u32_e64 v9, null, s5, v9, s3
	v_add_co_u32 v8, s3, v8, 16
	v_add_co_ci_u32_e64 v9, null, 0, v9, s3
	v_cndmask_b32_e32 v42, v8, v6, vcc_lo
	v_cndmask_b32_e32 v43, v9, v7, vcc_lo
	s_branch .LBB18_138
.LBB18_132:
	ds_read_b128 v[6:9], v47
	s_mov_b32 s2, exec_lo
	v_add_nc_u32_e32 v23, 16, v18
                                        ; implicit-def: $vgpr19
	s_waitcnt lgkmcnt(0)
	v_xor_b32_e32 v9, 0x80000000, v9
	ds_write_b64 v18, v[6:7] offset:16
	s_andn2_saveexec_b32 s3, s3
	s_cbranch_execz .LBB18_94
.LBB18_133:
	s_mov_b32 s8, s2
	s_mov_b32 s11, exec_lo
                                        ; implicit-def: $vgpr23
	v_cmpx_eq_u32_e64 v19, v10
; %bb.134:
	v_add_nc_u32_e32 v23, v14, v16
	s_or_b32 s8, s2, exec_lo
; %bb.135:
	s_or_b32 exec_lo, exec_lo, s11
	v_mov_b32_e32 v8, 0
	v_mov_b32_e32 v9, 0
	s_andn2_b32 s2, s2, exec_lo
	s_and_b32 s8, s8, exec_lo
	s_or_b32 s2, s2, s8
	s_or_b32 exec_lo, exec_lo, s3
	s_and_saveexec_b32 s3, s2
	s_cbranch_execnz .LBB18_95
	s_branch .LBB18_96
.LBB18_136:
                                        ; implicit-def: $vgpr42_vgpr43
                                        ; implicit-def: $vgpr10
                                        ; implicit-def: $vgpr19
                                        ; implicit-def: $vgpr18
	s_cbranch_execz .LBB18_138
; %bb.137:
	s_lshl_b32 s4, s12, 3
	s_ashr_i32 s13, s12, 31
	s_ashr_i32 s5, s4, 31
	v_mov_b32_e32 v43, v7
	s_lshl_b64 s[4:5], s[4:5], 4
	v_add_nc_u32_e32 v19, 16, v13
	v_add_co_u32 v8, vcc_lo, v11, s4
	v_add_co_ci_u32_e64 v9, null, s5, v12, vcc_lo
	s_lshl_b64 s[4:5], s[12:13], 7
	v_add_nc_u32_e32 v18, 24, v13
	v_add_co_u32 v10, vcc_lo, v8, s4
	v_add_co_ci_u32_e64 v11, null, s5, v9, vcc_lo
	v_mov_b32_e32 v42, v6
	v_add_co_u32 v14, vcc_lo, v10, s4
	v_add_co_ci_u32_e64 v15, null, s5, v11, vcc_lo
	s_clause 0x3
	global_load_dwordx4 v[20:23], v[6:7], off
	global_load_dwordx4 v[24:27], v[8:9], off offset:-512
	global_load_dwordx4 v[28:31], v[10:11], off offset:-512
	;; [unrolled: 1-line block ×3, first 2 shown]
	v_add_nc_u32_e32 v10, 8, v13
	v_add_nc_u32_e32 v8, 0x1080, v17
	;; [unrolled: 1-line block ×4, first 2 shown]
	s_waitcnt vmcnt(3)
	ds_write2_b64 v17, v[20:21], v[22:23] offset1:1
	s_waitcnt vmcnt(2)
	ds_write2_b64 v8, v[24:25], v[26:27] offset1:1
	;; [unrolled: 2-line block ×4, first 2 shown]
.LBB18_138:
	v_lshlrev_b32_e32 v11, 4, v13
	s_waitcnt lgkmcnt(0)
	s_barrier
	buffer_gl0_inv
	v_lshlrev_b32_e32 v10, 4, v10
	v_add_nc_u32_e32 v6, v45, v11
	ds_read_b128 v[6:9], v6
	ds_read_b128 v[11:14], v11 offset:18176
	v_add_nc_u32_e32 v15, v45, v10
	ds_read_b128 v[20:23], v15
	ds_read_b128 v[24:27], v10 offset:18176
	v_lshlrev_b32_e32 v10, 4, v19
	v_add_nc_u32_e32 v15, v45, v10
	ds_read_b128 v[28:31], v15
	ds_read_b128 v[48:51], v10 offset:18176
	v_lshlrev_b32_e32 v10, 4, v18
	s_waitcnt lgkmcnt(4)
	v_mul_f64 v[32:33], v[8:9], v[13:14]
	v_mul_f64 v[8:9], v[8:9], v[11:12]
	s_waitcnt lgkmcnt(2)
	v_mul_f64 v[35:36], v[22:23], v[26:27]
	v_mul_f64 v[22:23], v[22:23], v[24:25]
	;; [unrolled: 3-line block ×3, first 2 shown]
	v_fma_f64 v[32:33], v[6:7], v[11:12], v[32:33]
	v_fma_f64 v[14:15], v[6:7], v[13:14], -v[8:9]
	v_add_nc_u32_e32 v6, v45, v10
	ds_read_b128 v[6:9], v6
	ds_read_b128 v[10:13], v10 offset:18176
	v_fma_f64 v[24:25], v[20:21], v[24:25], v[35:36]
	v_fma_f64 v[19:20], v[20:21], v[26:27], -v[22:23]
	v_fma_f64 v[17:18], v[28:29], v[48:49], v[17:18]
	v_fma_f64 v[28:29], v[28:29], v[50:51], -v[30:31]
	v_add_f64 v[21:22], v[32:33], 0
	v_add_f64 v[14:15], v[14:15], 0
	s_waitcnt lgkmcnt(0)
	v_mul_f64 v[26:27], v[8:9], v[12:13]
	v_mul_f64 v[8:9], v[8:9], v[10:11]
	v_add_f64 v[21:22], v[21:22], v[24:25]
	v_add_f64 v[14:15], v[14:15], v[19:20]
	v_fma_f64 v[10:11], v[6:7], v[10:11], v[26:27]
	v_fma_f64 v[6:7], v[6:7], v[12:13], -v[8:9]
	v_add_f64 v[8:9], v[21:22], v[17:18]
	v_add_f64 v[12:13], v[14:15], v[28:29]
	ds_read_b128 v[30:33], v16 offset:512
	ds_read_b128 v[22:25], v16 offset:528
	v_add_f64 v[48:49], v[8:9], v[10:11]
	v_add_f64 v[50:51], v[12:13], v[6:7]
	ds_read_b128 v[10:13], v16 offset:544
	ds_read_b128 v[6:9], v16 offset:560
	ds_read_b128 v[26:29], v47
	ds_read_b128 v[18:21], v47 offset:528
	ds_read_b128 v[34:37], v34
	ds_read_b128 v[14:17], v47 offset:1056
	s_waitcnt lgkmcnt(0)
	s_barrier
	buffer_gl0_inv
	ds_write_b128 v46, v[48:51]
	s_waitcnt lgkmcnt(0)
	s_barrier
	buffer_gl0_inv
	s_and_saveexec_b32 s3, s2
	s_cbranch_execz .LBB18_140
; %bb.139:
	ds_read_b128 v[47:50], v45
	ds_read_b128 v[51:54], v45 offset:16
	s_waitcnt lgkmcnt(1)
	v_add_f64 v[2:3], v[2:3], v[47:48]
	v_add_f64 v[4:5], v[4:5], v[49:50]
	s_waitcnt lgkmcnt(0)
	v_add_f64 v[51:52], v[2:3], v[51:52]
	v_add_f64 v[53:54], v[4:5], v[53:54]
	ds_read_b128 v[2:5], v45 offset:32
	ds_read_b128 v[47:50], v45 offset:48
	s_waitcnt lgkmcnt(1)
	v_add_f64 v[2:3], v[51:52], v[2:3]
	v_add_f64 v[4:5], v[53:54], v[4:5]
	s_waitcnt lgkmcnt(0)
	v_add_f64 v[51:52], v[2:3], v[47:48]
	v_add_f64 v[53:54], v[4:5], v[49:50]
	ds_read_b128 v[2:5], v45 offset:64
	;; [unrolled: 8-line block ×3, first 2 shown]
	ds_read_b128 v[47:50], v45 offset:112
	s_waitcnt lgkmcnt(1)
	v_add_f64 v[2:3], v[51:52], v[2:3]
	v_add_f64 v[4:5], v[53:54], v[4:5]
	s_waitcnt lgkmcnt(0)
	v_add_f64 v[2:3], v[2:3], v[47:48]
	v_add_f64 v[4:5], v[4:5], v[49:50]
.LBB18_140:
	s_or_b32 exec_lo, exec_lo, s3
	v_mul_f64 v[47:48], v[32:33], v[36:37]
	v_mul_f64 v[36:37], v[30:31], v[36:37]
	;; [unrolled: 1-line block ×4, first 2 shown]
	s_barrier
	buffer_gl0_inv
	v_fma_f64 v[30:31], v[30:31], v[34:35], -v[47:48]
	v_fma_f64 v[32:33], v[32:33], v[34:35], v[36:37]
	v_mul_f64 v[34:35], v[12:13], v[20:21]
	v_mul_f64 v[20:21], v[10:11], v[20:21]
	v_fma_f64 v[22:23], v[22:23], v[26:27], -v[49:50]
	v_fma_f64 v[24:25], v[24:25], v[26:27], v[28:29]
	v_add_f64 v[26:27], v[30:31], 0
	v_add_f64 v[28:29], v[32:33], 0
	v_mul_f64 v[30:31], v[8:9], v[16:17]
	v_mul_f64 v[16:17], v[6:7], v[16:17]
	v_fma_f64 v[10:11], v[10:11], v[18:19], -v[34:35]
	v_fma_f64 v[12:13], v[12:13], v[18:19], v[20:21]
	v_add_f64 v[18:19], v[26:27], v[22:23]
	v_add_f64 v[20:21], v[28:29], v[24:25]
	v_fma_f64 v[6:7], v[6:7], v[14:15], -v[30:31]
	v_fma_f64 v[8:9], v[8:9], v[14:15], v[16:17]
	v_add_f64 v[10:11], v[18:19], v[10:11]
	v_add_f64 v[12:13], v[20:21], v[12:13]
	;; [unrolled: 1-line block ×4, first 2 shown]
	ds_write_b128 v46, v[6:9]
	s_waitcnt lgkmcnt(0)
	s_barrier
	buffer_gl0_inv
	s_and_saveexec_b32 s2, s1
	s_cbranch_execz .LBB18_142
; %bb.141:
	ds_read_b128 v[6:9], v45
	ds_read_b128 v[10:13], v45 offset:16
	s_waitcnt lgkmcnt(1)
	v_add_f64 v[2:3], v[2:3], v[6:7]
	v_add_f64 v[4:5], v[4:5], v[8:9]
	s_waitcnt lgkmcnt(0)
	v_add_f64 v[10:11], v[2:3], v[10:11]
	v_add_f64 v[12:13], v[4:5], v[12:13]
	ds_read_b128 v[2:5], v45 offset:32
	ds_read_b128 v[6:9], v45 offset:48
	s_waitcnt lgkmcnt(1)
	v_add_f64 v[2:3], v[10:11], v[2:3]
	v_add_f64 v[4:5], v[12:13], v[4:5]
	s_waitcnt lgkmcnt(0)
	v_add_f64 v[10:11], v[2:3], v[6:7]
	v_add_f64 v[12:13], v[4:5], v[8:9]
	ds_read_b128 v[2:5], v45 offset:64
	;; [unrolled: 8-line block ×3, first 2 shown]
	ds_read_b128 v[6:9], v45 offset:112
	s_waitcnt lgkmcnt(1)
	v_add_f64 v[2:3], v[10:11], v[2:3]
	v_add_f64 v[4:5], v[12:13], v[4:5]
	s_waitcnt lgkmcnt(0)
	v_add_f64 v[2:3], v[2:3], v[6:7]
	v_add_f64 v[4:5], v[4:5], v[8:9]
.LBB18_142:
	s_or_b32 exec_lo, exec_lo, s2
	s_mul_hi_u32 s1, s9, s7
	s_mul_i32 s27, s27, s7
	s_mul_i32 s2, s9, s7
	s_add_i32 s1, s1, s27
	s_mul_hi_u32 s3, s2, s24
	s_mul_i32 s1, s1, s24
	s_mul_i32 s2, s2, s24
	s_add_i32 s3, s3, s1
	s_mul_hi_i32 s5, s9, s6
	s_lshl_b64 s[2:3], s[2:3], 4
	s_mul_i32 s4, s9, s6
	s_add_u32 s1, s14, s2
	s_addc_u32 s8, s15, s3
	s_lshl_b64 s[2:3], s[4:5], 4
	v_lshlrev_b32_e32 v170, 4, v0
	s_add_u32 s7, s1, s2
	s_addc_u32 s11, s8, s3
	s_add_i32 s2, s6, 1
	s_cmp_ge_u32 s2, s24
	s_barrier
	buffer_gl0_inv
	s_cbranch_scc1 .LBB18_200
; %bb.143:
	v_lshlrev_b32_e32 v171, 2, v1
	v_lshrrev_b32_e32 v8, 4, v44
	s_mul_i32 s4, s26, s22
	v_and_b32_e32 v9, 15, v0
	v_and_b32_e32 v11, 48, v0
	v_mad_u64_u32 v[6:7], null, s12, v171, v[0:1]
	v_lshlrev_b32_e32 v10, 6, v8
	s_ashr_i32 s5, s4, 31
	v_mul_i32_i24_e32 v12, 0xffffffd0, v8
	s_lshl_b64 s[4:5], s[4:5], 4
	s_lshl_b32 s14, s12, 4
	v_mad_u32_u24 v178, 0x430, v9, v10
	v_ashrrev_i32_e32 v7, 31, v6
	v_lshlrev_b32_e32 v10, 4, v11
	v_or_b32_e32 v11, 0xf0, v170
	v_sub_co_u32 v172, vcc_lo, v38, s4
	v_subrev_co_ci_u32_e64 v173, null, s5, v39, vcc_lo
	v_add_co_u32 v8, vcc_lo, s18, v6
	v_mad_u32_u24 v179, 0x430, v9, v10
	v_mad_u32_u24 v180, 0x430, v9, v11
	v_add_co_ci_u32_e64 v9, null, s19, v7, vcc_lo
	v_lshlrev_b64 v[6:7], 4, v[6:7]
	s_mul_i32 s30, s12, 3
	s_ashr_i32 s13, s12, 31
	v_lshlrev_b64 v[8:9], 4, v[8:9]
	s_ashr_i32 s31, s30, 31
	v_sub_co_u32 v195, vcc_lo, 0, v40
	s_lshl_b32 s21, s26, 6
	s_ashr_i32 s15, s14, 31
	v_mad_i64_i32 v[10:11], null, s14, 48, v[8:9]
	s_lshl_b32 s28, s12, 1
	s_mul_i32 s26, s26, s2
	s_lshl_b64 s[2:3], s[12:13], 4
	v_sub_co_ci_u32_e64 v196, null, 0, v41, vcc_lo
	v_add_co_u32 v13, vcc_lo, s16, v6
	s_mul_i32 s5, s12, 0x300
	s_lshl_b64 s[18:19], s[30:31], 4
	s_lshl_b64 s[12:13], s[12:13], 5
	s_add_i32 s20, s24, -2
	s_ashr_i32 s29, s28, 31
	s_lshl_b32 s4, s26, 6
	s_lshl_b64 s[8:9], s[14:15], 6
	v_add_co_ci_u32_e64 v14, null, s17, v7, vcc_lo
	v_add_co_u32 v15, vcc_lo, v10, s18
	s_add_u32 s30, s12, s16
	s_mul_hi_i32 s22, s14, 48
	s_addc_u32 s31, s13, s17
	v_add_co_ci_u32_e64 v16, null, s19, v11, vcc_lo
	v_add_co_u32 v17, vcc_lo, s30, v6
	s_add_u32 s5, s5, s12
	s_addc_u32 s12, s22, s13
	v_add_co_ci_u32_e64 v18, null, s31, v7, vcc_lo
	v_add_co_u32 v8, vcc_lo, s5, v8
	s_add_u32 s5, s2, s16
	v_add_co_ci_u32_e64 v9, null, s12, v9, vcc_lo
	s_addc_u32 s22, s3, s17
	v_add_co_u32 v19, vcc_lo, s5, v6
	s_lshl_b64 s[12:13], s[28:29], 4
	v_add_co_ci_u32_e64 v20, null, s22, v7, vcc_lo
	v_add_co_u32 v21, vcc_lo, v10, s12
	s_add_u32 s26, s16, s12
	v_add_co_ci_u32_e64 v22, null, s13, v11, vcc_lo
	s_addc_u32 s27, s17, s13
	v_add_co_u32 v23, vcc_lo, s26, v6
	v_add_co_ci_u32_e64 v24, null, s27, v7, vcc_lo
	v_add_co_u32 v25, vcc_lo, v10, s2
	s_add_u32 s26, s16, s18
	v_add_co_ci_u32_e64 v26, null, s3, v11, vcc_lo
	s_addc_u32 s27, s17, s19
	v_add_co_u32 v27, vcc_lo, s26, v6
	v_add_co_ci_u32_e64 v28, null, s27, v7, vcc_lo
	s_lshl_b64 s[26:27], s[14:15], 4
	v_add_co_u32 v197, vcc_lo, v42, v10
	s_add_u32 s28, s16, s26
	s_addc_u32 s29, s17, s27
	s_lshl_b64 s[14:15], s[14:15], 5
	v_add_co_ci_u32_e64 v198, null, v43, v11, vcc_lo
	s_add_u32 s16, s14, s16
	s_addc_u32 s17, s15, s17
	v_add_co_u32 v10, vcc_lo, s28, v6
	s_add_u32 s33, s16, s18
	s_addc_u32 s34, s17, s19
	v_add_co_ci_u32_e64 v11, null, s29, v7, vcc_lo
	v_add_co_u32 v29, vcc_lo, s33, v6
	s_add_u32 s5, s5, s26
	s_addc_u32 s22, s22, s27
	v_add_co_ci_u32_e64 v30, null, s34, v7, vcc_lo
	v_add_co_u32 v31, vcc_lo, s5, v6
	s_add_u32 s5, s30, s14
	v_add_co_ci_u32_e64 v32, null, s22, v7, vcc_lo
	s_addc_u32 s14, s31, s15
	v_add_co_u32 v33, vcc_lo, s5, v6
	s_add_u32 s5, s28, s12
	v_add_co_ci_u32_e64 v34, null, s14, v7, vcc_lo
	s_addc_u32 s14, s29, s13
	;; [unrolled: 4-line block ×4, first 2 shown]
	v_add_co_u32 v39, vcc_lo, s5, v6
	s_add_u32 s2, s16, s2
	s_addc_u32 s3, s17, s3
	v_add_co_ci_u32_e64 v40, null, s12, v7, vcc_lo
	v_add_co_u32 v41, vcc_lo, s2, v6
	s_add_u32 s2, s28, s18
	v_cmp_gt_u32_e64 s1, 64, v44
	v_add_co_ci_u32_e64 v44, null, s3, v7, vcc_lo
	s_addc_u32 s3, s29, s19
	v_add_co_u32 v45, vcc_lo, s2, v6
	v_add_co_ci_u32_e64 v46, null, s3, v7, vcc_lo
	v_add_co_u32 v6, vcc_lo, s16, v6
	v_add_co_ci_u32_e64 v7, null, s17, v7, vcc_lo
	;; [unrolled: 2-line block ×31, first 2 shown]
	v_add_co_u32 v236, vcc_lo, v6, 8
	v_add_nc_u32_e32 v174, 0x4300, v170
	v_lshl_add_u32 v175, v1, 6, 0x4300
	v_add_nc_u32_e32 v176, 0x4700, v170
	v_mad_u32_u24 v177, 0x10c0, v1, v170
	v_or_b32_e32 v181, 1, v171
	v_or_b32_e32 v182, 2, v171
	;; [unrolled: 1-line block ×3, first 2 shown]
	v_add_nc_u32_e32 v184, 16, v171
	v_add_nc_u32_e32 v185, 17, v171
	;; [unrolled: 1-line block ×13, first 2 shown]
	v_add_co_ci_u32_e64 v237, null, 0, v7, vcc_lo
	v_add_nc_u32_e32 v238, v178, v12
	v_mov_b32_e32 v6, 0
	s_cmp_eq_u32 s20, s6
	s_cselect_b32 s3, s25, 0
	s_and_saveexec_b32 s2, s0
	s_cbranch_execz .LBB18_148
.LBB18_144:
	v_cmp_le_i32_e32 vcc_lo, s3, v0
	s_cmp_lg_u32 s3, 0
	s_cselect_b32 s5, -1, 0
	s_and_b32 s5, s5, vcc_lo
	s_and_saveexec_b32 s12, s5
	s_xor_b32 s5, exec_lo, s12
	s_cbranch_execz .LBB18_146
; %bb.145:
	v_mov_b32_e32 v7, v6
	v_mov_b32_e32 v8, v6
	;; [unrolled: 1-line block ×3, first 2 shown]
	ds_write_b128 v174, v[6:9]
.LBB18_146:
	s_andn2_saveexec_b32 s5, s5
	s_cbranch_execz .LBB18_148
; %bb.147:
	s_ashr_i32 s5, s4, 31
	s_lshl_b64 s[12:13], s[4:5], 4
	v_add_co_u32 v7, vcc_lo, v172, s12
	v_add_co_ci_u32_e64 v8, null, s13, v173, vcc_lo
	global_load_dwordx4 v[7:10], v[7:8], off
	s_waitcnt vmcnt(0)
	ds_write2_b64 v174, v[7:8], v[9:10] offset1:1
.LBB18_148:                             ; =>This Inner Loop Header: Depth=1
	s_or_b32 exec_lo, exec_lo, s2
	s_cmp_eq_u32 s3, 0
	v_add_co_u32 v19, vcc_lo, v216, v195
	s_cselect_b32 s5, -1, 0
	s_cmp_lg_u32 s3, 0
	v_add_co_ci_u32_e64 v20, null, v217, v196, vcc_lo
	s_cselect_b32 s2, -1, 0
	s_waitcnt lgkmcnt(0)
	s_and_b32 vcc_lo, exec_lo, s2
	s_barrier
	buffer_gl0_inv
	s_cbranch_vccz .LBB18_156
; %bb.149:                              ;   in Loop: Header=BB18_148 Depth=1
	v_mov_b32_e32 v7, 0
	v_mov_b32_e32 v11, 0
	;; [unrolled: 1-line block ×6, first 2 shown]
	s_mov_b32 s12, exec_lo
	v_cmpx_gt_i32_e64 s3, v171
	s_cbranch_execz .LBB18_151
; %bb.150:                              ;   in Loop: Header=BB18_148 Depth=1
	global_load_dwordx4 v[11:14], v[19:20], off offset:-8
.LBB18_151:                             ;   in Loop: Header=BB18_148 Depth=1
	s_or_b32 exec_lo, exec_lo, s12
	v_mov_b32_e32 v9, 0
	v_mov_b32_e32 v10, 0
	s_mov_b32 s12, exec_lo
	v_cmpx_gt_i32_e64 s3, v181
	s_cbranch_execz .LBB18_153
; %bb.152:                              ;   in Loop: Header=BB18_148 Depth=1
	v_add_co_u32 v7, vcc_lo, v220, v195
	v_add_co_ci_u32_e64 v8, null, v221, v196, vcc_lo
	global_load_dwordx4 v[7:10], v[7:8], off offset:-8
.LBB18_153:                             ;   in Loop: Header=BB18_148 Depth=1
	s_or_b32 exec_lo, exec_lo, s12
	v_mov_b32_e32 v15, 0
	v_mov_b32_e32 v17, 0
	;; [unrolled: 1-line block ×4, first 2 shown]
	s_mov_b32 s12, exec_lo
	v_cmpx_gt_i32_e64 s3, v182
	s_cbranch_execz .LBB18_155
; %bb.154:                              ;   in Loop: Header=BB18_148 Depth=1
	v_add_co_u32 v15, vcc_lo, v222, v195
	v_add_co_ci_u32_e64 v16, null, v223, v196, vcc_lo
	global_load_dwordx4 v[15:18], v[15:16], off offset:-8
.LBB18_155:                             ;   in Loop: Header=BB18_148 Depth=1
	s_or_b32 exec_lo, exec_lo, s12
	v_cmp_gt_i32_e64 s12, s3, v183
	s_branch .LBB18_158
.LBB18_156:                             ;   in Loop: Header=BB18_148 Depth=1
	s_mov_b32 s12, 0
                                        ; implicit-def: $vgpr17_vgpr18
                                        ; implicit-def: $vgpr9_vgpr10
                                        ; implicit-def: $vgpr13_vgpr14
	s_cbranch_execz .LBB18_158
; %bb.157:                              ;   in Loop: Header=BB18_148 Depth=1
	s_waitcnt vmcnt(0)
	v_add_co_u32 v7, vcc_lo, v220, v195
	v_add_co_ci_u32_e64 v8, null, v221, v196, vcc_lo
	v_add_co_u32 v15, vcc_lo, v202, v195
	v_add_co_ci_u32_e64 v16, null, v203, v196, vcc_lo
	global_load_dwordx4 v[11:14], v[19:20], off offset:-8
	global_load_dwordx4 v[7:10], v[7:8], off offset:-8
	global_load_dwordx4 v[15:18], v[15:16], off
	s_or_b32 s12, s12, exec_lo
.LBB18_158:                             ;   in Loop: Header=BB18_148 Depth=1
	v_mov_b32_e32 v19, 0
	v_mov_b32_e32 v21, 0
	;; [unrolled: 1-line block ×4, first 2 shown]
	s_and_saveexec_b32 s13, s12
	s_cbranch_execz .LBB18_160
; %bb.159:                              ;   in Loop: Header=BB18_148 Depth=1
	v_add_co_u32 v19, vcc_lo, v224, v195
	v_add_co_ci_u32_e64 v20, null, v225, v196, vcc_lo
	global_load_dwordx4 v[19:22], v[19:20], off offset:-8
.LBB18_160:                             ;   in Loop: Header=BB18_148 Depth=1
	s_or_b32 exec_lo, exec_lo, s13
	ds_read_b128 v[23:26], v176
	v_cndmask_b32_e64 v95, 0, 1, s2
	s_waitcnt vmcnt(0) lgkmcnt(0)
	v_mul_f64 v[27:28], v[13:14], v[25:26]
	v_mul_f64 v[29:30], v[13:14], v[23:24]
	;; [unrolled: 1-line block ×8, first 2 shown]
	v_fma_f64 v[39:40], v[11:12], v[23:24], v[27:28]
	v_fma_f64 v[41:42], v[11:12], v[25:26], -v[29:30]
	v_fma_f64 v[43:44], v[7:8], v[23:24], v[31:32]
	v_fma_f64 v[45:46], v[7:8], v[25:26], -v[33:34]
	v_fma_f64 v[47:48], v[15:16], v[23:24], v[35:36]
	v_fma_f64 v[49:50], v[15:16], v[25:26], -v[37:38]
	v_fma_f64 v[51:52], v[19:20], v[23:24], v[51:52]
	v_fma_f64 v[53:54], v[19:20], v[25:26], -v[53:54]
	ds_read_b128 v[35:38], v175
	ds_read_b128 v[31:34], v175 offset:16
	ds_read_b128 v[27:30], v175 offset:32
	;; [unrolled: 1-line block ×3, first 2 shown]
	ds_write_b128 v177, v[39:42]
	ds_write_b128 v177, v[43:46] offset:1072
	ds_write_b128 v177, v[47:50] offset:2144
	;; [unrolled: 1-line block ×3, first 2 shown]
	s_waitcnt lgkmcnt(0)
	s_barrier
	buffer_gl0_inv
	ds_read_b128 v[131:134], v178
	ds_read_b128 v[127:130], v178 offset:16
	ds_read_b128 v[123:126], v178 offset:32
	;; [unrolled: 1-line block ×3, first 2 shown]
	v_add_co_u32 v51, vcc_lo, v226, v195
	v_add_co_ci_u32_e64 v52, null, v227, v196, vcc_lo
	s_andn2_b32 vcc_lo, exec_lo, s2
	s_waitcnt lgkmcnt(0)
	s_barrier
	buffer_gl0_inv
	s_cbranch_vccnz .LBB18_168
; %bb.161:                              ;   in Loop: Header=BB18_148 Depth=1
	v_mov_b32_e32 v39, 0
	v_mov_b32_e32 v43, 0
	;; [unrolled: 1-line block ×6, first 2 shown]
	s_mov_b32 s2, exec_lo
	v_cmpx_gt_i32_e64 s3, v184
	s_cbranch_execz .LBB18_163
; %bb.162:                              ;   in Loop: Header=BB18_148 Depth=1
	global_load_dwordx4 v[43:46], v[51:52], off offset:-8
.LBB18_163:                             ;   in Loop: Header=BB18_148 Depth=1
	s_or_b32 exec_lo, exec_lo, s2
	v_mov_b32_e32 v41, 0
	v_mov_b32_e32 v42, 0
	s_mov_b32 s2, exec_lo
	v_cmpx_gt_i32_e64 s3, v185
	s_cbranch_execz .LBB18_165
; %bb.164:                              ;   in Loop: Header=BB18_148 Depth=1
	v_add_co_u32 v39, vcc_lo, v228, v195
	v_add_co_ci_u32_e64 v40, null, v229, v196, vcc_lo
	global_load_dwordx4 v[39:42], v[39:40], off offset:-8
.LBB18_165:                             ;   in Loop: Header=BB18_148 Depth=1
	s_or_b32 exec_lo, exec_lo, s2
	v_mov_b32_e32 v47, 0
	v_mov_b32_e32 v49, 0
	;; [unrolled: 1-line block ×4, first 2 shown]
	s_mov_b32 s2, exec_lo
	v_cmpx_gt_i32_e64 s3, v186
	s_cbranch_execz .LBB18_167
; %bb.166:                              ;   in Loop: Header=BB18_148 Depth=1
	v_add_co_u32 v47, vcc_lo, v232, v195
	v_add_co_ci_u32_e64 v48, null, v233, v196, vcc_lo
	global_load_dwordx4 v[47:50], v[47:48], off offset:-8
.LBB18_167:                             ;   in Loop: Header=BB18_148 Depth=1
	s_or_b32 exec_lo, exec_lo, s2
	v_cmp_gt_i32_e64 s2, s3, v187
	s_branch .LBB18_170
.LBB18_168:                             ;   in Loop: Header=BB18_148 Depth=1
	s_mov_b32 s2, 0
                                        ; implicit-def: $vgpr49_vgpr50
                                        ; implicit-def: $vgpr41_vgpr42
                                        ; implicit-def: $vgpr45_vgpr46
	s_cbranch_execz .LBB18_170
; %bb.169:                              ;   in Loop: Header=BB18_148 Depth=1
	s_waitcnt vmcnt(0)
	v_add_co_u32 v39, vcc_lo, v228, v195
	v_add_co_ci_u32_e64 v40, null, v229, v196, vcc_lo
	v_add_co_u32 v47, vcc_lo, v212, v195
	v_add_co_ci_u32_e64 v48, null, v213, v196, vcc_lo
	global_load_dwordx4 v[43:46], v[51:52], off offset:-8
	global_load_dwordx4 v[39:42], v[39:40], off offset:-8
	global_load_dwordx4 v[47:50], v[47:48], off
	s_or_b32 s2, s2, exec_lo
.LBB18_170:                             ;   in Loop: Header=BB18_148 Depth=1
	v_mov_b32_e32 v51, 0
	v_mov_b32_e32 v53, 0
	;; [unrolled: 1-line block ×4, first 2 shown]
	s_and_saveexec_b32 s12, s2
	s_cbranch_execz .LBB18_172
; %bb.171:                              ;   in Loop: Header=BB18_148 Depth=1
	v_add_co_u32 v51, vcc_lo, v234, v195
	v_add_co_ci_u32_e64 v52, null, v235, v196, vcc_lo
	global_load_dwordx4 v[51:54], v[51:52], off offset:-8
.LBB18_172:                             ;   in Loop: Header=BB18_148 Depth=1
	s_or_b32 exec_lo, exec_lo, s12
	ds_read_b128 v[55:58], v176
	v_cmp_ne_u32_e32 vcc_lo, 1, v95
	s_and_b32 vcc_lo, exec_lo, vcc_lo
	s_waitcnt vmcnt(0) lgkmcnt(0)
	v_mul_f64 v[59:60], v[45:46], v[57:58]
	v_mul_f64 v[61:62], v[45:46], v[55:56]
	;; [unrolled: 1-line block ×8, first 2 shown]
	v_fma_f64 v[71:72], v[43:44], v[55:56], v[59:60]
	v_fma_f64 v[73:74], v[43:44], v[57:58], -v[61:62]
	v_fma_f64 v[75:76], v[39:40], v[55:56], v[63:64]
	v_fma_f64 v[77:78], v[39:40], v[57:58], -v[65:66]
	;; [unrolled: 2-line block ×4, first 2 shown]
	ds_read_b128 v[67:70], v175 offset:256
	ds_read_b128 v[63:66], v175 offset:272
	;; [unrolled: 1-line block ×4, first 2 shown]
	ds_write_b128 v177, v[71:74]
	ds_write_b128 v177, v[75:78] offset:1072
	ds_write_b128 v177, v[79:82] offset:2144
	ds_write_b128 v177, v[83:86] offset:3216
	s_waitcnt lgkmcnt(0)
	s_barrier
	buffer_gl0_inv
	ds_read_b128 v[147:150], v178
	ds_read_b128 v[143:146], v178 offset:16
	ds_read_b128 v[139:142], v178 offset:32
	;; [unrolled: 1-line block ×3, first 2 shown]
	v_add_co_u32 v83, s2, v236, v195
	v_add_co_ci_u32_e64 v84, null, v237, v196, s2
	s_waitcnt lgkmcnt(0)
	s_barrier
	buffer_gl0_inv
	s_cbranch_vccnz .LBB18_180
; %bb.173:                              ;   in Loop: Header=BB18_148 Depth=1
	v_mov_b32_e32 v71, 0
	v_mov_b32_e32 v75, 0
	;; [unrolled: 1-line block ×6, first 2 shown]
	s_mov_b32 s2, exec_lo
	v_cmpx_gt_i32_e64 s3, v188
	s_cbranch_execz .LBB18_175
; %bb.174:                              ;   in Loop: Header=BB18_148 Depth=1
	global_load_dwordx4 v[75:78], v[83:84], off offset:-8
.LBB18_175:                             ;   in Loop: Header=BB18_148 Depth=1
	s_or_b32 exec_lo, exec_lo, s2
	v_mov_b32_e32 v73, 0
	v_mov_b32_e32 v74, 0
	s_mov_b32 s2, exec_lo
	v_cmpx_gt_i32_e64 s3, v189
	s_cbranch_execz .LBB18_177
; %bb.176:                              ;   in Loop: Header=BB18_148 Depth=1
	v_add_co_u32 v71, vcc_lo, v214, v195
	v_add_co_ci_u32_e64 v72, null, v215, v196, vcc_lo
	global_load_dwordx4 v[71:74], v[71:72], off
.LBB18_177:                             ;   in Loop: Header=BB18_148 Depth=1
	s_or_b32 exec_lo, exec_lo, s2
	v_mov_b32_e32 v79, 0
	v_mov_b32_e32 v81, 0
	;; [unrolled: 1-line block ×4, first 2 shown]
	s_mov_b32 s2, exec_lo
	v_cmpx_gt_i32_e64 s3, v190
	s_cbranch_execz .LBB18_179
; %bb.178:                              ;   in Loop: Header=BB18_148 Depth=1
	v_add_co_u32 v79, vcc_lo, v210, v195
	v_add_co_ci_u32_e64 v80, null, v211, v196, vcc_lo
	global_load_dwordx4 v[79:82], v[79:80], off
.LBB18_179:                             ;   in Loop: Header=BB18_148 Depth=1
	s_or_b32 exec_lo, exec_lo, s2
	v_cmp_gt_i32_e64 s2, s3, v191
	s_branch .LBB18_182
.LBB18_180:                             ;   in Loop: Header=BB18_148 Depth=1
	s_mov_b32 s2, 0
                                        ; implicit-def: $vgpr81_vgpr82
                                        ; implicit-def: $vgpr73_vgpr74
                                        ; implicit-def: $vgpr77_vgpr78
	s_cbranch_execz .LBB18_182
; %bb.181:                              ;   in Loop: Header=BB18_148 Depth=1
	s_waitcnt vmcnt(0)
	v_add_co_u32 v71, vcc_lo, v214, v195
	v_add_co_ci_u32_e64 v72, null, v215, v196, vcc_lo
	v_add_co_u32 v79, vcc_lo, v230, v195
	v_add_co_ci_u32_e64 v80, null, v231, v196, vcc_lo
	global_load_dwordx4 v[75:78], v[83:84], off offset:-8
	global_load_dwordx4 v[71:74], v[71:72], off
	global_load_dwordx4 v[79:82], v[79:80], off offset:-8
	s_or_b32 s2, s2, exec_lo
.LBB18_182:                             ;   in Loop: Header=BB18_148 Depth=1
	v_mov_b32_e32 v83, 0
	v_mov_b32_e32 v85, 0
	;; [unrolled: 1-line block ×4, first 2 shown]
	s_and_saveexec_b32 s12, s2
	s_cbranch_execz .LBB18_184
; %bb.183:                              ;   in Loop: Header=BB18_148 Depth=1
	v_add_co_u32 v83, vcc_lo, v208, v195
	v_add_co_ci_u32_e64 v84, null, v209, v196, vcc_lo
	global_load_dwordx4 v[83:86], v[83:84], off
.LBB18_184:                             ;   in Loop: Header=BB18_148 Depth=1
	s_or_b32 exec_lo, exec_lo, s12
	ds_read_b128 v[87:90], v176
	v_cmp_ne_u32_e32 vcc_lo, 1, v95
	s_and_b32 vcc_lo, exec_lo, vcc_lo
	s_waitcnt vmcnt(0) lgkmcnt(0)
	v_mul_f64 v[91:92], v[77:78], v[89:90]
	v_mul_f64 v[93:94], v[77:78], v[87:88]
	;; [unrolled: 1-line block ×8, first 2 shown]
	v_fma_f64 v[107:108], v[75:76], v[87:88], v[91:92]
	v_fma_f64 v[109:110], v[75:76], v[89:90], -v[93:94]
	v_fma_f64 v[111:112], v[71:72], v[87:88], v[96:97]
	v_fma_f64 v[113:114], v[71:72], v[89:90], -v[98:99]
	;; [unrolled: 2-line block ×4, first 2 shown]
	ds_read_b128 v[103:106], v175 offset:512
	ds_read_b128 v[99:102], v175 offset:528
	;; [unrolled: 1-line block ×4, first 2 shown]
	ds_write_b128 v177, v[107:110]
	ds_write_b128 v177, v[111:114] offset:1072
	ds_write_b128 v177, v[115:118] offset:2144
	;; [unrolled: 1-line block ×3, first 2 shown]
	s_waitcnt lgkmcnt(0)
	s_barrier
	buffer_gl0_inv
	ds_read_b128 v[163:166], v178
	ds_read_b128 v[159:162], v178 offset:16
	ds_read_b128 v[155:158], v178 offset:32
	;; [unrolled: 1-line block ×3, first 2 shown]
	v_add_co_u32 v115, s2, v197, v195
	v_add_co_ci_u32_e64 v116, null, v198, v196, s2
	s_waitcnt lgkmcnt(0)
	s_barrier
	buffer_gl0_inv
	s_cbranch_vccnz .LBB18_192
; %bb.185:                              ;   in Loop: Header=BB18_148 Depth=1
	v_mov_b32_e32 v95, 0
	v_mov_b32_e32 v107, 0
	;; [unrolled: 1-line block ×6, first 2 shown]
	s_mov_b32 s2, exec_lo
	v_cmpx_gt_i32_e64 s3, v192
	s_cbranch_execz .LBB18_187
; %bb.186:                              ;   in Loop: Header=BB18_148 Depth=1
	global_load_dwordx4 v[107:110], v[115:116], off
.LBB18_187:                             ;   in Loop: Header=BB18_148 Depth=1
	s_or_b32 exec_lo, exec_lo, s2
	v_mov_b32_e32 v97, 0
	v_mov_b32_e32 v98, 0
	s_mov_b32 s2, exec_lo
	v_cmpx_gt_i32_e64 s3, v193
	s_cbranch_execz .LBB18_189
; %bb.188:                              ;   in Loop: Header=BB18_148 Depth=1
	v_add_co_u32 v95, vcc_lo, v206, v195
	v_add_co_ci_u32_e64 v96, null, v207, v196, vcc_lo
	global_load_dwordx4 v[95:98], v[95:96], off
.LBB18_189:                             ;   in Loop: Header=BB18_148 Depth=1
	s_or_b32 exec_lo, exec_lo, s2
	v_mov_b32_e32 v111, 0
	v_mov_b32_e32 v113, 0
	;; [unrolled: 1-line block ×4, first 2 shown]
	s_mov_b32 s2, exec_lo
	v_cmpx_gt_i32_e64 s3, v194
	s_cbranch_execz .LBB18_191
; %bb.190:                              ;   in Loop: Header=BB18_148 Depth=1
	v_add_co_u32 v111, vcc_lo, v204, v195
	v_add_co_ci_u32_e64 v112, null, v205, v196, vcc_lo
	global_load_dwordx4 v[111:114], v[111:112], off
.LBB18_191:                             ;   in Loop: Header=BB18_148 Depth=1
	s_or_b32 exec_lo, exec_lo, s2
	v_cmp_gt_i32_e64 s2, s3, v199
	s_branch .LBB18_194
.LBB18_192:                             ;   in Loop: Header=BB18_148 Depth=1
	s_mov_b32 s2, 0
                                        ; implicit-def: $vgpr113_vgpr114
                                        ; implicit-def: $vgpr97_vgpr98
                                        ; implicit-def: $vgpr109_vgpr110
	s_cbranch_execz .LBB18_194
; %bb.193:                              ;   in Loop: Header=BB18_148 Depth=1
	s_waitcnt vmcnt(0)
	v_add_co_u32 v95, vcc_lo, v206, v195
	v_add_co_ci_u32_e64 v96, null, v207, v196, vcc_lo
	v_add_co_u32 v111, vcc_lo, v218, v195
	v_add_co_ci_u32_e64 v112, null, v219, v196, vcc_lo
	global_load_dwordx4 v[107:110], v[115:116], off
	global_load_dwordx4 v[95:98], v[95:96], off
	global_load_dwordx4 v[111:114], v[111:112], off offset:-8
	s_or_b32 s2, s2, exec_lo
.LBB18_194:                             ;   in Loop: Header=BB18_148 Depth=1
	v_mov_b32_e32 v115, 0
	v_mov_b32_e32 v117, 0
	;; [unrolled: 1-line block ×4, first 2 shown]
	s_and_saveexec_b32 s12, s2
	s_cbranch_execz .LBB18_196
; %bb.195:                              ;   in Loop: Header=BB18_148 Depth=1
	v_add_co_u32 v115, vcc_lo, v200, v195
	v_add_co_ci_u32_e64 v116, null, v201, v196, vcc_lo
	global_load_dwordx4 v[115:118], v[115:116], off
.LBB18_196:                             ;   in Loop: Header=BB18_148 Depth=1
	s_or_b32 exec_lo, exec_lo, s12
	v_add_f64 v[147:148], v[147:148], 0
	v_add_f64 v[149:150], v[149:150], 0
	;; [unrolled: 1-line block ×6, first 2 shown]
	v_cmp_gt_i32_e32 vcc_lo, s3, v0
	s_or_b32 s2, s5, vcc_lo
	s_and_b32 s3, s1, s2
	v_add_f64 v[143:144], v[147:148], v[143:144]
	v_add_f64 v[145:146], v[149:150], v[145:146]
	;; [unrolled: 1-line block ×16, first 2 shown]
	ds_read_b128 v[143:146], v176
	ds_read_b128 v[131:134], v175 offset:768
	ds_read_b128 v[127:130], v175 offset:784
	;; [unrolled: 1-line block ×4, first 2 shown]
	v_add_f64 v[151:152], v[155:156], v[151:152]
	v_add_f64 v[153:154], v[157:158], v[153:154]
	s_waitcnt vmcnt(0) lgkmcnt(4)
	v_mul_f64 v[147:148], v[109:110], v[145:146]
	v_mul_f64 v[149:150], v[109:110], v[143:144]
	v_fma_f64 v[147:148], v[107:108], v[143:144], v[147:148]
	v_fma_f64 v[149:150], v[107:108], v[145:146], -v[149:150]
	ds_write_b128 v177, v[147:150]
	v_mul_f64 v[147:148], v[97:98], v[145:146]
	v_mul_f64 v[149:150], v[97:98], v[143:144]
	v_fma_f64 v[147:148], v[95:96], v[143:144], v[147:148]
	v_fma_f64 v[149:150], v[95:96], v[145:146], -v[149:150]
	ds_write_b128 v177, v[147:150] offset:1072
	v_mul_f64 v[147:148], v[113:114], v[145:146]
	v_mul_f64 v[149:150], v[113:114], v[143:144]
	v_fma_f64 v[147:148], v[111:112], v[143:144], v[147:148]
	v_fma_f64 v[149:150], v[111:112], v[145:146], -v[149:150]
	ds_write_b128 v177, v[147:150] offset:2144
	v_mul_f64 v[147:148], v[117:118], v[145:146]
	v_fma_f64 v[147:148], v[115:116], v[143:144], v[147:148]
	v_mul_f64 v[143:144], v[117:118], v[143:144]
	v_fma_f64 v[149:150], v[115:116], v[145:146], -v[143:144]
	ds_write_b128 v177, v[147:150] offset:3216
	s_waitcnt lgkmcnt(0)
	s_barrier
	buffer_gl0_inv
	ds_read_b128 v[143:146], v178
	ds_read_b128 v[147:150], v178 offset:16
	ds_read_b128 v[155:158], v178 offset:32
	;; [unrolled: 1-line block ×3, first 2 shown]
	s_waitcnt lgkmcnt(0)
	s_barrier
	buffer_gl0_inv
	v_add_f64 v[143:144], v[143:144], 0
	v_add_f64 v[145:146], v[145:146], 0
	;; [unrolled: 1-line block ×8, first 2 shown]
	ds_write_b128 v238, v[139:142]
	ds_write_b128 v238, v[135:138] offset:256
	ds_write_b128 v238, v[151:154] offset:512
	;; [unrolled: 1-line block ×3, first 2 shown]
	s_waitcnt lgkmcnt(0)
	s_barrier
	buffer_gl0_inv
	s_and_saveexec_b32 s2, s3
	s_cbranch_execz .LBB18_198
; %bb.197:                              ;   in Loop: Header=BB18_148 Depth=1
	ds_read_b128 v[135:138], v179
	ds_read_b128 v[139:142], v179 offset:16
	v_ashrrev_i32_e32 v169, 31, v168
	s_waitcnt lgkmcnt(0)
	v_add_f64 v[143:144], v[139:140], v[135:136]
	v_add_f64 v[145:146], v[141:142], v[137:138]
	ds_read_b128 v[135:138], v179 offset:32
	ds_read_b128 v[139:142], v179 offset:48
	s_waitcnt lgkmcnt(1)
	v_add_f64 v[135:136], v[143:144], v[135:136]
	v_add_f64 v[137:138], v[145:146], v[137:138]
	s_waitcnt lgkmcnt(0)
	v_add_f64 v[143:144], v[135:136], v[139:140]
	v_add_f64 v[145:146], v[137:138], v[141:142]
	ds_read_b128 v[135:138], v179 offset:64
	ds_read_b128 v[139:142], v179 offset:80
	s_waitcnt lgkmcnt(1)
	v_add_f64 v[135:136], v[143:144], v[135:136]
	v_add_f64 v[137:138], v[145:146], v[137:138]
	s_waitcnt lgkmcnt(0)
	v_add_f64 v[143:144], v[135:136], v[139:140]
	v_add_f64 v[145:146], v[137:138], v[141:142]
	ds_read_b128 v[135:138], v179 offset:96
	ds_read_b128 v[139:142], v179 offset:112
	s_waitcnt lgkmcnt(1)
	v_add_f64 v[135:136], v[143:144], v[135:136]
	v_add_f64 v[137:138], v[145:146], v[137:138]
	s_waitcnt lgkmcnt(0)
	v_add_f64 v[143:144], v[135:136], v[139:140]
	v_add_f64 v[145:146], v[137:138], v[141:142]
	ds_read_b128 v[135:138], v179 offset:128
	ds_read_b128 v[139:142], v179 offset:144
	s_waitcnt lgkmcnt(1)
	v_add_f64 v[135:136], v[143:144], v[135:136]
	v_add_f64 v[137:138], v[145:146], v[137:138]
	s_waitcnt lgkmcnt(0)
	v_add_f64 v[143:144], v[135:136], v[139:140]
	v_add_f64 v[145:146], v[137:138], v[141:142]
	ds_read_b128 v[135:138], v179 offset:160
	ds_read_b128 v[139:142], v179 offset:176
	s_waitcnt lgkmcnt(1)
	v_add_f64 v[135:136], v[143:144], v[135:136]
	v_add_f64 v[137:138], v[145:146], v[137:138]
	s_waitcnt lgkmcnt(0)
	v_add_f64 v[143:144], v[135:136], v[139:140]
	v_add_f64 v[145:146], v[137:138], v[141:142]
	ds_read_b128 v[135:138], v179 offset:192
	ds_read_b128 v[139:142], v179 offset:208
	s_waitcnt lgkmcnt(1)
	v_add_f64 v[135:136], v[143:144], v[135:136]
	v_add_f64 v[137:138], v[145:146], v[137:138]
	s_waitcnt lgkmcnt(0)
	v_add_f64 v[143:144], v[135:136], v[139:140]
	v_add_f64 v[145:146], v[137:138], v[141:142]
	ds_read_b128 v[135:138], v179 offset:224
	ds_read_b128 v[139:142], v180
	s_waitcnt lgkmcnt(1)
	v_add_f64 v[135:136], v[143:144], v[135:136]
	v_add_f64 v[137:138], v[145:146], v[137:138]
	s_waitcnt lgkmcnt(0)
	v_add_f64 v[135:136], v[135:136], v[139:140]
	v_add_f64 v[137:138], v[137:138], v[141:142]
	v_lshlrev_b64 v[139:140], 4, v[168:169]
	v_add_co_u32 v139, vcc_lo, s7, v139
	v_add_co_ci_u32_e64 v140, null, s11, v140, vcc_lo
	global_store_dwordx4 v[139:140], v[135:138], off
.LBB18_198:                             ;   in Loop: Header=BB18_148 Depth=1
	s_or_b32 exec_lo, exec_lo, s2
	v_mul_f64 v[135:136], v[13:14], v[37:38]
	v_mul_f64 v[37:38], v[11:12], v[37:38]
	;; [unrolled: 1-line block ×4, first 2 shown]
	v_add_co_u32 v216, vcc_lo, v216, s8
	v_add_co_ci_u32_e64 v217, null, s9, v217, vcc_lo
	v_add_co_u32 v200, vcc_lo, v200, s8
	v_add_co_ci_u32_e64 v201, null, s9, v201, vcc_lo
	v_add_co_u32 v202, vcc_lo, v202, s8
	v_add_co_ci_u32_e64 v203, null, s9, v203, vcc_lo
	v_add_co_u32 v218, vcc_lo, v218, s8
	v_add_co_ci_u32_e64 v219, null, s9, v219, vcc_lo
	v_add_co_u32 v220, vcc_lo, v220, s8
	v_fma_f64 v[11:12], v[11:12], v[35:36], -v[135:136]
	v_fma_f64 v[13:14], v[13:14], v[35:36], v[37:38]
	v_mul_f64 v[35:36], v[17:18], v[29:30]
	v_mul_f64 v[29:30], v[15:16], v[29:30]
	v_fma_f64 v[7:8], v[7:8], v[31:32], -v[137:138]
	v_fma_f64 v[9:10], v[9:10], v[31:32], v[33:34]
	v_add_co_ci_u32_e64 v221, null, s9, v221, vcc_lo
	v_add_co_u32 v204, vcc_lo, v204, s8
	v_add_co_ci_u32_e64 v205, null, s9, v205, vcc_lo
	v_add_co_u32 v222, vcc_lo, v222, s8
	;; [unrolled: 2-line block ×4, first 2 shown]
	v_add_f64 v[2:3], v[2:3], v[11:12]
	v_add_f64 v[4:5], v[4:5], v[13:14]
	v_mul_f64 v[11:12], v[21:22], v[25:26]
	v_mul_f64 v[13:14], v[19:20], v[25:26]
	v_fma_f64 v[15:16], v[15:16], v[27:28], -v[35:36]
	v_fma_f64 v[17:18], v[17:18], v[27:28], v[29:30]
	v_add_co_ci_u32_e64 v225, null, s9, v225, vcc_lo
	v_add_co_u32 v197, vcc_lo, v197, s8
	v_add_co_ci_u32_e64 v198, null, s9, v198, vcc_lo
	v_add_co_u32 v226, vcc_lo, v226, s8
	v_add_co_ci_u32_e64 v227, null, s9, v227, vcc_lo
	v_add_co_u32 v208, vcc_lo, v208, s8
	v_add_co_ci_u32_e64 v209, null, s9, v209, vcc_lo
	v_add_co_u32 v228, vcc_lo, v228, s8
	v_add_f64 v[2:3], v[2:3], v[7:8]
	v_add_f64 v[4:5], v[4:5], v[9:10]
	v_mul_f64 v[7:8], v[45:46], v[69:70]
	v_mul_f64 v[9:10], v[43:44], v[69:70]
	v_fma_f64 v[11:12], v[19:20], v[23:24], -v[11:12]
	v_fma_f64 v[13:14], v[21:22], v[23:24], v[13:14]
	v_mul_f64 v[19:20], v[117:118], v[121:122]
	v_mul_f64 v[21:22], v[115:116], v[121:122]
	v_add_co_ci_u32_e64 v229, null, s9, v229, vcc_lo
	v_add_co_u32 v230, vcc_lo, v230, s8
	v_add_co_ci_u32_e64 v231, null, s9, v231, vcc_lo
	v_add_co_u32 v232, vcc_lo, v232, s8
	;; [unrolled: 2-line block ×3, first 2 shown]
	v_add_co_ci_u32_e64 v211, null, s9, v211, vcc_lo
	v_add_f64 v[2:3], v[2:3], v[15:16]
	v_add_f64 v[4:5], v[4:5], v[17:18]
	v_mul_f64 v[15:16], v[41:42], v[65:66]
	v_mul_f64 v[17:18], v[39:40], v[65:66]
	v_fma_f64 v[7:8], v[43:44], v[67:68], -v[7:8]
	v_fma_f64 v[9:10], v[45:46], v[67:68], v[9:10]
	v_add_co_u32 v212, vcc_lo, v212, s8
	v_add_co_ci_u32_e64 v213, null, s9, v213, vcc_lo
	v_add_co_u32 v214, vcc_lo, v214, s8
	v_add_co_ci_u32_e64 v215, null, s9, v215, vcc_lo
	;; [unrolled: 2-line block ×3, first 2 shown]
	v_add_co_u32 v236, vcc_lo, v236, s8
	v_add_nc_u32_e32 v168, 64, v168
	v_add_co_ci_u32_e64 v237, null, s9, v237, vcc_lo
	v_add_f64 v[2:3], v[2:3], v[11:12]
	v_add_f64 v[4:5], v[4:5], v[13:14]
	v_mul_f64 v[11:12], v[49:50], v[61:62]
	v_mul_f64 v[13:14], v[47:48], v[61:62]
	v_fma_f64 v[15:16], v[39:40], v[63:64], -v[15:16]
	v_fma_f64 v[17:18], v[41:42], v[63:64], v[17:18]
	s_add_i32 s3, s6, 2
	s_add_i32 s2, s6, 1
	;; [unrolled: 1-line block ×3, first 2 shown]
	s_cmp_ge_u32 s3, s24
	s_waitcnt_vscnt null, 0x0
	s_barrier
	buffer_gl0_inv
	v_add_f64 v[2:3], v[2:3], v[7:8]
	v_add_f64 v[4:5], v[4:5], v[9:10]
	v_mul_f64 v[7:8], v[53:54], v[57:58]
	v_mul_f64 v[9:10], v[51:52], v[57:58]
	v_fma_f64 v[11:12], v[47:48], v[59:60], -v[11:12]
	v_fma_f64 v[13:14], v[49:50], v[59:60], v[13:14]
	v_add_f64 v[2:3], v[2:3], v[15:16]
	v_add_f64 v[4:5], v[4:5], v[17:18]
	v_mul_f64 v[15:16], v[77:78], v[105:106]
	v_mul_f64 v[17:18], v[75:76], v[105:106]
	v_fma_f64 v[7:8], v[51:52], v[55:56], -v[7:8]
	v_fma_f64 v[9:10], v[53:54], v[55:56], v[9:10]
	;; [unrolled: 6-line block ×8, first 2 shown]
	v_add_f64 v[2:3], v[2:3], v[11:12]
	v_add_f64 v[4:5], v[4:5], v[13:14]
	v_fma_f64 v[11:12], v[111:112], v[123:124], -v[15:16]
	v_fma_f64 v[13:14], v[113:114], v[123:124], v[17:18]
	v_add_f64 v[2:3], v[2:3], v[7:8]
	v_add_f64 v[4:5], v[4:5], v[9:10]
	v_fma_f64 v[7:8], v[115:116], v[119:120], -v[19:20]
	v_fma_f64 v[9:10], v[117:118], v[119:120], v[21:22]
	v_add_f64 v[2:3], v[2:3], v[11:12]
	v_add_f64 v[4:5], v[4:5], v[13:14]
	;; [unrolled: 1-line block ×4, first 2 shown]
	s_cbranch_scc1 .LBB18_200
; %bb.199:                              ;   in Loop: Header=BB18_148 Depth=1
	s_mov_b32 s6, s2
	s_cmp_eq_u32 s20, s6
	s_cselect_b32 s3, s25, 0
	s_and_saveexec_b32 s2, s0
	s_cbranch_execnz .LBB18_144
	s_branch .LBB18_148
.LBB18_200:
	v_cmp_gt_i32_e32 vcc_lo, s10, v0
	v_mad_u32_u24 v1, 0x430, v1, v170
	s_or_b32 s1, s23, vcc_lo
	ds_write_b128 v1, v[2:5]
	s_and_b32 s0, s0, s1
	s_waitcnt lgkmcnt(0)
	s_barrier
	buffer_gl0_inv
	s_and_saveexec_b32 s1, s0
	s_cbranch_execz .LBB18_202
; %bb.201:
	ds_read_b128 v[0:3], v170 offset:1072
	ds_read_b128 v[4:7], v170
	v_ashrrev_i32_e32 v168, 31, v167
	s_waitcnt lgkmcnt(0)
	v_add_f64 v[8:9], v[0:1], v[4:5]
	v_add_f64 v[10:11], v[2:3], v[6:7]
	ds_read_b128 v[0:3], v170 offset:2144
	ds_read_b128 v[4:7], v170 offset:3216
	s_waitcnt lgkmcnt(1)
	v_add_f64 v[0:1], v[8:9], v[0:1]
	v_add_f64 v[2:3], v[10:11], v[2:3]
	s_waitcnt lgkmcnt(0)
	v_add_f64 v[0:1], v[0:1], v[4:5]
	v_add_f64 v[2:3], v[2:3], v[6:7]
	v_lshlrev_b64 v[4:5], 4, v[167:168]
	v_add_co_u32 v4, vcc_lo, s7, v4
	v_add_co_ci_u32_e64 v5, null, s11, v5, vcc_lo
	global_store_dwordx4 v[4:5], v[0:3], off
.LBB18_202:
	s_endpgm
	.section	.rodata,"a",@progbits
	.p2align	6, 0x0
	.amdhsa_kernel _ZL26rocblas_hemvn_kernel_upperILb1ELi64ELi4ELi33ELi32ELi16EiPK19rocblas_complex_numIdES3_PS1_EviT6_lT7_lT5_lS6_lS7_lS5_lT8_i
		.amdhsa_group_segment_fixed_size 19200
		.amdhsa_private_segment_fixed_size 0
		.amdhsa_kernarg_size 376
		.amdhsa_user_sgpr_count 6
		.amdhsa_user_sgpr_private_segment_buffer 1
		.amdhsa_user_sgpr_dispatch_ptr 0
		.amdhsa_user_sgpr_queue_ptr 0
		.amdhsa_user_sgpr_kernarg_segment_ptr 1
		.amdhsa_user_sgpr_dispatch_id 0
		.amdhsa_user_sgpr_flat_scratch_init 0
		.amdhsa_user_sgpr_private_segment_size 0
		.amdhsa_wavefront_size32 1
		.amdhsa_uses_dynamic_stack 0
		.amdhsa_system_sgpr_private_segment_wavefront_offset 0
		.amdhsa_system_sgpr_workgroup_id_x 1
		.amdhsa_system_sgpr_workgroup_id_y 0
		.amdhsa_system_sgpr_workgroup_id_z 1
		.amdhsa_system_sgpr_workgroup_info 0
		.amdhsa_system_vgpr_workitem_id 1
		.amdhsa_next_free_vgpr 239
		.amdhsa_next_free_sgpr 35
		.amdhsa_reserve_vcc 1
		.amdhsa_reserve_flat_scratch 0
		.amdhsa_float_round_mode_32 0
		.amdhsa_float_round_mode_16_64 0
		.amdhsa_float_denorm_mode_32 3
		.amdhsa_float_denorm_mode_16_64 3
		.amdhsa_dx10_clamp 1
		.amdhsa_ieee_mode 1
		.amdhsa_fp16_overflow 0
		.amdhsa_workgroup_processor_mode 1
		.amdhsa_memory_ordered 1
		.amdhsa_forward_progress 1
		.amdhsa_shared_vgpr_count 0
		.amdhsa_exception_fp_ieee_invalid_op 0
		.amdhsa_exception_fp_denorm_src 0
		.amdhsa_exception_fp_ieee_div_zero 0
		.amdhsa_exception_fp_ieee_overflow 0
		.amdhsa_exception_fp_ieee_underflow 0
		.amdhsa_exception_fp_ieee_inexact 0
		.amdhsa_exception_int_div_zero 0
	.end_amdhsa_kernel
	.section	.text._ZL26rocblas_hemvn_kernel_upperILb1ELi64ELi4ELi33ELi32ELi16EiPK19rocblas_complex_numIdES3_PS1_EviT6_lT7_lT5_lS6_lS7_lS5_lT8_i,"axG",@progbits,_ZL26rocblas_hemvn_kernel_upperILb1ELi64ELi4ELi33ELi32ELi16EiPK19rocblas_complex_numIdES3_PS1_EviT6_lT7_lT5_lS6_lS7_lS5_lT8_i,comdat
.Lfunc_end18:
	.size	_ZL26rocblas_hemvn_kernel_upperILb1ELi64ELi4ELi33ELi32ELi16EiPK19rocblas_complex_numIdES3_PS1_EviT6_lT7_lT5_lS6_lS7_lS5_lT8_i, .Lfunc_end18-_ZL26rocblas_hemvn_kernel_upperILb1ELi64ELi4ELi33ELi32ELi16EiPK19rocblas_complex_numIdES3_PS1_EviT6_lT7_lT5_lS6_lS7_lS5_lT8_i
                                        ; -- End function
	.set _ZL26rocblas_hemvn_kernel_upperILb1ELi64ELi4ELi33ELi32ELi16EiPK19rocblas_complex_numIdES3_PS1_EviT6_lT7_lT5_lS6_lS7_lS5_lT8_i.num_vgpr, 239
	.set _ZL26rocblas_hemvn_kernel_upperILb1ELi64ELi4ELi33ELi32ELi16EiPK19rocblas_complex_numIdES3_PS1_EviT6_lT7_lT5_lS6_lS7_lS5_lT8_i.num_agpr, 0
	.set _ZL26rocblas_hemvn_kernel_upperILb1ELi64ELi4ELi33ELi32ELi16EiPK19rocblas_complex_numIdES3_PS1_EviT6_lT7_lT5_lS6_lS7_lS5_lT8_i.numbered_sgpr, 35
	.set _ZL26rocblas_hemvn_kernel_upperILb1ELi64ELi4ELi33ELi32ELi16EiPK19rocblas_complex_numIdES3_PS1_EviT6_lT7_lT5_lS6_lS7_lS5_lT8_i.num_named_barrier, 0
	.set _ZL26rocblas_hemvn_kernel_upperILb1ELi64ELi4ELi33ELi32ELi16EiPK19rocblas_complex_numIdES3_PS1_EviT6_lT7_lT5_lS6_lS7_lS5_lT8_i.private_seg_size, 0
	.set _ZL26rocblas_hemvn_kernel_upperILb1ELi64ELi4ELi33ELi32ELi16EiPK19rocblas_complex_numIdES3_PS1_EviT6_lT7_lT5_lS6_lS7_lS5_lT8_i.uses_vcc, 1
	.set _ZL26rocblas_hemvn_kernel_upperILb1ELi64ELi4ELi33ELi32ELi16EiPK19rocblas_complex_numIdES3_PS1_EviT6_lT7_lT5_lS6_lS7_lS5_lT8_i.uses_flat_scratch, 0
	.set _ZL26rocblas_hemvn_kernel_upperILb1ELi64ELi4ELi33ELi32ELi16EiPK19rocblas_complex_numIdES3_PS1_EviT6_lT7_lT5_lS6_lS7_lS5_lT8_i.has_dyn_sized_stack, 0
	.set _ZL26rocblas_hemvn_kernel_upperILb1ELi64ELi4ELi33ELi32ELi16EiPK19rocblas_complex_numIdES3_PS1_EviT6_lT7_lT5_lS6_lS7_lS5_lT8_i.has_recursion, 0
	.set _ZL26rocblas_hemvn_kernel_upperILb1ELi64ELi4ELi33ELi32ELi16EiPK19rocblas_complex_numIdES3_PS1_EviT6_lT7_lT5_lS6_lS7_lS5_lT8_i.has_indirect_call, 0
	.section	.AMDGPU.csdata,"",@progbits
; Kernel info:
; codeLenInByte = 12708
; TotalNumSgprs: 37
; NumVgprs: 239
; ScratchSize: 0
; MemoryBound: 1
; FloatMode: 240
; IeeeMode: 1
; LDSByteSize: 19200 bytes/workgroup (compile time only)
; SGPRBlocks: 0
; VGPRBlocks: 29
; NumSGPRsForWavesPerEU: 37
; NumVGPRsForWavesPerEU: 239
; Occupancy: 4
; WaveLimiterHint : 1
; COMPUTE_PGM_RSRC2:SCRATCH_EN: 0
; COMPUTE_PGM_RSRC2:USER_SGPR: 6
; COMPUTE_PGM_RSRC2:TRAP_HANDLER: 0
; COMPUTE_PGM_RSRC2:TGID_X_EN: 1
; COMPUTE_PGM_RSRC2:TGID_Y_EN: 0
; COMPUTE_PGM_RSRC2:TGID_Z_EN: 1
; COMPUTE_PGM_RSRC2:TIDIG_COMP_CNT: 1
	.section	.text._ZL36rocblas_hemvn_kernel_upper_block_sumILi64EiPK19rocblas_complex_numIdEPS1_S1_EviT1_lS5_lT2_lT0_lPT3_i,"axG",@progbits,_ZL36rocblas_hemvn_kernel_upper_block_sumILi64EiPK19rocblas_complex_numIdEPS1_S1_EviT1_lS5_lT2_lT0_lPT3_i,comdat
	.globl	_ZL36rocblas_hemvn_kernel_upper_block_sumILi64EiPK19rocblas_complex_numIdEPS1_S1_EviT1_lS5_lT2_lT0_lPT3_i ; -- Begin function _ZL36rocblas_hemvn_kernel_upper_block_sumILi64EiPK19rocblas_complex_numIdEPS1_S1_EviT1_lS5_lT2_lT0_lPT3_i
	.p2align	8
	.type	_ZL36rocblas_hemvn_kernel_upper_block_sumILi64EiPK19rocblas_complex_numIdEPS1_S1_EviT1_lS5_lT2_lT0_lPT3_i,@function
_ZL36rocblas_hemvn_kernel_upper_block_sumILi64EiPK19rocblas_complex_numIdEPS1_S1_EviT1_lS5_lT2_lT0_lPT3_i: ; @_ZL36rocblas_hemvn_kernel_upper_block_sumILi64EiPK19rocblas_complex_numIdEPS1_S1_EviT1_lS5_lT2_lT0_lPT3_i
; %bb.0:
	s_load_dwordx8 s[12:19], s[4:5], 0x8
	s_waitcnt lgkmcnt(0)
	s_mul_i32 s1, s15, s7
	s_mul_hi_u32 s2, s14, s7
	s_mul_i32 s0, s14, s7
	s_add_i32 s1, s2, s1
	s_lshl_b64 s[0:1], s[0:1], 4
	s_add_u32 s0, s12, s0
	s_addc_u32 s1, s13, s1
	s_load_dwordx4 s[12:15], s[0:1], 0x0
	s_mul_i32 s0, s19, s7
	s_mul_hi_u32 s1, s18, s7
	s_add_i32 s1, s1, s0
	s_mul_i32 s0, s18, s7
	s_lshl_b64 s[0:1], s[0:1], 4
	s_add_u32 s0, s16, s0
	s_addc_u32 s1, s17, s1
	s_load_dwordx4 s[8:11], s[0:1], 0x0
	s_mov_b32 s0, -1
	s_waitcnt lgkmcnt(0)
	v_cmp_neq_f64_e64 s2, s[12:13], 0
	v_cmp_neq_f64_e64 s3, s[14:15], 0
	s_or_b32 s17, s2, s3
	s_and_b32 vcc_lo, exec_lo, s17
	s_cbranch_vccnz .LBB19_2
; %bb.1:
	v_cmp_neq_f64_e64 s0, s[8:9], 1.0
	v_cmp_neq_f64_e64 s1, s[10:11], 0
	s_or_b32 s0, s0, s1
.LBB19_2:
	s_andn2_b32 vcc_lo, exec_lo, s0
	s_cbranch_vccnz .LBB19_22
; %bb.3:
	s_clause 0x3
	s_load_dwordx4 s[0:3], s[4:5], 0x40
	s_load_dwordx4 s[24:27], s[4:5], 0x28
	s_load_dword s21, s[4:5], 0x38
	s_load_dword s16, s[4:5], 0x0
	v_lshl_or_b32 v4, s6, 6, v0
	s_xor_b32 s17, s17, -1
	s_waitcnt lgkmcnt(0)
	s_mul_i32 s1, s1, s7
	s_mul_hi_u32 s18, s0, s7
	s_mul_i32 s0, s0, s7
	s_add_i32 s1, s18, s1
	s_lshl_b64 s[0:1], s[0:1], 4
	s_add_u32 s20, s24, s0
	s_addc_u32 s1, s25, s1
	s_lshl_b64 s[18:19], s[26:27], 4
	v_cmp_gt_i32_e64 s0, s16, v4
	s_add_u32 s18, s20, s18
	s_addc_u32 s19, s1, s19
	s_andn2_b32 vcc_lo, exec_lo, s17
	s_mov_b32 s20, 0
	s_cbranch_vccnz .LBB19_8
; %bb.4:
	s_mov_b32 s1, 0
                                        ; implicit-def: $vgpr2_vgpr3
                                        ; implicit-def: $vgpr5_vgpr6
	s_and_saveexec_b32 s17, s0
	s_cbranch_execz .LBB19_9
; %bb.5:
	v_cmp_neq_f64_e64 s0, s[8:9], 0
	v_cmp_neq_f64_e64 s20, s[10:11], 0
	v_mul_lo_u32 v5, s21, v4
	v_mov_b32_e32 v2, 0
	v_mov_b32_e32 v0, 0
	;; [unrolled: 1-line block ×4, first 2 shown]
	v_ashrrev_i32_e32 v6, 31, v5
	s_or_b32 s0, s0, s20
	s_andn2_b32 vcc_lo, exec_lo, s0
	s_cbranch_vccnz .LBB19_7
; %bb.6:
	v_lshlrev_b64 v[0:1], 4, v[5:6]
	v_add_co_u32 v0, vcc_lo, s18, v0
	v_add_co_ci_u32_e64 v1, null, s19, v1, vcc_lo
	global_load_dwordx4 v[7:10], v[0:1], off
	s_waitcnt vmcnt(0)
	v_mul_f64 v[0:1], s[10:11], v[9:10]
	v_mul_f64 v[2:3], s[8:9], v[9:10]
	v_fma_f64 v[0:1], s[8:9], v[7:8], -v[0:1]
	v_fma_f64 v[2:3], s[10:11], v[7:8], v[2:3]
.LBB19_7:
	s_mov_b32 s20, exec_lo
	s_or_b32 exec_lo, exec_lo, s17
	s_and_b32 vcc_lo, exec_lo, s1
	s_cbranch_vccnz .LBB19_10
	s_branch .LBB19_20
.LBB19_8:
                                        ; implicit-def: $vgpr2_vgpr3
                                        ; implicit-def: $vgpr5_vgpr6
	s_cbranch_execnz .LBB19_10
	s_branch .LBB19_20
.LBB19_9:
	s_or_b32 exec_lo, exec_lo, s17
	s_and_b32 vcc_lo, exec_lo, s1
	s_cbranch_vccz .LBB19_20
.LBB19_10:
	s_mov_b32 s22, exec_lo
                                        ; implicit-def: $vgpr2_vgpr3
                                        ; implicit-def: $vgpr5_vgpr6
	v_cmpx_gt_i32_e64 s16, v4
	s_cbranch_execz .LBB19_19
; %bb.11:
	v_mov_b32_e32 v0, 0
	v_mov_b32_e32 v2, 0
	;; [unrolled: 1-line block ×4, first 2 shown]
	s_cmp_lt_i32 s6, 0
	s_cbranch_scc1 .LBB19_14
; %bb.12:
	s_load_dword s0, s[4:5], 0x58
	s_ashr_i32 s17, s16, 31
	s_mul_hi_u32 s1, s16, s7
	s_mul_i32 s5, s17, s7
	v_mov_b32_e32 v5, 0
	s_add_i32 s1, s1, s5
	s_mul_i32 s5, s16, s7
	s_add_i32 s4, s6, 1
	v_mov_b32_e32 v0, 0
	v_lshlrev_b64 v[2:3], 4, v[4:5]
	v_mov_b32_e32 v1, 0
	s_waitcnt lgkmcnt(0)
	s_mul_i32 s1, s1, s0
	s_mul_hi_u32 s6, s5, s0
	s_mul_i32 s0, s5, s0
	s_add_i32 s1, s6, s1
	s_lshl_b64 s[0:1], s[0:1], 4
	s_add_u32 s0, s2, s0
	s_addc_u32 s1, s3, s1
	v_add_co_u32 v5, vcc_lo, s0, v2
	v_add_co_ci_u32_e64 v6, null, s1, v3, vcc_lo
	v_mov_b32_e32 v2, 0
	v_add_co_u32 v5, vcc_lo, v5, 8
	v_mov_b32_e32 v3, 0
	v_add_co_ci_u32_e64 v6, null, 0, v6, vcc_lo
	s_lshl_b64 s[0:1], s[16:17], 4
.LBB19_13:                              ; =>This Inner Loop Header: Depth=1
	global_load_dwordx4 v[7:10], v[5:6], off offset:-8
	v_add_co_u32 v5, vcc_lo, v5, s0
	v_add_co_ci_u32_e64 v6, null, s1, v6, vcc_lo
	s_add_i32 s4, s4, -1
	s_cmp_eq_u32 s4, 0
	s_waitcnt vmcnt(0)
	v_add_f64 v[2:3], v[2:3], v[7:8]
	v_add_f64 v[0:1], v[0:1], v[9:10]
	s_cbranch_scc0 .LBB19_13
.LBB19_14:
	v_mul_f64 v[5:6], s[14:15], v[0:1]
	v_mul_f64 v[7:8], s[12:13], v[0:1]
	v_cmp_neq_f64_e64 s0, s[8:9], 0
	v_cmp_neq_f64_e64 s1, s[10:11], 0
	v_fma_f64 v[0:1], s[12:13], v[2:3], -v[5:6]
	v_fma_f64 v[2:3], s[14:15], v[2:3], v[7:8]
	v_mul_lo_u32 v5, s21, v4
	s_or_b32 s0, s0, s1
	s_andn2_b32 vcc_lo, exec_lo, s0
	v_ashrrev_i32_e32 v6, 31, v5
	s_cbranch_vccz .LBB19_16
; %bb.15:
	s_cbranch_execz .LBB19_17
	s_branch .LBB19_18
.LBB19_16:
.LBB19_17:
	v_lshlrev_b64 v[7:8], 4, v[5:6]
	v_add_co_u32 v7, vcc_lo, s18, v7
	v_add_co_ci_u32_e64 v8, null, s19, v8, vcc_lo
	global_load_dwordx4 v[7:10], v[7:8], off
	s_waitcnt vmcnt(0)
	v_mul_f64 v[11:12], s[10:11], v[9:10]
	v_mul_f64 v[9:10], s[8:9], v[9:10]
	v_fma_f64 v[11:12], s[8:9], v[7:8], -v[11:12]
	v_fma_f64 v[7:8], s[10:11], v[7:8], v[9:10]
	v_add_f64 v[0:1], v[0:1], v[11:12]
	v_add_f64 v[2:3], v[2:3], v[7:8]
.LBB19_18:
	s_or_b32 s20, s20, exec_lo
.LBB19_19:
	s_or_b32 exec_lo, exec_lo, s22
.LBB19_20:
	s_and_saveexec_b32 s0, s20
	s_cbranch_execz .LBB19_22
; %bb.21:
	v_lshlrev_b64 v[4:5], 4, v[5:6]
	v_add_co_u32 v4, vcc_lo, s18, v4
	v_add_co_ci_u32_e64 v5, null, s19, v5, vcc_lo
	global_store_dwordx4 v[4:5], v[0:3], off
.LBB19_22:
	s_endpgm
	.section	.rodata,"a",@progbits
	.p2align	6, 0x0
	.amdhsa_kernel _ZL36rocblas_hemvn_kernel_upper_block_sumILi64EiPK19rocblas_complex_numIdEPS1_S1_EviT1_lS5_lT2_lT0_lPT3_i
		.amdhsa_group_segment_fixed_size 0
		.amdhsa_private_segment_fixed_size 0
		.amdhsa_kernarg_size 344
		.amdhsa_user_sgpr_count 6
		.amdhsa_user_sgpr_private_segment_buffer 1
		.amdhsa_user_sgpr_dispatch_ptr 0
		.amdhsa_user_sgpr_queue_ptr 0
		.amdhsa_user_sgpr_kernarg_segment_ptr 1
		.amdhsa_user_sgpr_dispatch_id 0
		.amdhsa_user_sgpr_flat_scratch_init 0
		.amdhsa_user_sgpr_private_segment_size 0
		.amdhsa_wavefront_size32 1
		.amdhsa_uses_dynamic_stack 0
		.amdhsa_system_sgpr_private_segment_wavefront_offset 0
		.amdhsa_system_sgpr_workgroup_id_x 1
		.amdhsa_system_sgpr_workgroup_id_y 0
		.amdhsa_system_sgpr_workgroup_id_z 1
		.amdhsa_system_sgpr_workgroup_info 0
		.amdhsa_system_vgpr_workitem_id 0
		.amdhsa_next_free_vgpr 13
		.amdhsa_next_free_sgpr 28
		.amdhsa_reserve_vcc 1
		.amdhsa_reserve_flat_scratch 0
		.amdhsa_float_round_mode_32 0
		.amdhsa_float_round_mode_16_64 0
		.amdhsa_float_denorm_mode_32 3
		.amdhsa_float_denorm_mode_16_64 3
		.amdhsa_dx10_clamp 1
		.amdhsa_ieee_mode 1
		.amdhsa_fp16_overflow 0
		.amdhsa_workgroup_processor_mode 1
		.amdhsa_memory_ordered 1
		.amdhsa_forward_progress 1
		.amdhsa_shared_vgpr_count 0
		.amdhsa_exception_fp_ieee_invalid_op 0
		.amdhsa_exception_fp_denorm_src 0
		.amdhsa_exception_fp_ieee_div_zero 0
		.amdhsa_exception_fp_ieee_overflow 0
		.amdhsa_exception_fp_ieee_underflow 0
		.amdhsa_exception_fp_ieee_inexact 0
		.amdhsa_exception_int_div_zero 0
	.end_amdhsa_kernel
	.section	.text._ZL36rocblas_hemvn_kernel_upper_block_sumILi64EiPK19rocblas_complex_numIdEPS1_S1_EviT1_lS5_lT2_lT0_lPT3_i,"axG",@progbits,_ZL36rocblas_hemvn_kernel_upper_block_sumILi64EiPK19rocblas_complex_numIdEPS1_S1_EviT1_lS5_lT2_lT0_lPT3_i,comdat
.Lfunc_end19:
	.size	_ZL36rocblas_hemvn_kernel_upper_block_sumILi64EiPK19rocblas_complex_numIdEPS1_S1_EviT1_lS5_lT2_lT0_lPT3_i, .Lfunc_end19-_ZL36rocblas_hemvn_kernel_upper_block_sumILi64EiPK19rocblas_complex_numIdEPS1_S1_EviT1_lS5_lT2_lT0_lPT3_i
                                        ; -- End function
	.set _ZL36rocblas_hemvn_kernel_upper_block_sumILi64EiPK19rocblas_complex_numIdEPS1_S1_EviT1_lS5_lT2_lT0_lPT3_i.num_vgpr, 13
	.set _ZL36rocblas_hemvn_kernel_upper_block_sumILi64EiPK19rocblas_complex_numIdEPS1_S1_EviT1_lS5_lT2_lT0_lPT3_i.num_agpr, 0
	.set _ZL36rocblas_hemvn_kernel_upper_block_sumILi64EiPK19rocblas_complex_numIdEPS1_S1_EviT1_lS5_lT2_lT0_lPT3_i.numbered_sgpr, 28
	.set _ZL36rocblas_hemvn_kernel_upper_block_sumILi64EiPK19rocblas_complex_numIdEPS1_S1_EviT1_lS5_lT2_lT0_lPT3_i.num_named_barrier, 0
	.set _ZL36rocblas_hemvn_kernel_upper_block_sumILi64EiPK19rocblas_complex_numIdEPS1_S1_EviT1_lS5_lT2_lT0_lPT3_i.private_seg_size, 0
	.set _ZL36rocblas_hemvn_kernel_upper_block_sumILi64EiPK19rocblas_complex_numIdEPS1_S1_EviT1_lS5_lT2_lT0_lPT3_i.uses_vcc, 1
	.set _ZL36rocblas_hemvn_kernel_upper_block_sumILi64EiPK19rocblas_complex_numIdEPS1_S1_EviT1_lS5_lT2_lT0_lPT3_i.uses_flat_scratch, 0
	.set _ZL36rocblas_hemvn_kernel_upper_block_sumILi64EiPK19rocblas_complex_numIdEPS1_S1_EviT1_lS5_lT2_lT0_lPT3_i.has_dyn_sized_stack, 0
	.set _ZL36rocblas_hemvn_kernel_upper_block_sumILi64EiPK19rocblas_complex_numIdEPS1_S1_EviT1_lS5_lT2_lT0_lPT3_i.has_recursion, 0
	.set _ZL36rocblas_hemvn_kernel_upper_block_sumILi64EiPK19rocblas_complex_numIdEPS1_S1_EviT1_lS5_lT2_lT0_lPT3_i.has_indirect_call, 0
	.section	.AMDGPU.csdata,"",@progbits
; Kernel info:
; codeLenInByte = 876
; TotalNumSgprs: 30
; NumVgprs: 13
; ScratchSize: 0
; MemoryBound: 0
; FloatMode: 240
; IeeeMode: 1
; LDSByteSize: 0 bytes/workgroup (compile time only)
; SGPRBlocks: 0
; VGPRBlocks: 1
; NumSGPRsForWavesPerEU: 30
; NumVGPRsForWavesPerEU: 13
; Occupancy: 16
; WaveLimiterHint : 0
; COMPUTE_PGM_RSRC2:SCRATCH_EN: 0
; COMPUTE_PGM_RSRC2:USER_SGPR: 6
; COMPUTE_PGM_RSRC2:TRAP_HANDLER: 0
; COMPUTE_PGM_RSRC2:TGID_X_EN: 1
; COMPUTE_PGM_RSRC2:TGID_Y_EN: 0
; COMPUTE_PGM_RSRC2:TGID_Z_EN: 1
; COMPUTE_PGM_RSRC2:TIDIG_COMP_CNT: 0
	.section	.text._ZL26rocblas_hemvn_kernel_upperILb1ELi64ELi4ELi33ELi32ELi16El19rocblas_complex_numIdEPKS1_PS1_EviT6_lT7_lT5_lS6_lS7_lS5_lT8_i,"axG",@progbits,_ZL26rocblas_hemvn_kernel_upperILb1ELi64ELi4ELi33ELi32ELi16El19rocblas_complex_numIdEPKS1_PS1_EviT6_lT7_lT5_lS6_lS7_lS5_lT8_i,comdat
	.globl	_ZL26rocblas_hemvn_kernel_upperILb1ELi64ELi4ELi33ELi32ELi16El19rocblas_complex_numIdEPKS1_PS1_EviT6_lT7_lT5_lS6_lS7_lS5_lT8_i ; -- Begin function _ZL26rocblas_hemvn_kernel_upperILb1ELi64ELi4ELi33ELi32ELi16El19rocblas_complex_numIdEPKS1_PS1_EviT6_lT7_lT5_lS6_lS7_lS5_lT8_i
	.p2align	8
	.type	_ZL26rocblas_hemvn_kernel_upperILb1ELi64ELi4ELi33ELi32ELi16El19rocblas_complex_numIdEPKS1_PS1_EviT6_lT7_lT5_lS6_lS7_lS5_lT8_i,@function
_ZL26rocblas_hemvn_kernel_upperILb1ELi64ELi4ELi33ELi32ELi16El19rocblas_complex_numIdEPKS1_PS1_EviT6_lT7_lT5_lS6_lS7_lS5_lT8_i: ; @_ZL26rocblas_hemvn_kernel_upperILb1ELi64ELi4ELi33ELi32ELi16El19rocblas_complex_numIdEPKS1_PS1_EviT6_lT7_lT5_lS6_lS7_lS5_lT8_i
; %bb.0:
	s_load_dwordx2 s[2:3], s[4:5], 0x94
	s_add_u32 s0, s4, 0x88
	s_addc_u32 s1, s5, 0
	s_waitcnt lgkmcnt(0)
	s_lshr_b32 s8, s2, 16
	s_and_b32 s2, s2, 0xffff
	s_and_b32 s3, s3, 0xffff
	s_mul_i32 s2, s8, s2
	s_mul_i32 s2, s2, s3
	s_cmpk_lg_i32 s2, 0x100
	s_cbranch_scc1 .LBB20_202
; %bb.1:
	s_load_dwordx4 s[8:11], s[4:5], 0x8
	s_waitcnt lgkmcnt(0)
	v_cmp_neq_f64_e64 s2, s[8:9], 0
	v_cmp_neq_f64_e64 s3, s[10:11], 0
	s_or_b32 s2, s2, s3
	s_mov_b32 s3, -1
	s_and_b32 vcc_lo, exec_lo, s2
	s_cbranch_vccnz .LBB20_3
; %bb.2:
	s_load_dwordx4 s[8:11], s[4:5], 0x60
	s_waitcnt lgkmcnt(0)
	v_cmp_neq_f64_e64 s3, s[8:9], 1.0
	v_cmp_neq_f64_e64 s8, s[10:11], 0
	s_or_b32 s3, s3, s8
.LBB20_3:
	s_andn2_b32 vcc_lo, exec_lo, s3
	s_cbranch_vccnz .LBB20_202
; %bb.4:
	s_andn2_b32 vcc_lo, exec_lo, s2
	s_cbranch_vccnz .LBB20_202
; %bb.5:
	s_clause 0x1
	s_load_dwordx16 s[8:23], s[4:5], 0x20
	s_load_dword s24, s[4:5], 0x0
	s_waitcnt lgkmcnt(0)
	s_mul_i32 s3, s23, s7
	s_mul_hi_u32 s23, s22, s7
	s_mul_i32 s2, s22, s7
	s_add_i32 s3, s23, s3
	s_load_dword s22, s[0:1], 0x0
	s_lshl_b64 s[2:3], s[2:3], 4
	s_add_u32 s16, s16, s2
	s_addc_u32 s17, s17, s3
	s_lshl_b64 s[2:3], s[18:19], 4
	s_add_u32 s2, s16, s2
	s_addc_u32 s3, s17, s3
	s_lshl_b32 s18, s6, 6
	s_ashr_i32 s25, s24, 31
	v_add_nc_u32_e32 v167, s18, v0
	s_lshr_b32 s0, s25, 26
	s_add_i32 s0, s24, s0
	v_ashrrev_i32_e32 v168, 31, v167
	v_mul_lo_u32 v4, s21, v167
	v_mad_u64_u32 v[2:3], null, s20, v167, 0
	s_andn2_b32 s0, s0, 63
	v_mul_lo_u32 v5, s20, v168
	s_waitcnt lgkmcnt(0)
	s_add_i32 s1, s22, -1
	s_sub_i32 s23, s24, s0
	v_cmp_eq_u32_e64 s0, 0, v1
	s_cmp_eq_u32 s6, s1
	s_cselect_b32 s16, s23, 0
	v_add3_u32 v3, v3, v5, v4
	v_lshlrev_b64 v[2:3], 4, v[2:3]
	v_add_co_u32 v40, vcc_lo, s2, v2
	v_add_co_ci_u32_e64 v41, null, s3, v3, vcc_lo
	s_mov_b32 s3, -1
	s_and_saveexec_b32 s1, s0
	s_cbranch_execz .LBB20_10
; %bb.6:
	v_cmp_le_i32_e32 vcc_lo, s16, v0
	s_cmp_lg_u32 s16, 0
	v_lshl_add_u32 v2, v0, 4, 0x4700
	s_cselect_b32 s2, -1, 0
	s_and_b32 s2, s2, vcc_lo
	s_and_saveexec_b32 s17, s2
	s_xor_b32 s2, exec_lo, s17
	s_cbranch_execz .LBB20_8
; %bb.7:
	v_mov_b32_e32 v3, 0
	v_mov_b32_e32 v4, v3
	;; [unrolled: 1-line block ×4, first 2 shown]
	ds_write_b128 v2, v[3:6]
                                        ; implicit-def: $vgpr2
.LBB20_8:
	s_andn2_saveexec_b32 s2, s2
	s_cbranch_execz .LBB20_10
; %bb.9:
	global_load_dwordx4 v[3:6], v[40:41], off
	s_waitcnt vmcnt(0)
	ds_write2_b64 v2, v[3:4], v[5:6] offset1:1
.LBB20_10:
	s_or_b32 exec_lo, exec_lo, s1
	v_lshl_add_u32 v44, v1, 6, v0
	v_and_b32_e32 v10, 31, v0
	v_mov_b32_e32 v11, 0
	s_mul_i32 s1, s15, s7
	s_mul_hi_u32 s2, s14, s7
	v_lshrrev_b32_e32 v13, 5, v44
	s_mul_i32 s14, s14, s7
	s_add_i32 s15, s2, s1
	s_mul_hi_u32 s1, s12, s18
	s_lshl_b64 s[14:15], s[14:15], 4
	v_mad_u64_u32 v[2:3], null, s12, v13, v[10:11]
	s_add_u32 s2, s8, s14
	s_addc_u32 s14, s9, s15
	s_lshl_b64 s[8:9], s[10:11], 4
	s_mul_i32 s15, s13, s18
	s_add_u32 s2, s2, s8
	s_addc_u32 s9, s14, s9
	v_mad_u64_u32 v[3:4], null, s13, v13, v[3:4]
	s_ashr_i32 s19, s18, 31
	s_mul_i32 s8, s12, s18
	s_lshl_b64 s[10:11], s[18:19], 4
	s_mul_i32 s14, s12, s19
	s_add_u32 s2, s2, s10
	s_addc_u32 s10, s9, s11
	v_lshlrev_b64 v[38:39], 4, v[2:3]
	s_add_i32 s1, s1, s14
	v_lshlrev_b32_e32 v15, 4, v10
	s_add_i32 s9, s1, s15
	v_cmp_gt_i32_e64 s1, s16, v10
	s_lshl_b64 s[8:9], s[8:9], 4
	v_add_co_u32 v2, vcc_lo, s2, v38
	v_add_co_ci_u32_e64 v3, null, s10, v39, vcc_lo
	s_cmp_eq_u32 s16, 0
	v_add_co_u32 v2, s2, v2, s8
	s_cselect_b32 s11, -1, 0
	s_cmp_lg_u32 s16, 0
	v_add_co_ci_u32_e64 v3, null, s9, v3, s2
	v_lshlrev_b32_e32 v14, 4, v10
	s_cselect_b32 s26, -1, 0
                                        ; implicit-def: $vgpr6_vgpr7
	s_and_b32 vcc_lo, exec_lo, s26
	s_cbranch_vccz .LBB20_28
; %bb.11:
	v_sub_co_u32 v4, vcc_lo, v2, v15
	s_ashr_i32 s17, s16, 31
	v_subrev_co_ci_u32_e64 v5, null, 0, v3, vcc_lo
	s_lshl_b64 s[2:3], s[16:17], 4
	v_mad_u32_u24 v7, 0x210, v13, v14
	v_add_co_u32 v4, vcc_lo, v4, s2
	v_add_co_ci_u32_e64 v5, null, s3, v5, vcc_lo
	s_mov_b32 s8, exec_lo
	v_add_co_u32 v4, vcc_lo, v4, -16
	v_add_co_ci_u32_e64 v5, null, -1, v5, vcc_lo
	v_cndmask_b32_e64 v4, v4, v2, s1
	v_cndmask_b32_e64 v5, v5, v3, s1
	v_cmpx_le_i32_e64 s16, v13
	s_xor_b32 s8, exec_lo, s8
	s_cbranch_execz .LBB20_13
; %bb.12:
	v_mov_b32_e32 v16, 0
	v_mov_b32_e32 v17, v16
	;; [unrolled: 1-line block ×4, first 2 shown]
	ds_write_b128 v7, v[16:19]
                                        ; implicit-def: $vgpr7
.LBB20_13:
	s_or_saveexec_b32 s8, s8
	v_mul_u32_u24_e32 v6, 0x210, v13
	s_xor_b32 exec_lo, exec_lo, s8
	s_cbranch_execz .LBB20_15
; %bb.14:
	global_load_dwordx4 v[16:19], v[4:5], off
	s_waitcnt vmcnt(0)
	ds_write2_b64 v7, v[16:17], v[18:19] offset1:1
.LBB20_15:
	s_or_b32 exec_lo, exec_lo, s8
	v_add_nc_u32_e32 v7, 8, v13
	v_cmp_le_i32_e32 vcc_lo, s16, v7
	v_add_nc_u32_e32 v7, v6, v14
	s_and_saveexec_b32 s8, vcc_lo
	s_xor_b32 s8, exec_lo, s8
	s_cbranch_execz .LBB20_17
; %bb.16:
	v_mov_b32_e32 v16, 0
	v_mov_b32_e32 v17, v16
	;; [unrolled: 1-line block ×4, first 2 shown]
	ds_write_b128 v7, v[16:19] offset:4224
.LBB20_17:
	s_andn2_saveexec_b32 s8, s8
	s_cbranch_execz .LBB20_19
; %bb.18:
	s_lshl_b64 s[14:15], s[12:13], 7
	v_add_co_u32 v8, vcc_lo, v4, s14
	v_add_co_ci_u32_e64 v9, null, s15, v5, vcc_lo
	global_load_dwordx4 v[16:19], v[8:9], off
	v_add3_u32 v8, v6, v14, 0x1080
	s_waitcnt vmcnt(0)
	ds_write2_b64 v8, v[16:17], v[18:19] offset1:1
.LBB20_19:
	s_or_b32 exec_lo, exec_lo, s8
	v_add_nc_u32_e32 v8, 16, v13
	s_mov_b32 s8, exec_lo
	v_cmpx_le_i32_e64 s16, v8
	s_xor_b32 s8, exec_lo, s8
	s_cbranch_execz .LBB20_21
; %bb.20:
	v_mov_b32_e32 v16, 0
	v_mov_b32_e32 v17, v16
	;; [unrolled: 1-line block ×4, first 2 shown]
	ds_write_b128 v7, v[16:19] offset:8448
.LBB20_21:
	s_andn2_saveexec_b32 s8, s8
	s_cbranch_execz .LBB20_23
; %bb.22:
	s_lshl_b64 s[14:15], s[12:13], 8
	v_add_co_u32 v8, vcc_lo, v4, s14
	v_add_co_ci_u32_e64 v9, null, s15, v5, vcc_lo
	global_load_dwordx4 v[16:19], v[8:9], off
	v_add3_u32 v8, v6, v14, 0x2100
	s_waitcnt vmcnt(0)
	ds_write2_b64 v8, v[16:17], v[18:19] offset1:1
.LBB20_23:
	s_or_b32 exec_lo, exec_lo, s8
	v_add_nc_u32_e32 v8, 24, v13
	s_mov_b32 s8, exec_lo
	v_cmpx_le_i32_e64 s16, v8
	s_xor_b32 s8, exec_lo, s8
	s_cbranch_execz .LBB20_25
; %bb.24:
	v_mov_b32_e32 v16, 0
                                        ; implicit-def: $vgpr6
	v_mov_b32_e32 v17, v16
	v_mov_b32_e32 v18, v16
	;; [unrolled: 1-line block ×3, first 2 shown]
	ds_write_b128 v7, v[16:19] offset:12672
.LBB20_25:
	s_andn2_saveexec_b32 s8, s8
	s_cbranch_execz .LBB20_27
; %bb.26:
	v_mad_u64_u32 v[7:8], null, 0x180, s12, v[4:5]
	v_add3_u32 v6, v6, v14, 0x3180
	v_mad_u64_u32 v[8:9], null, 0x180, s13, v[8:9]
	global_load_dwordx4 v[16:19], v[7:8], off
	s_waitcnt vmcnt(0)
	ds_write2_b64 v6, v[16:17], v[18:19] offset1:1
.LBB20_27:
	s_or_b32 exec_lo, exec_lo, s8
	v_add_co_u32 v4, vcc_lo, v4, v15
	v_add_co_ci_u32_e64 v5, null, 0, v5, vcc_lo
	v_sub_co_u32 v4, vcc_lo, v4, s2
	v_subrev_co_ci_u32_e64 v5, null, s3, v5, vcc_lo
	s_mov_b32 s3, 0
	v_add_co_u32 v4, vcc_lo, v4, 16
	v_add_co_ci_u32_e64 v5, null, 0, v5, vcc_lo
	v_cndmask_b32_e64 v6, v4, v2, s1
	v_cndmask_b32_e64 v7, v5, v3, s1
.LBB20_28:
	s_and_b32 vcc_lo, exec_lo, s3
	s_cbranch_vccz .LBB20_30
; %bb.29:
	s_lshl_b64 s[2:3], s[12:13], 7
	v_add_co_u32 v4, vcc_lo, v2, s2
	v_add_co_ci_u32_e64 v5, null, s3, v3, vcc_lo
	v_add_co_u32 v6, vcc_lo, v4, s2
	v_add_co_ci_u32_e64 v7, null, s3, v5, vcc_lo
	;; [unrolled: 2-line block ×3, first 2 shown]
	s_clause 0x3
	global_load_dwordx4 v[16:19], v[2:3], off
	global_load_dwordx4 v[20:23], v[4:5], off
	;; [unrolled: 1-line block ×4, first 2 shown]
	v_mul_u32_u24_e32 v4, 0x210, v13
	v_mov_b32_e32 v7, v3
	v_mov_b32_e32 v6, v2
	v_lshl_add_u32 v4, v10, 4, v4
	v_add_nc_u32_e32 v5, 0x1080, v4
	v_add_nc_u32_e32 v8, 0x2100, v4
	;; [unrolled: 1-line block ×3, first 2 shown]
	s_waitcnt vmcnt(3)
	ds_write2_b64 v4, v[16:17], v[18:19] offset1:1
	s_waitcnt vmcnt(2)
	ds_write2_b64 v5, v[20:21], v[22:23] offset1:1
	;; [unrolled: 2-line block ×4, first 2 shown]
.LBB20_30:
	v_lshlrev_b32_e32 v18, 2, v13
	v_mul_u32_u24_e32 v16, 0x210, v10
	s_mov_b32 s1, 0
	s_waitcnt lgkmcnt(0)
	s_barrier
	v_cmp_le_u32_e64 s2, v18, v10
	buffer_gl0_inv
                                        ; implicit-def: $vgpr8
	s_and_saveexec_b32 s3, s2
	s_xor_b32 s3, exec_lo, s3
	s_cbranch_execz .LBB20_34
; %bb.31:
	s_mov_b32 s8, exec_lo
                                        ; implicit-def: $vgpr8
	v_cmpx_eq_u32_e64 v18, v10
	s_xor_b32 s8, exec_lo, s8
; %bb.32:
	s_mov_b32 s1, exec_lo
	v_add_nc_u32_e32 v8, v14, v16
; %bb.33:
	s_or_b32 exec_lo, exec_lo, s8
	s_and_b32 s1, s1, exec_lo
.LBB20_34:
	s_or_saveexec_b32 s3, s3
	v_lshl_or_b32 v2, v10, 9, v14
	v_mov_b32_e32 v4, 0
	v_mov_b32_e32 v5, 0
	v_mad_u32_u24 v9, 0x840, v13, v14
	v_lshl_add_u32 v11, v18, 4, v2
	s_xor_b32 exec_lo, exec_lo, s3
	s_cbranch_execz .LBB20_36
; %bb.35:
	ds_read_b128 v[2:5], v9
	v_mov_b32_e32 v8, v11
	s_or_b32 s1, s1, exec_lo
	s_waitcnt lgkmcnt(0)
	v_xor_b32_e32 v5, 0x80000000, v5
	ds_write_b64 v11, v[2:3]
.LBB20_36:
	s_or_b32 exec_lo, exec_lo, s3
	s_and_saveexec_b32 s3, s1
; %bb.37:
	ds_write_b64 v8, v[4:5] offset:8
; %bb.38:
	s_or_b32 exec_lo, exec_lo, s3
	v_or_b32_e32 v19, 1, v18
	v_cmp_ge_u32_e64 s3, v18, v10
	s_mov_b32 s1, 0
                                        ; implicit-def: $vgpr4_vgpr5
                                        ; implicit-def: $vgpr12
	v_mad_u32_u24 v8, 0x210, v19, v14
	s_and_saveexec_b32 s8, s3
	s_xor_b32 s8, exec_lo, s8
	s_cbranch_execnz .LBB20_78
; %bb.39:
	s_andn2_saveexec_b32 s8, s8
	s_cbranch_execnz .LBB20_79
.LBB20_40:
	s_or_b32 exec_lo, exec_lo, s8
	s_and_saveexec_b32 s8, s1
.LBB20_41:
	ds_write_b64 v12, v[4:5] offset:8
.LBB20_42:
	s_or_b32 exec_lo, exec_lo, s8
	v_or_b32_e32 v20, 2, v18
	s_mov_b32 s1, 0
                                        ; implicit-def: $vgpr12
	v_cmp_le_u32_e64 s8, v20, v10
	s_and_saveexec_b32 s9, s8
	s_xor_b32 s9, exec_lo, s9
	s_cbranch_execz .LBB20_46
; %bb.43:
	s_mov_b32 s10, exec_lo
                                        ; implicit-def: $vgpr12
	v_cmpx_eq_u32_e64 v20, v10
; %bb.44:
	v_add_nc_u32_e32 v12, v14, v16
	s_mov_b32 s1, exec_lo
; %bb.45:
	s_or_b32 exec_lo, exec_lo, s10
	s_and_b32 s1, s1, exec_lo
.LBB20_46:
	s_or_saveexec_b32 s9, s9
	v_mov_b32_e32 v4, 0
	v_mov_b32_e32 v5, 0
	s_xor_b32 exec_lo, exec_lo, s9
	s_cbranch_execz .LBB20_48
; %bb.47:
	v_mad_u32_u24 v2, 0x210, v20, v14
	v_add_nc_u32_e32 v12, 32, v11
	s_or_b32 s1, s1, exec_lo
	ds_read_b128 v[2:5], v2
	s_waitcnt lgkmcnt(0)
	v_xor_b32_e32 v5, 0x80000000, v5
	ds_write_b64 v11, v[2:3] offset:32
.LBB20_48:
	s_or_b32 exec_lo, exec_lo, s9
	s_and_saveexec_b32 s9, s1
; %bb.49:
	ds_write_b64 v12, v[4:5] offset:8
; %bb.50:
	s_or_b32 exec_lo, exec_lo, s9
	v_or_b32_e32 v21, 3, v18
	s_mov_b32 s1, 0
                                        ; implicit-def: $vgpr12
	v_cmp_le_u32_e64 s9, v21, v10
	s_and_saveexec_b32 s10, s9
	s_xor_b32 s10, exec_lo, s10
	s_cbranch_execz .LBB20_54
; %bb.51:
	s_mov_b32 s14, exec_lo
                                        ; implicit-def: $vgpr12
	v_cmpx_eq_u32_e64 v21, v10
; %bb.52:
	v_add_nc_u32_e32 v12, v14, v16
	s_mov_b32 s1, exec_lo
; %bb.53:
	s_or_b32 exec_lo, exec_lo, s14
	s_and_b32 s1, s1, exec_lo
                                        ; implicit-def: $vgpr11
.LBB20_54:
	s_or_saveexec_b32 s10, s10
	v_mov_b32_e32 v4, 0
	v_mov_b32_e32 v5, 0
	s_xor_b32 exec_lo, exec_lo, s10
	s_cbranch_execz .LBB20_56
; %bb.55:
	v_mad_u32_u24 v2, 0x210, v21, v14
	v_add_nc_u32_e32 v12, 48, v11
	s_or_b32 s1, s1, exec_lo
	ds_read_b128 v[2:5], v2
	s_waitcnt lgkmcnt(0)
	v_xor_b32_e32 v5, 0x80000000, v5
	ds_write_b64 v11, v[2:3] offset:48
.LBB20_56:
	s_or_b32 exec_lo, exec_lo, s10
	s_and_saveexec_b32 s10, s1
; %bb.57:
	ds_write_b64 v12, v[4:5] offset:8
; %bb.58:
	s_or_b32 exec_lo, exec_lo, s10
	v_lshlrev_b32_e32 v22, 4, v18
	s_waitcnt lgkmcnt(0)
	s_barrier
	buffer_gl0_inv
	ds_read_b128 v[2:5], v9
	ds_read_b128 v[23:26], v22 offset:18176
	ds_read_b128 v[27:30], v8
	ds_read_b128 v[31:34], v8 offset:1056
	ds_read_b128 v[45:48], v22 offset:18192
	;; [unrolled: 1-line block ×4, first 2 shown]
	v_cmp_gt_u32_e64 s1, 32, v44
	s_waitcnt lgkmcnt(5)
	v_mul_f64 v[11:12], v[25:26], v[4:5]
	v_mul_f64 v[4:5], v[23:24], v[4:5]
	s_waitcnt lgkmcnt(2)
	v_mul_f64 v[8:9], v[47:48], v[29:30]
	v_mul_f64 v[29:30], v[45:46], v[29:30]
	s_waitcnt lgkmcnt(0)
	v_mul_f64 v[35:36], v[53:54], v[51:52]
	v_fma_f64 v[11:12], v[23:24], v[2:3], -v[11:12]
	v_fma_f64 v[23:24], v[25:26], v[2:3], v[4:5]
	v_mul_f64 v[25:26], v[55:56], v[51:52]
	v_fma_f64 v[8:9], v[45:46], v[27:28], -v[8:9]
	v_fma_f64 v[27:28], v[47:48], v[27:28], v[29:30]
	ds_read_b128 v[2:5], v22 offset:18224
	v_fma_f64 v[35:36], v[55:56], v[49:50], v[35:36]
	s_waitcnt lgkmcnt(0)
	s_barrier
	buffer_gl0_inv
	v_add_f64 v[11:12], v[11:12], 0
	v_add_f64 v[23:24], v[23:24], 0
	v_fma_f64 v[25:26], v[53:54], v[49:50], -v[25:26]
	v_mul_f64 v[29:30], v[4:5], v[33:34]
	v_mul_f64 v[33:34], v[2:3], v[33:34]
	v_add_f64 v[8:9], v[11:12], v[8:9]
	v_add_f64 v[11:12], v[23:24], v[27:28]
	v_fma_f64 v[2:3], v[2:3], v[31:32], -v[29:30]
	v_fma_f64 v[4:5], v[4:5], v[31:32], v[33:34]
	v_add_f64 v[8:9], v[8:9], v[25:26]
	v_add_f64 v[11:12], v[11:12], v[35:36]
	;; [unrolled: 1-line block ×4, first 2 shown]
	v_mul_u32_u24_e32 v2, 33, v10
	v_mov_b32_e32 v4, 0
	v_mov_b32_e32 v5, 0
	v_lshlrev_b32_e32 v45, 4, v2
	v_mov_b32_e32 v2, 0
	v_mov_b32_e32 v3, 0
	v_lshl_add_u32 v46, v13, 4, v45
	ds_write_b128 v46, v[23:26]
	s_waitcnt lgkmcnt(0)
	s_barrier
	buffer_gl0_inv
	s_and_saveexec_b32 s10, s1
	s_cbranch_execz .LBB20_60
; %bb.59:
	ds_read_b128 v[2:5], v45
	ds_read_b128 v[23:26], v45 offset:16
	s_waitcnt lgkmcnt(0)
	v_add_f64 v[8:9], v[23:24], v[2:3]
	v_add_f64 v[11:12], v[25:26], v[4:5]
	ds_read_b128 v[2:5], v45 offset:32
	ds_read_b128 v[23:26], v45 offset:48
	s_waitcnt lgkmcnt(1)
	v_add_f64 v[2:3], v[8:9], v[2:3]
	v_add_f64 v[4:5], v[11:12], v[4:5]
	s_waitcnt lgkmcnt(0)
	v_add_f64 v[8:9], v[2:3], v[23:24]
	v_add_f64 v[11:12], v[4:5], v[25:26]
	ds_read_b128 v[2:5], v45 offset:64
	ds_read_b128 v[23:26], v45 offset:80
	s_waitcnt lgkmcnt(1)
	v_add_f64 v[2:3], v[8:9], v[2:3]
	v_add_f64 v[4:5], v[11:12], v[4:5]
	;; [unrolled: 8-line block ×3, first 2 shown]
	s_waitcnt lgkmcnt(0)
	v_add_f64 v[2:3], v[2:3], v[23:24]
	v_add_f64 v[4:5], v[4:5], v[25:26]
.LBB20_60:
	s_or_b32 exec_lo, exec_lo, s10
	s_lshl_b64 s[14:15], s[12:13], 9
	v_mad_u32_u24 v17, 0x210, v13, v14
	v_add_co_u32 v23, vcc_lo, v6, s14
	v_add_co_ci_u32_e64 v24, null, s15, v7, vcc_lo
	v_add_co_u32 v6, vcc_lo, 0x200, v23
	v_add_co_ci_u32_e64 v7, null, 0, v24, vcc_lo
	s_and_b32 vcc_lo, exec_lo, s26
	s_barrier
	buffer_gl0_inv
	s_cbranch_vccz .LBB20_82
; %bb.61:
	v_sub_co_u32 v8, vcc_lo, v23, v15
	s_ashr_i32 s17, s16, 31
	v_subrev_co_ci_u32_e64 v9, null, 0, v24, vcc_lo
	s_lshl_b64 s[14:15], s[16:17], 4
	v_or_b32_e32 v11, 32, v10
	v_add_co_u32 v8, vcc_lo, v8, s14
	v_add_co_ci_u32_e64 v9, null, s15, v9, vcc_lo
	s_sub_i32 s17, s16, 32
	v_add_co_u32 v8, vcc_lo, v8, -16
	v_add_co_ci_u32_e64 v9, null, -1, v9, vcc_lo
	v_cmp_gt_i32_e32 vcc_lo, s16, v11
	v_cmp_le_i32_e64 s10, s17, v13
	v_cndmask_b32_e32 v9, v9, v7, vcc_lo
	v_cndmask_b32_e32 v8, v8, v6, vcc_lo
	s_and_saveexec_b32 s27, s10
	s_xor_b32 s10, exec_lo, s27
	s_cbranch_execz .LBB20_63
; %bb.62:
	v_mov_b32_e32 v25, 0
	v_mov_b32_e32 v26, v25
	;; [unrolled: 1-line block ×4, first 2 shown]
	ds_write_b128 v17, v[25:28]
.LBB20_63:
	s_andn2_saveexec_b32 s10, s10
	s_cbranch_execz .LBB20_65
; %bb.64:
	global_load_dwordx4 v[25:28], v[8:9], off
	s_waitcnt vmcnt(0)
	ds_write2_b64 v17, v[25:26], v[27:28] offset1:1
.LBB20_65:
	s_or_b32 exec_lo, exec_lo, s10
	v_add_nc_u32_e32 v11, 8, v13
	v_cmp_le_i32_e64 s10, s17, v11
	v_mad_u32_u24 v11, 0x210, v11, v14
	s_and_saveexec_b32 s27, s10
	s_xor_b32 s10, exec_lo, s27
	s_cbranch_execz .LBB20_67
; %bb.66:
	v_mov_b32_e32 v25, 0
	v_mov_b32_e32 v26, v25
	;; [unrolled: 1-line block ×4, first 2 shown]
	ds_write_b128 v11, v[25:28]
                                        ; implicit-def: $vgpr11
.LBB20_67:
	s_andn2_saveexec_b32 s27, s10
	s_cbranch_execz .LBB20_69
; %bb.68:
	s_lshl_b64 s[28:29], s[12:13], 7
	v_add_co_u32 v25, s10, v8, s28
	v_add_co_ci_u32_e64 v26, null, s29, v9, s10
	global_load_dwordx4 v[25:28], v[25:26], off
	s_waitcnt vmcnt(0)
	ds_write2_b64 v11, v[25:26], v[27:28] offset1:1
.LBB20_69:
	s_or_b32 exec_lo, exec_lo, s27
	v_add_nc_u32_e32 v11, 16, v13
	v_cmp_le_i32_e64 s10, s17, v11
	v_mad_u32_u24 v11, 0x210, v11, v14
	s_and_saveexec_b32 s27, s10
	s_xor_b32 s10, exec_lo, s27
	s_cbranch_execz .LBB20_71
; %bb.70:
	v_mov_b32_e32 v25, 0
	v_mov_b32_e32 v26, v25
	;; [unrolled: 1-line block ×4, first 2 shown]
	ds_write_b128 v11, v[25:28]
                                        ; implicit-def: $vgpr11
.LBB20_71:
	s_andn2_saveexec_b32 s27, s10
	s_cbranch_execz .LBB20_73
; %bb.72:
	s_lshl_b64 s[28:29], s[12:13], 8
	v_add_co_u32 v25, s10, v8, s28
	v_add_co_ci_u32_e64 v26, null, s29, v9, s10
	global_load_dwordx4 v[25:28], v[25:26], off
	s_waitcnt vmcnt(0)
	ds_write2_b64 v11, v[25:26], v[27:28] offset1:1
.LBB20_73:
	s_or_b32 exec_lo, exec_lo, s27
	v_add_nc_u32_e32 v11, 24, v13
	v_cmp_le_i32_e64 s10, s17, v11
	v_mad_u32_u24 v11, 0x210, v11, v14
	s_and_saveexec_b32 s17, s10
	s_xor_b32 s10, exec_lo, s17
	s_cbranch_execz .LBB20_75
; %bb.74:
	v_mov_b32_e32 v25, 0
	v_mov_b32_e32 v26, v25
	;; [unrolled: 1-line block ×4, first 2 shown]
	ds_write_b128 v11, v[25:28]
                                        ; implicit-def: $vgpr11
.LBB20_75:
	s_andn2_saveexec_b32 s10, s10
	s_cbranch_execz .LBB20_77
; %bb.76:
	v_mad_u64_u32 v[25:26], null, 0x180, s12, v[8:9]
	v_mov_b32_e32 v12, v26
	v_mad_u64_u32 v[26:27], null, 0x180, s13, v[12:13]
	global_load_dwordx4 v[25:28], v[25:26], off
	s_waitcnt vmcnt(0)
	ds_write2_b64 v11, v[25:26], v[27:28] offset1:1
.LBB20_77:
	s_or_b32 exec_lo, exec_lo, s10
	v_add_co_u32 v8, s10, v8, v15
	v_add_co_ci_u32_e64 v9, null, 0, v9, s10
	v_sub_co_u32 v8, s10, v8, s14
	v_subrev_co_ci_u32_e64 v9, null, s15, v9, s10
	v_add_co_u32 v8, s10, 0x210, v8
	v_add_co_ci_u32_e64 v9, null, 0, v9, s10
	v_cndmask_b32_e32 v11, v8, v6, vcc_lo
	v_cndmask_b32_e32 v12, v9, v7, vcc_lo
	s_branch .LBB20_84
.LBB20_78:
	ds_read_b128 v[2:5], v8
	s_mov_b32 s1, exec_lo
	v_add_nc_u32_e32 v12, 16, v11
	s_waitcnt lgkmcnt(0)
	v_xor_b32_e32 v5, 0x80000000, v5
	ds_write_b64 v11, v[2:3] offset:16
	s_andn2_saveexec_b32 s8, s8
	s_cbranch_execz .LBB20_40
.LBB20_79:
	s_mov_b32 s9, s1
	s_mov_b32 s10, exec_lo
                                        ; implicit-def: $vgpr12
	v_cmpx_eq_u32_e64 v19, v10
; %bb.80:
	v_add_nc_u32_e32 v12, v14, v16
	s_or_b32 s9, s1, exec_lo
; %bb.81:
	s_or_b32 exec_lo, exec_lo, s10
	v_mov_b32_e32 v4, 0
	v_mov_b32_e32 v5, 0
	s_andn2_b32 s1, s1, exec_lo
	s_and_b32 s9, s9, exec_lo
	s_or_b32 s1, s1, s9
	s_or_b32 exec_lo, exec_lo, s8
	s_and_saveexec_b32 s8, s1
	s_cbranch_execnz .LBB20_41
	s_branch .LBB20_42
.LBB20_82:
                                        ; implicit-def: $vgpr11_vgpr12
	s_cbranch_execz .LBB20_84
; %bb.83:
	s_lshl_b64 s[14:15], s[12:13], 7
	v_add_co_u32 v8, vcc_lo, v23, s14
	v_add_co_ci_u32_e64 v9, null, s15, v24, vcc_lo
	v_add_co_u32 v11, vcc_lo, v8, s14
	v_add_co_ci_u32_e64 v12, null, s15, v9, vcc_lo
	;; [unrolled: 2-line block ×3, first 2 shown]
	s_clause 0x3
	global_load_dwordx4 v[23:26], v[6:7], off
	global_load_dwordx4 v[27:30], v[8:9], off offset:512
	global_load_dwordx4 v[31:34], v[11:12], off offset:512
	;; [unrolled: 1-line block ×3, first 2 shown]
	v_mov_b32_e32 v12, v7
	v_mov_b32_e32 v11, v6
	v_add_nc_u32_e32 v8, 0x1080, v17
	v_add_nc_u32_e32 v9, 0x2100, v17
	;; [unrolled: 1-line block ×3, first 2 shown]
	s_waitcnt vmcnt(3)
	ds_write2_b64 v17, v[23:24], v[25:26] offset1:1
	s_waitcnt vmcnt(2)
	ds_write2_b64 v8, v[27:28], v[29:30] offset1:1
	;; [unrolled: 2-line block ×4, first 2 shown]
.LBB20_84:
	v_mul_u32_u24_e32 v6, 0x840, v13
	s_mov_b32 s10, 0
	s_waitcnt lgkmcnt(0)
	s_barrier
	buffer_gl0_inv
                                        ; implicit-def: $vgpr23
	s_and_saveexec_b32 s14, s2
	s_xor_b32 s2, exec_lo, s14
	s_cbranch_execz .LBB20_88
; %bb.85:
	s_mov_b32 s14, exec_lo
                                        ; implicit-def: $vgpr23
	v_cmpx_eq_u32_e64 v18, v10
	s_xor_b32 s14, exec_lo, s14
; %bb.86:
	v_add_nc_u32_e32 v23, v14, v16
	s_mov_b32 s10, exec_lo
; %bb.87:
	s_or_b32 exec_lo, exec_lo, s14
	s_and_b32 s10, s10, exec_lo
.LBB20_88:
	s_or_saveexec_b32 s2, s2
	v_mov_b32_e32 v8, 0
	v_mov_b32_e32 v9, 0
	v_add_nc_u32_e32 v34, v14, v6
	v_lshl_add_u32 v18, v18, 4, v45
	s_xor_b32 exec_lo, exec_lo, s2
	s_cbranch_execz .LBB20_90
; %bb.89:
	ds_read_b128 v[6:9], v34
	v_mov_b32_e32 v23, v18
	s_or_b32 s10, s10, exec_lo
	s_waitcnt lgkmcnt(0)
	v_xor_b32_e32 v9, 0x80000000, v9
	ds_write_b64 v18, v[6:7]
.LBB20_90:
	s_or_b32 exec_lo, exec_lo, s2
	v_mul_u32_u24_e32 v6, 0x210, v19
	s_and_saveexec_b32 s2, s10
; %bb.91:
	ds_write_b64 v23, v[8:9] offset:8
; %bb.92:
	s_or_b32 exec_lo, exec_lo, s2
	v_add_nc_u32_e32 v47, v14, v6
	s_mov_b32 s2, 0
                                        ; implicit-def: $vgpr8_vgpr9
                                        ; implicit-def: $vgpr23
	s_and_saveexec_b32 s10, s3
	s_xor_b32 s3, exec_lo, s10
	s_cbranch_execnz .LBB20_132
; %bb.93:
	s_andn2_saveexec_b32 s3, s3
	s_cbranch_execnz .LBB20_133
.LBB20_94:
	s_or_b32 exec_lo, exec_lo, s3
	s_and_saveexec_b32 s3, s2
.LBB20_95:
	ds_write_b64 v23, v[8:9] offset:8
.LBB20_96:
	s_or_b32 exec_lo, exec_lo, s3
	s_mov_b32 s2, 0
                                        ; implicit-def: $vgpr19
	s_and_saveexec_b32 s3, s8
	s_xor_b32 s3, exec_lo, s3
	s_cbranch_execz .LBB20_100
; %bb.97:
	s_mov_b32 s8, exec_lo
                                        ; implicit-def: $vgpr19
	v_cmpx_eq_u32_e64 v20, v10
; %bb.98:
	v_add_nc_u32_e32 v19, v14, v16
	s_mov_b32 s2, exec_lo
; %bb.99:
	s_or_b32 exec_lo, exec_lo, s8
	s_and_b32 s2, s2, exec_lo
.LBB20_100:
	s_or_saveexec_b32 s3, s3
	v_mov_b32_e32 v8, 0
	v_mov_b32_e32 v9, 0
	s_xor_b32 exec_lo, exec_lo, s3
	s_cbranch_execz .LBB20_102
; %bb.101:
	ds_read_b128 v[6:9], v47 offset:528
	v_add_nc_u32_e32 v19, 32, v18
	s_or_b32 s2, s2, exec_lo
	s_waitcnt lgkmcnt(0)
	v_xor_b32_e32 v9, 0x80000000, v9
	ds_write_b64 v18, v[6:7] offset:32
.LBB20_102:
	s_or_b32 exec_lo, exec_lo, s3
	s_and_saveexec_b32 s3, s2
; %bb.103:
	ds_write_b64 v19, v[8:9] offset:8
; %bb.104:
	s_or_b32 exec_lo, exec_lo, s3
	s_mov_b32 s2, 0
                                        ; implicit-def: $vgpr19
	s_and_saveexec_b32 s3, s9
	s_xor_b32 s3, exec_lo, s3
	s_cbranch_execz .LBB20_108
; %bb.105:
	s_mov_b32 s8, exec_lo
                                        ; implicit-def: $vgpr19
	v_cmpx_eq_u32_e64 v21, v10
; %bb.106:
	v_add_nc_u32_e32 v19, v14, v16
	s_mov_b32 s2, exec_lo
; %bb.107:
	s_or_b32 exec_lo, exec_lo, s8
	s_and_b32 s2, s2, exec_lo
                                        ; implicit-def: $vgpr18
.LBB20_108:
	s_or_saveexec_b32 s3, s3
	v_mov_b32_e32 v8, 0
	v_mov_b32_e32 v9, 0
	s_xor_b32 exec_lo, exec_lo, s3
	s_cbranch_execz .LBB20_110
; %bb.109:
	ds_read_b128 v[6:9], v47 offset:1056
	v_add_nc_u32_e32 v19, 48, v18
	s_or_b32 s2, s2, exec_lo
	s_waitcnt lgkmcnt(0)
	v_xor_b32_e32 v9, 0x80000000, v9
	ds_write_b64 v18, v[6:7] offset:48
.LBB20_110:
	s_or_b32 exec_lo, exec_lo, s3
	v_add_nc_u32_e32 v16, 0x4700, v22
	s_and_saveexec_b32 s3, s2
; %bb.111:
	ds_write_b64 v19, v[8:9] offset:8
; %bb.112:
	s_or_b32 exec_lo, exec_lo, s3
	s_waitcnt lgkmcnt(0)
	s_barrier
	buffer_gl0_inv
	ds_read_b128 v[6:9], v34
	ds_read_b128 v[18:21], v16 offset:512
	ds_read_b128 v[22:25], v16 offset:528
	ds_read_b128 v[26:29], v47
	ds_read_b128 v[30:33], v47 offset:1056
	ds_read_b128 v[48:51], v16 offset:544
	;; [unrolled: 1-line block ×3, first 2 shown]
	v_cmp_eq_u32_e64 s2, 1, v13
	s_waitcnt lgkmcnt(5)
	v_mul_f64 v[35:36], v[20:21], v[8:9]
	v_mul_f64 v[8:9], v[18:19], v[8:9]
	s_waitcnt lgkmcnt(3)
	v_mul_f64 v[42:43], v[24:25], v[28:29]
	v_mul_f64 v[28:29], v[22:23], v[28:29]
	v_fma_f64 v[18:19], v[18:19], v[6:7], -v[35:36]
	v_fma_f64 v[20:21], v[20:21], v[6:7], v[8:9]
	s_waitcnt lgkmcnt(0)
	v_mul_f64 v[35:36], v[50:51], v[54:55]
	v_mul_f64 v[54:55], v[48:49], v[54:55]
	v_fma_f64 v[22:23], v[22:23], v[26:27], -v[42:43]
	v_fma_f64 v[24:25], v[24:25], v[26:27], v[28:29]
	ds_read_b128 v[6:9], v16 offset:560
	s_waitcnt lgkmcnt(0)
	s_barrier
	buffer_gl0_inv
	v_add_f64 v[18:19], v[18:19], 0
	v_add_f64 v[20:21], v[20:21], 0
	v_mul_f64 v[26:27], v[8:9], v[32:33]
	v_mul_f64 v[28:29], v[6:7], v[32:33]
	v_fma_f64 v[32:33], v[48:49], v[52:53], -v[35:36]
	v_fma_f64 v[35:36], v[50:51], v[52:53], v[54:55]
	v_add_f64 v[18:19], v[18:19], v[22:23]
	v_add_f64 v[20:21], v[20:21], v[24:25]
	v_fma_f64 v[6:7], v[6:7], v[30:31], -v[26:27]
	v_fma_f64 v[8:9], v[8:9], v[30:31], v[28:29]
	v_add_f64 v[18:19], v[18:19], v[32:33]
	v_add_f64 v[20:21], v[20:21], v[35:36]
	;; [unrolled: 1-line block ×4, first 2 shown]
	ds_write_b128 v46, v[6:9]
	s_waitcnt lgkmcnt(0)
	s_barrier
	buffer_gl0_inv
	s_and_saveexec_b32 s3, s2
	s_cbranch_execz .LBB20_114
; %bb.113:
	ds_read_b128 v[2:5], v45
	ds_read_b128 v[6:9], v45 offset:16
	s_waitcnt lgkmcnt(0)
	v_add_f64 v[18:19], v[6:7], v[2:3]
	v_add_f64 v[20:21], v[8:9], v[4:5]
	ds_read_b128 v[2:5], v45 offset:32
	ds_read_b128 v[6:9], v45 offset:48
	s_waitcnt lgkmcnt(1)
	v_add_f64 v[2:3], v[18:19], v[2:3]
	v_add_f64 v[4:5], v[20:21], v[4:5]
	s_waitcnt lgkmcnt(0)
	v_add_f64 v[18:19], v[2:3], v[6:7]
	v_add_f64 v[20:21], v[4:5], v[8:9]
	ds_read_b128 v[2:5], v45 offset:64
	ds_read_b128 v[6:9], v45 offset:80
	s_waitcnt lgkmcnt(1)
	v_add_f64 v[2:3], v[18:19], v[2:3]
	v_add_f64 v[4:5], v[20:21], v[4:5]
	;; [unrolled: 8-line block ×3, first 2 shown]
	s_waitcnt lgkmcnt(0)
	v_add_f64 v[2:3], v[2:3], v[6:7]
	v_add_f64 v[4:5], v[4:5], v[8:9]
.LBB20_114:
	s_or_b32 exec_lo, exec_lo, s3
	v_add_co_u32 v6, vcc_lo, 0xfffffe00, v11
	v_add_co_ci_u32_e64 v7, null, -1, v12, vcc_lo
	s_and_b32 vcc_lo, exec_lo, s26
	s_barrier
	buffer_gl0_inv
	s_cbranch_vccz .LBB20_136
; %bb.115:
	v_sub_co_u32 v8, vcc_lo, v11, v15
	s_ashr_i32 s17, s16, 31
	v_subrev_co_ci_u32_e64 v9, null, 0, v12, vcc_lo
	s_lshl_b64 s[8:9], s[16:17], 4
	s_sub_i32 s10, s16, 32
	v_add_co_u32 v8, vcc_lo, v8, s8
	v_add_co_ci_u32_e64 v9, null, s9, v9, vcc_lo
	v_cmp_le_i32_e64 s3, s10, v13
	v_add_co_u32 v8, vcc_lo, 0xfffffdf0, v8
	v_add_co_ci_u32_e64 v9, null, -1, v9, vcc_lo
	v_cmp_gt_i32_e32 vcc_lo, s16, v10
	v_cndmask_b32_e32 v9, v9, v7, vcc_lo
	v_cndmask_b32_e32 v8, v8, v6, vcc_lo
	s_and_saveexec_b32 s14, s3
	s_xor_b32 s3, exec_lo, s14
	s_cbranch_execz .LBB20_117
; %bb.116:
	v_mov_b32_e32 v18, 0
	v_mov_b32_e32 v19, v18
	v_mov_b32_e32 v20, v18
	v_mov_b32_e32 v21, v18
	ds_write_b128 v17, v[18:21]
.LBB20_117:
	s_andn2_saveexec_b32 s3, s3
	s_cbranch_execz .LBB20_119
; %bb.118:
	global_load_dwordx4 v[18:21], v[8:9], off
	s_waitcnt vmcnt(0)
	ds_write2_b64 v17, v[18:19], v[20:21] offset1:1
.LBB20_119:
	s_or_b32 exec_lo, exec_lo, s3
	v_add_nc_u32_e32 v10, 8, v13
	v_cmp_le_i32_e64 s3, s10, v10
	v_mad_u32_u24 v18, 0x210, v10, v14
	s_and_saveexec_b32 s14, s3
	s_xor_b32 s3, exec_lo, s14
	s_cbranch_execz .LBB20_121
; %bb.120:
	v_mov_b32_e32 v19, 0
	v_mov_b32_e32 v20, v19
	v_mov_b32_e32 v21, v19
	v_mov_b32_e32 v22, v19
	ds_write_b128 v18, v[19:22]
                                        ; implicit-def: $vgpr18
.LBB20_121:
	s_andn2_saveexec_b32 s14, s3
	s_cbranch_execz .LBB20_123
; %bb.122:
	s_lshl_b64 s[26:27], s[12:13], 7
	v_add_co_u32 v19, s3, v8, s26
	v_add_co_ci_u32_e64 v20, null, s27, v9, s3
	global_load_dwordx4 v[19:22], v[19:20], off
	s_waitcnt vmcnt(0)
	ds_write2_b64 v18, v[19:20], v[21:22] offset1:1
.LBB20_123:
	s_or_b32 exec_lo, exec_lo, s14
	v_add_nc_u32_e32 v19, 16, v13
	v_cmp_le_i32_e64 s3, s10, v19
	v_mad_u32_u24 v18, 0x210, v19, v14
	s_and_saveexec_b32 s14, s3
	s_xor_b32 s3, exec_lo, s14
	s_cbranch_execz .LBB20_125
; %bb.124:
	v_mov_b32_e32 v20, 0
	v_mov_b32_e32 v21, v20
	;; [unrolled: 1-line block ×4, first 2 shown]
	ds_write_b128 v18, v[20:23]
                                        ; implicit-def: $vgpr18
.LBB20_125:
	s_andn2_saveexec_b32 s14, s3
	s_cbranch_execz .LBB20_127
; %bb.126:
	s_lshl_b64 s[26:27], s[12:13], 8
	v_add_co_u32 v20, s3, v8, s26
	v_add_co_ci_u32_e64 v21, null, s27, v9, s3
	global_load_dwordx4 v[20:23], v[20:21], off
	s_waitcnt vmcnt(0)
	ds_write2_b64 v18, v[20:21], v[22:23] offset1:1
.LBB20_127:
	s_or_b32 exec_lo, exec_lo, s14
	v_add_nc_u32_e32 v18, 24, v13
	v_cmp_le_i32_e64 s3, s10, v18
	v_mad_u32_u24 v20, 0x210, v18, v14
	s_and_saveexec_b32 s10, s3
	s_xor_b32 s3, exec_lo, s10
	s_cbranch_execz .LBB20_129
; %bb.128:
	v_mov_b32_e32 v21, 0
	v_mov_b32_e32 v22, v21
	v_mov_b32_e32 v23, v21
	v_mov_b32_e32 v24, v21
	ds_write_b128 v20, v[21:24]
                                        ; implicit-def: $vgpr20
.LBB20_129:
	s_andn2_saveexec_b32 s3, s3
	s_cbranch_execz .LBB20_131
; %bb.130:
	v_mad_u64_u32 v[21:22], null, 0x180, s12, v[8:9]
	v_mad_u64_u32 v[22:23], null, 0x180, s13, v[22:23]
	global_load_dwordx4 v[21:24], v[21:22], off
	s_waitcnt vmcnt(0)
	ds_write2_b64 v20, v[21:22], v[23:24] offset1:1
.LBB20_131:
	s_or_b32 exec_lo, exec_lo, s3
	v_add_co_u32 v8, s3, v8, v15
	v_add_co_ci_u32_e64 v9, null, 0, v9, s3
	v_sub_co_u32 v8, s3, v8, s8
	v_subrev_co_ci_u32_e64 v9, null, s9, v9, s3
	v_add_co_u32 v8, s3, v8, 16
	v_add_co_ci_u32_e64 v9, null, 0, v9, s3
	v_cndmask_b32_e32 v42, v8, v6, vcc_lo
	v_cndmask_b32_e32 v43, v9, v7, vcc_lo
	s_branch .LBB20_138
.LBB20_132:
	ds_read_b128 v[6:9], v47
	s_mov_b32 s2, exec_lo
	v_add_nc_u32_e32 v23, 16, v18
                                        ; implicit-def: $vgpr19
	s_waitcnt lgkmcnt(0)
	v_xor_b32_e32 v9, 0x80000000, v9
	ds_write_b64 v18, v[6:7] offset:16
	s_andn2_saveexec_b32 s3, s3
	s_cbranch_execz .LBB20_94
.LBB20_133:
	s_mov_b32 s10, s2
	s_mov_b32 s14, exec_lo
                                        ; implicit-def: $vgpr23
	v_cmpx_eq_u32_e64 v19, v10
; %bb.134:
	v_add_nc_u32_e32 v23, v14, v16
	s_or_b32 s10, s2, exec_lo
; %bb.135:
	s_or_b32 exec_lo, exec_lo, s14
	v_mov_b32_e32 v8, 0
	v_mov_b32_e32 v9, 0
	s_andn2_b32 s2, s2, exec_lo
	s_and_b32 s10, s10, exec_lo
	s_or_b32 s2, s2, s10
	s_or_b32 exec_lo, exec_lo, s3
	s_and_saveexec_b32 s3, s2
	s_cbranch_execnz .LBB20_95
	s_branch .LBB20_96
.LBB20_136:
                                        ; implicit-def: $vgpr42_vgpr43
                                        ; implicit-def: $vgpr10
                                        ; implicit-def: $vgpr19
                                        ; implicit-def: $vgpr18
	s_cbranch_execz .LBB20_138
; %bb.137:
	s_lshl_b64 s[8:9], s[12:13], 7
	v_mov_b32_e32 v43, v7
	v_add_co_u32 v8, vcc_lo, v11, s8
	v_add_co_ci_u32_e64 v9, null, s9, v12, vcc_lo
	v_mov_b32_e32 v42, v6
	v_add_co_u32 v10, vcc_lo, v8, s8
	v_add_co_ci_u32_e64 v11, null, s9, v9, vcc_lo
	v_add_co_u32 v18, vcc_lo, v10, s8
	v_add_co_ci_u32_e64 v19, null, s9, v11, vcc_lo
	s_clause 0x3
	global_load_dwordx4 v[20:23], v[6:7], off
	global_load_dwordx4 v[24:27], v[8:9], off offset:-512
	global_load_dwordx4 v[28:31], v[10:11], off offset:-512
	;; [unrolled: 1-line block ×3, first 2 shown]
	v_add_nc_u32_e32 v10, 8, v13
	v_add_nc_u32_e32 v19, 16, v13
	;; [unrolled: 1-line block ×3, first 2 shown]
	v_mad_u32_u24 v8, 0x210, v10, v14
	v_add_nc_u32_e32 v9, 0x1080, v8
	v_add_nc_u32_e32 v11, 0x2100, v8
	s_waitcnt vmcnt(3)
	ds_write2_b64 v17, v[20:21], v[22:23] offset1:1
	s_waitcnt vmcnt(2)
	ds_write2_b64 v8, v[24:25], v[26:27] offset1:1
	;; [unrolled: 2-line block ×4, first 2 shown]
.LBB20_138:
	v_lshlrev_b32_e32 v11, 4, v13
	s_waitcnt lgkmcnt(0)
	s_barrier
	buffer_gl0_inv
	v_lshlrev_b32_e32 v10, 4, v10
	v_add_nc_u32_e32 v6, v45, v11
	ds_read_b128 v[6:9], v6
	ds_read_b128 v[11:14], v11 offset:18176
	v_add_nc_u32_e32 v15, v45, v10
	ds_read_b128 v[20:23], v15
	ds_read_b128 v[24:27], v10 offset:18176
	v_lshlrev_b32_e32 v10, 4, v19
	v_add_nc_u32_e32 v15, v45, v10
	ds_read_b128 v[28:31], v15
	ds_read_b128 v[48:51], v10 offset:18176
	v_lshlrev_b32_e32 v10, 4, v18
	s_waitcnt lgkmcnt(4)
	v_mul_f64 v[32:33], v[8:9], v[13:14]
	v_mul_f64 v[8:9], v[8:9], v[11:12]
	s_waitcnt lgkmcnt(2)
	v_mul_f64 v[35:36], v[22:23], v[26:27]
	v_mul_f64 v[22:23], v[22:23], v[24:25]
	;; [unrolled: 3-line block ×3, first 2 shown]
	v_fma_f64 v[32:33], v[6:7], v[11:12], v[32:33]
	v_fma_f64 v[14:15], v[6:7], v[13:14], -v[8:9]
	v_add_nc_u32_e32 v6, v45, v10
	ds_read_b128 v[6:9], v6
	ds_read_b128 v[10:13], v10 offset:18176
	v_fma_f64 v[24:25], v[20:21], v[24:25], v[35:36]
	v_fma_f64 v[19:20], v[20:21], v[26:27], -v[22:23]
	v_fma_f64 v[17:18], v[28:29], v[48:49], v[17:18]
	v_fma_f64 v[28:29], v[28:29], v[50:51], -v[30:31]
	v_add_f64 v[21:22], v[32:33], 0
	v_add_f64 v[14:15], v[14:15], 0
	s_waitcnt lgkmcnt(0)
	v_mul_f64 v[26:27], v[8:9], v[12:13]
	v_mul_f64 v[8:9], v[8:9], v[10:11]
	v_add_f64 v[21:22], v[21:22], v[24:25]
	v_add_f64 v[14:15], v[14:15], v[19:20]
	v_fma_f64 v[10:11], v[6:7], v[10:11], v[26:27]
	v_fma_f64 v[6:7], v[6:7], v[12:13], -v[8:9]
	v_add_f64 v[8:9], v[21:22], v[17:18]
	v_add_f64 v[12:13], v[14:15], v[28:29]
	ds_read_b128 v[30:33], v16 offset:512
	ds_read_b128 v[22:25], v16 offset:528
	v_add_f64 v[48:49], v[8:9], v[10:11]
	v_add_f64 v[50:51], v[12:13], v[6:7]
	ds_read_b128 v[10:13], v16 offset:544
	ds_read_b128 v[6:9], v16 offset:560
	ds_read_b128 v[26:29], v47
	ds_read_b128 v[18:21], v47 offset:528
	ds_read_b128 v[34:37], v34
	ds_read_b128 v[14:17], v47 offset:1056
	s_waitcnt lgkmcnt(0)
	s_barrier
	buffer_gl0_inv
	ds_write_b128 v46, v[48:51]
	s_waitcnt lgkmcnt(0)
	s_barrier
	buffer_gl0_inv
	s_and_saveexec_b32 s3, s2
	s_cbranch_execz .LBB20_140
; %bb.139:
	ds_read_b128 v[47:50], v45
	ds_read_b128 v[51:54], v45 offset:16
	s_waitcnt lgkmcnt(1)
	v_add_f64 v[2:3], v[2:3], v[47:48]
	v_add_f64 v[4:5], v[4:5], v[49:50]
	s_waitcnt lgkmcnt(0)
	v_add_f64 v[51:52], v[2:3], v[51:52]
	v_add_f64 v[53:54], v[4:5], v[53:54]
	ds_read_b128 v[2:5], v45 offset:32
	ds_read_b128 v[47:50], v45 offset:48
	s_waitcnt lgkmcnt(1)
	v_add_f64 v[2:3], v[51:52], v[2:3]
	v_add_f64 v[4:5], v[53:54], v[4:5]
	s_waitcnt lgkmcnt(0)
	v_add_f64 v[51:52], v[2:3], v[47:48]
	v_add_f64 v[53:54], v[4:5], v[49:50]
	ds_read_b128 v[2:5], v45 offset:64
	;; [unrolled: 8-line block ×3, first 2 shown]
	ds_read_b128 v[47:50], v45 offset:112
	s_waitcnt lgkmcnt(1)
	v_add_f64 v[2:3], v[51:52], v[2:3]
	v_add_f64 v[4:5], v[53:54], v[4:5]
	s_waitcnt lgkmcnt(0)
	v_add_f64 v[2:3], v[2:3], v[47:48]
	v_add_f64 v[4:5], v[4:5], v[49:50]
.LBB20_140:
	s_or_b32 exec_lo, exec_lo, s3
	v_mul_f64 v[47:48], v[32:33], v[36:37]
	v_mul_f64 v[36:37], v[30:31], v[36:37]
	;; [unrolled: 1-line block ×4, first 2 shown]
	s_barrier
	buffer_gl0_inv
	v_fma_f64 v[30:31], v[30:31], v[34:35], -v[47:48]
	v_fma_f64 v[32:33], v[32:33], v[34:35], v[36:37]
	v_mul_f64 v[34:35], v[12:13], v[20:21]
	v_mul_f64 v[20:21], v[10:11], v[20:21]
	v_fma_f64 v[22:23], v[22:23], v[26:27], -v[49:50]
	v_fma_f64 v[24:25], v[24:25], v[26:27], v[28:29]
	v_add_f64 v[26:27], v[30:31], 0
	v_add_f64 v[28:29], v[32:33], 0
	v_mul_f64 v[30:31], v[8:9], v[16:17]
	v_mul_f64 v[16:17], v[6:7], v[16:17]
	v_fma_f64 v[10:11], v[10:11], v[18:19], -v[34:35]
	v_fma_f64 v[12:13], v[12:13], v[18:19], v[20:21]
	v_add_f64 v[18:19], v[26:27], v[22:23]
	v_add_f64 v[20:21], v[28:29], v[24:25]
	v_fma_f64 v[6:7], v[6:7], v[14:15], -v[30:31]
	v_fma_f64 v[8:9], v[8:9], v[14:15], v[16:17]
	v_add_f64 v[10:11], v[18:19], v[10:11]
	v_add_f64 v[12:13], v[20:21], v[12:13]
	;; [unrolled: 1-line block ×4, first 2 shown]
	ds_write_b128 v46, v[6:9]
	s_waitcnt lgkmcnt(0)
	s_barrier
	buffer_gl0_inv
	s_and_saveexec_b32 s2, s1
	s_cbranch_execz .LBB20_142
; %bb.141:
	ds_read_b128 v[6:9], v45
	ds_read_b128 v[10:13], v45 offset:16
	s_waitcnt lgkmcnt(1)
	v_add_f64 v[2:3], v[2:3], v[6:7]
	v_add_f64 v[4:5], v[4:5], v[8:9]
	s_waitcnt lgkmcnt(0)
	v_add_f64 v[10:11], v[2:3], v[10:11]
	v_add_f64 v[12:13], v[4:5], v[12:13]
	ds_read_b128 v[2:5], v45 offset:32
	ds_read_b128 v[6:9], v45 offset:48
	s_waitcnt lgkmcnt(1)
	v_add_f64 v[2:3], v[10:11], v[2:3]
	v_add_f64 v[4:5], v[12:13], v[4:5]
	s_waitcnt lgkmcnt(0)
	v_add_f64 v[10:11], v[2:3], v[6:7]
	v_add_f64 v[12:13], v[4:5], v[8:9]
	ds_read_b128 v[2:5], v45 offset:64
	;; [unrolled: 8-line block ×3, first 2 shown]
	ds_read_b128 v[6:9], v45 offset:112
	s_waitcnt lgkmcnt(1)
	v_add_f64 v[2:3], v[10:11], v[2:3]
	v_add_f64 v[4:5], v[12:13], v[4:5]
	s_waitcnt lgkmcnt(0)
	v_add_f64 v[2:3], v[2:3], v[6:7]
	v_add_f64 v[4:5], v[4:5], v[8:9]
.LBB20_142:
	s_or_b32 exec_lo, exec_lo, s2
	s_load_dwordx2 s[2:3], s[4:5], 0x78
	s_mul_hi_u32 s1, s24, s7
	s_mul_i32 s25, s25, s7
	s_mul_i32 s4, s24, s7
	s_add_i32 s1, s1, s25
	s_mul_hi_u32 s5, s4, s22
	s_mul_i32 s1, s1, s22
	s_mul_i32 s4, s4, s22
	s_add_i32 s5, s5, s1
	s_mul_hi_i32 s9, s24, s6
	s_lshl_b64 s[4:5], s[4:5], 4
	s_mul_i32 s8, s24, s6
	v_lshlrev_b32_e32 v169, 4, v0
	s_waitcnt lgkmcnt(0)
	s_barrier
	buffer_gl0_inv
	s_add_u32 s1, s2, s4
	s_addc_u32 s2, s3, s5
	s_lshl_b64 s[4:5], s[8:9], 4
	s_add_u32 s3, s1, s4
	s_addc_u32 s7, s2, s5
	s_add_i32 s1, s6, 1
	s_cmp_ge_u32 s1, s22
	s_cbranch_scc1 .LBB20_200
; %bb.143:
	v_and_b32_e32 v8, 48, v0
	v_lshlrev_b32_e32 v15, 6, v1
	v_lshrrev_b32_e32 v6, 4, v44
	v_and_b32_e32 v7, 15, v0
	v_or_b32_e32 v10, 0xf0, v169
	v_lshlrev_b32_e32 v8, 4, v8
	v_add_nc_u32_e32 v11, 0x530, v15
	v_lshlrev_b32_e32 v9, 6, v6
	v_mul_i32_i24_e32 v16, 0xffffffd0, v6
	v_mad_u32_u24 v179, 0x430, v7, v10
	v_mad_u32_u24 v178, 0x430, v7, v8
	v_add_nc_u32_e32 v8, 0x200, v15
	v_mad_u32_u24 v177, 0x430, v7, v9
	s_mul_i32 s1, s20, s19
	s_mul_hi_u32 s2, s20, s18
	s_mul_i32 s4, s21, s18
	v_mad_u64_u32 v[6:7], null, s12, v8, 0
	s_add_i32 s1, s2, s1
	v_add_nc_u32_e32 v13, 0x220, v15
	s_add_i32 s5, s1, s4
	s_mul_i32 s4, s20, s18
	v_add_nc_u32_e32 v18, 0x210, v15
	s_lshl_b64 s[4:5], s[4:5], 4
	v_mad_u64_u32 v[7:8], null, s13, v8, v[7:8]
	v_mad_u64_u32 v[8:9], null, s12, v11, 0
	v_sub_co_u32 v171, vcc_lo, v40, s4
	v_subrev_co_ci_u32_e64 v172, null, s5, v41, vcc_lo
	v_sub_co_u32 v6, vcc_lo, v6, v38
	v_sub_co_ci_u32_e64 v14, null, v7, v39, vcc_lo
	v_mov_b32_e32 v7, v9
	v_mad_u64_u32 v[9:10], null, s12, v13, 0
	v_or_b32_e32 v17, 8, v6
	v_add_nc_u32_e32 v174, 0x4300, v15
	v_mad_u64_u32 v[11:12], null, s13, v11, v[7:8]
	v_lshlrev_b32_e32 v170, 2, v1
	v_add_co_u32 v195, vcc_lo, v42, v17
	v_add_co_ci_u32_e64 v196, null, v43, v14, vcc_lo
	v_mov_b32_e32 v7, v10
	v_add_nc_u32_e32 v14, 0x520, v15
	v_sub_co_u32 v12, vcc_lo, v8, v38
	v_sub_co_ci_u32_e64 v17, null, v11, v39, vcc_lo
	v_mad_u64_u32 v[7:8], null, s13, v13, v[7:8]
	v_mad_u64_u32 v[10:11], null, s12, v14, 0
	v_add_co_u32 v197, vcc_lo, v42, v12
	v_mad_u64_u32 v[12:13], null, s12, v18, 0
	v_add_co_ci_u32_e64 v198, null, v43, v17, vcc_lo
	v_sub_co_u32 v8, vcc_lo, v9, v38
	v_sub_co_ci_u32_e64 v9, null, v7, v39, vcc_lo
	v_mov_b32_e32 v7, v11
	v_add_co_u32 v199, vcc_lo, v42, v8
	v_mov_b32_e32 v8, v13
	v_add_nc_u32_e32 v11, 0x510, v15
	v_add_co_ci_u32_e64 v200, null, v43, v9, vcc_lo
	v_add_nc_u32_e32 v17, 0x230, v15
	v_mad_u64_u32 v[13:14], null, s13, v14, v[7:8]
	v_mad_u64_u32 v[7:8], null, s13, v18, v[8:9]
	;; [unrolled: 1-line block ×3, first 2 shown]
	v_sub_co_u32 v12, vcc_lo, v12, v38
	v_sub_co_u32 v14, s2, v10, v38
	v_sub_co_ci_u32_e64 v18, null, v7, v39, vcc_lo
	v_mov_b32_e32 v7, v9
	v_mad_u64_u32 v[9:10], null, s12, v17, 0
	v_sub_co_ci_u32_e64 v13, null, v13, v39, s2
	v_or_b32_e32 v19, 8, v12
	v_mad_u64_u32 v[11:12], null, s13, v11, v[7:8]
	v_add_co_u32 v201, vcc_lo, v42, v14
	v_mov_b32_e32 v7, v10
	v_add_co_ci_u32_e64 v202, null, v43, v13, vcc_lo
	v_add_co_u32 v203, vcc_lo, v42, v19
	v_add_co_ci_u32_e64 v204, null, v43, v18, vcc_lo
	v_sub_co_u32 v12, vcc_lo, v8, v38
	v_add_nc_u32_e32 v14, 0x500, v15
	v_mad_u64_u32 v[7:8], null, s13, v17, v[7:8]
	v_add_nc_u32_e32 v17, 0x300, v15
	v_sub_co_ci_u32_e64 v13, null, v11, v39, vcc_lo
	v_mad_u64_u32 v[10:11], null, s12, v14, 0
	v_sub_co_u32 v18, vcc_lo, v9, v38
	v_mad_u64_u32 v[8:9], null, s12, v17, 0
	v_add_co_u32 v205, s2, v42, v12
	v_or_b32_e32 v18, 8, v18
	v_add_co_ci_u32_e64 v206, null, v43, v13, s2
	v_sub_co_ci_u32_e64 v13, null, v7, v39, vcc_lo
	v_mad_u64_u32 v[11:12], null, s13, v14, v[11:12]
	v_mov_b32_e32 v7, v9
	v_add_co_u32 v207, vcc_lo, v42, v18
	v_add_co_ci_u32_e64 v208, null, v43, v13, vcc_lo
	v_mad_u64_u32 v[12:13], null, s13, v17, v[7:8]
	v_sub_co_u32 v13, vcc_lo, v10, v38
	v_sub_co_ci_u32_e64 v11, null, v11, v39, vcc_lo
	v_add_nc_u32_e32 v14, 0x430, v15
	v_sub_co_u32 v9, vcc_lo, v8, v38
	v_add_nc_u32_e32 v17, 0x310, v15
	v_sub_co_ci_u32_e64 v12, null, v12, v39, vcc_lo
	v_mad_u64_u32 v[7:8], null, s12, v14, 0
	v_or_b32_e32 v18, 8, v9
	v_mad_u64_u32 v[9:10], null, s12, v17, 0
	v_add_co_u32 v209, vcc_lo, v42, v13
	v_add_co_ci_u32_e64 v210, null, v43, v11, vcc_lo
	v_add_co_u32 v211, vcc_lo, v42, v18
	v_add_co_ci_u32_e64 v212, null, v43, v12, vcc_lo
	v_mad_u64_u32 v[11:12], null, s13, v14, v[8:9]
	v_add_nc_u32_e32 v14, 0x420, v15
	v_add_nc_u32_e32 v173, 0x4300, v169
	;; [unrolled: 1-line block ×3, first 2 shown]
	v_mad_u32_u24 v176, 0x10c0, v1, v169
	v_cmp_gt_u32_e64 s1, 64, v44
	v_or_b32_e32 v180, 1, v170
	v_mad_u64_u32 v[12:13], null, s13, v17, v[10:11]
	v_sub_co_u32 v10, vcc_lo, v9, v38
	v_mad_u64_u32 v[8:9], null, s12, v14, 0
	v_add_nc_u32_e32 v17, 0x320, v15
	v_sub_co_u32 v13, s2, v7, v38
	v_sub_co_ci_u32_e64 v11, null, v11, v39, s2
	v_or_b32_e32 v19, 8, v10
	v_mov_b32_e32 v7, v9
	v_mad_u64_u32 v[9:10], null, s12, v17, 0
	v_sub_co_ci_u32_e64 v18, null, v12, v39, vcc_lo
	v_add_co_u32 v213, vcc_lo, v42, v13
	v_add_co_ci_u32_e64 v214, null, v43, v11, vcc_lo
	v_mad_u64_u32 v[11:12], null, s13, v14, v[7:8]
	v_mov_b32_e32 v7, v10
	v_add_nc_u32_e32 v12, 0x410, v15
	v_add_co_u32 v215, vcc_lo, v42, v19
	v_add_co_ci_u32_e64 v216, null, v43, v18, vcc_lo
	v_sub_co_u32 v13, vcc_lo, v8, v38
	v_sub_co_ci_u32_e64 v14, null, v11, v39, vcc_lo
	v_mad_u64_u32 v[7:8], null, s13, v17, v[7:8]
	v_mad_u64_u32 v[10:11], null, s12, v12, 0
	v_sub_co_u32 v8, vcc_lo, v9, v38
	v_add_co_u32 v217, s2, v42, v13
	v_sub_co_ci_u32_e64 v13, null, v7, v39, vcc_lo
	v_mov_b32_e32 v7, v11
	v_add_nc_u32_e32 v17, 0x330, v15
	v_add_nc_u32_e32 v15, 0x400, v15
	v_add_co_ci_u32_e64 v218, null, v43, v14, s2
	v_or_b32_e32 v14, 8, v8
	v_mad_u64_u32 v[7:8], null, s13, v12, v[7:8]
	v_mad_u64_u32 v[8:9], null, s12, v17, 0
	;; [unrolled: 1-line block ×3, first 2 shown]
	v_add_co_u32 v219, vcc_lo, v42, v14
	v_add_co_ci_u32_e64 v220, null, v43, v13, vcc_lo
	v_sub_co_u32 v10, vcc_lo, v10, v38
	v_sub_co_ci_u32_e64 v13, null, v7, v39, vcc_lo
	v_mov_b32_e32 v7, v9
	v_mov_b32_e32 v9, v12
	v_add_co_u32 v221, vcc_lo, v42, v10
	v_add_co_ci_u32_e64 v222, null, v43, v13, vcc_lo
	v_mad_u64_u32 v[12:13], null, s13, v17, v[7:8]
	v_sub_co_u32 v7, vcc_lo, v8, v38
	v_mad_u64_u32 v[9:10], null, s13, v15, v[9:10]
	v_sub_co_u32 v8, s2, v11, v38
	v_or_b32_e32 v7, 8, v7
	v_sub_co_ci_u32_e64 v10, null, v12, v39, vcc_lo
	v_or_b32_e32 v8, 8, v8
	v_sub_co_ci_u32_e64 v9, null, v9, v39, s2
	v_add_co_u32 v223, vcc_lo, v42, v7
	v_add_co_ci_u32_e64 v224, null, v43, v10, vcc_lo
	v_add_co_u32 v225, vcc_lo, v42, v8
	v_or_b32_e32 v181, 2, v170
	v_or_b32_e32 v182, 3, v170
	v_add_nc_u32_e32 v183, 16, v170
	v_add_nc_u32_e32 v184, 17, v170
	;; [unrolled: 1-line block ×12, first 2 shown]
	v_mov_b32_e32 v6, 0
	v_add_co_ci_u32_e64 v226, null, v43, v9, vcc_lo
	v_add_nc_u32_e32 v227, v177, v16
	s_add_i32 s8, s22, -2
	s_add_i32 s9, s18, 64
	s_lshl_b64 s[4:5], s[12:13], 10
	s_cmp_eq_u32 s8, s6
	s_cselect_b32 s10, s23, 0
	s_and_saveexec_b32 s2, s0
	s_cbranch_execz .LBB20_148
.LBB20_144:
	v_cmp_le_i32_e32 vcc_lo, s10, v0
	s_cmp_lg_u32 s10, 0
	s_cselect_b32 s12, -1, 0
	s_and_b32 s12, s12, vcc_lo
	s_and_saveexec_b32 s13, s12
	s_xor_b32 s12, exec_lo, s13
	s_cbranch_execz .LBB20_146
; %bb.145:
	v_mov_b32_e32 v7, v6
	v_mov_b32_e32 v8, v6
	;; [unrolled: 1-line block ×3, first 2 shown]
	ds_write_b128 v173, v[6:9]
.LBB20_146:
	s_andn2_saveexec_b32 s12, s12
	s_cbranch_execz .LBB20_148
; %bb.147:
	s_ashr_i32 s12, s9, 31
	s_mul_hi_u32 s13, s20, s9
	s_mul_i32 s12, s20, s12
	s_mul_i32 s14, s21, s9
	s_add_i32 s13, s13, s12
	s_mul_i32 s12, s20, s9
	s_add_i32 s13, s13, s14
	s_lshl_b64 s[12:13], s[12:13], 4
	v_add_co_u32 v7, vcc_lo, v171, s12
	v_add_co_ci_u32_e64 v8, null, s13, v172, vcc_lo
	global_load_dwordx4 v[7:10], v[7:8], off
	s_waitcnt vmcnt(0)
	ds_write2_b64 v173, v[7:8], v[9:10] offset1:1
.LBB20_148:                             ; =>This Inner Loop Header: Depth=1
	s_or_b32 exec_lo, exec_lo, s2
	s_cmp_eq_u32 s10, 0
	v_add_co_u32 v19, vcc_lo, v195, v169
	s_cselect_b32 s12, -1, 0
	s_cmp_lg_u32 s10, 0
	v_add_co_ci_u32_e64 v20, null, 0, v196, vcc_lo
	s_cselect_b32 s2, -1, 0
	s_waitcnt lgkmcnt(0)
	s_and_b32 vcc_lo, exec_lo, s2
	s_barrier
	buffer_gl0_inv
	s_cbranch_vccz .LBB20_156
; %bb.149:                              ;   in Loop: Header=BB20_148 Depth=1
	v_mov_b32_e32 v7, 0
	v_mov_b32_e32 v11, 0
	;; [unrolled: 1-line block ×6, first 2 shown]
	s_mov_b32 s13, exec_lo
	v_cmpx_gt_i32_e64 s10, v170
	s_cbranch_execz .LBB20_151
; %bb.150:                              ;   in Loop: Header=BB20_148 Depth=1
	global_load_dwordx4 v[11:14], v[19:20], off offset:-8
.LBB20_151:                             ;   in Loop: Header=BB20_148 Depth=1
	s_or_b32 exec_lo, exec_lo, s13
	v_mov_b32_e32 v9, 0
	v_mov_b32_e32 v10, 0
	s_mov_b32 s13, exec_lo
	v_cmpx_gt_i32_e64 s10, v180
	s_cbranch_execz .LBB20_153
; %bb.152:                              ;   in Loop: Header=BB20_148 Depth=1
	v_add_co_u32 v7, vcc_lo, v203, v169
	v_add_co_ci_u32_e64 v8, null, 0, v204, vcc_lo
	global_load_dwordx4 v[7:10], v[7:8], off offset:-8
.LBB20_153:                             ;   in Loop: Header=BB20_148 Depth=1
	s_or_b32 exec_lo, exec_lo, s13
	v_mov_b32_e32 v15, 0
	v_mov_b32_e32 v17, 0
	;; [unrolled: 1-line block ×4, first 2 shown]
	s_mov_b32 s13, exec_lo
	v_cmpx_gt_i32_e64 s10, v181
	s_cbranch_execz .LBB20_155
; %bb.154:                              ;   in Loop: Header=BB20_148 Depth=1
	v_add_co_u32 v15, vcc_lo, v199, v169
	v_add_co_ci_u32_e64 v16, null, 0, v200, vcc_lo
	global_load_dwordx4 v[15:18], v[15:16], off
.LBB20_155:                             ;   in Loop: Header=BB20_148 Depth=1
	s_or_b32 exec_lo, exec_lo, s13
	v_cmp_gt_i32_e64 s13, s10, v182
	s_branch .LBB20_158
.LBB20_156:                             ;   in Loop: Header=BB20_148 Depth=1
	s_mov_b32 s13, 0
                                        ; implicit-def: $vgpr17_vgpr18
                                        ; implicit-def: $vgpr9_vgpr10
                                        ; implicit-def: $vgpr13_vgpr14
	s_cbranch_execz .LBB20_158
; %bb.157:                              ;   in Loop: Header=BB20_148 Depth=1
	s_waitcnt vmcnt(0)
	v_add_co_u32 v7, vcc_lo, v203, v169
	v_add_co_ci_u32_e64 v8, null, 0, v204, vcc_lo
	v_add_co_u32 v15, vcc_lo, v199, v169
	v_add_co_ci_u32_e64 v16, null, 0, v200, vcc_lo
	global_load_dwordx4 v[11:14], v[19:20], off offset:-8
	global_load_dwordx4 v[7:10], v[7:8], off offset:-8
	global_load_dwordx4 v[15:18], v[15:16], off
	s_or_b32 s13, s13, exec_lo
.LBB20_158:                             ;   in Loop: Header=BB20_148 Depth=1
	v_mov_b32_e32 v19, 0
	v_mov_b32_e32 v21, 0
	;; [unrolled: 1-line block ×4, first 2 shown]
	s_and_saveexec_b32 s14, s13
	s_cbranch_execz .LBB20_160
; %bb.159:                              ;   in Loop: Header=BB20_148 Depth=1
	v_add_co_u32 v19, vcc_lo, v207, v169
	v_add_co_ci_u32_e64 v20, null, 0, v208, vcc_lo
	global_load_dwordx4 v[19:22], v[19:20], off offset:-8
.LBB20_160:                             ;   in Loop: Header=BB20_148 Depth=1
	s_or_b32 exec_lo, exec_lo, s14
	ds_read_b128 v[23:26], v175
	v_cndmask_b32_e64 v119, 0, 1, s2
	s_waitcnt vmcnt(0) lgkmcnt(0)
	v_mul_f64 v[27:28], v[13:14], v[25:26]
	v_mul_f64 v[29:30], v[13:14], v[23:24]
	;; [unrolled: 1-line block ×8, first 2 shown]
	v_fma_f64 v[39:40], v[11:12], v[23:24], v[27:28]
	v_fma_f64 v[41:42], v[11:12], v[25:26], -v[29:30]
	v_fma_f64 v[43:44], v[7:8], v[23:24], v[31:32]
	v_fma_f64 v[45:46], v[7:8], v[25:26], -v[33:34]
	v_fma_f64 v[47:48], v[15:16], v[23:24], v[35:36]
	v_fma_f64 v[49:50], v[15:16], v[25:26], -v[37:38]
	v_fma_f64 v[51:52], v[19:20], v[23:24], v[51:52]
	v_fma_f64 v[53:54], v[19:20], v[25:26], -v[53:54]
	ds_read_b128 v[35:38], v174
	ds_read_b128 v[31:34], v174 offset:16
	ds_read_b128 v[27:30], v174 offset:32
	;; [unrolled: 1-line block ×3, first 2 shown]
	ds_write_b128 v176, v[39:42]
	ds_write_b128 v176, v[43:46] offset:1072
	ds_write_b128 v176, v[47:50] offset:2144
	;; [unrolled: 1-line block ×3, first 2 shown]
	s_waitcnt lgkmcnt(0)
	s_barrier
	buffer_gl0_inv
	ds_read_b128 v[99:102], v177
	ds_read_b128 v[95:98], v177 offset:16
	ds_read_b128 v[91:94], v177 offset:32
	;; [unrolled: 1-line block ×3, first 2 shown]
	v_add_co_u32 v51, vcc_lo, v211, v169
	v_add_co_ci_u32_e64 v52, null, 0, v212, vcc_lo
	s_andn2_b32 vcc_lo, exec_lo, s2
	s_waitcnt lgkmcnt(0)
	s_barrier
	buffer_gl0_inv
	s_cbranch_vccnz .LBB20_168
; %bb.161:                              ;   in Loop: Header=BB20_148 Depth=1
	v_mov_b32_e32 v39, 0
	v_mov_b32_e32 v43, 0
	;; [unrolled: 1-line block ×6, first 2 shown]
	s_mov_b32 s2, exec_lo
	v_cmpx_gt_i32_e64 s10, v183
	s_cbranch_execz .LBB20_163
; %bb.162:                              ;   in Loop: Header=BB20_148 Depth=1
	global_load_dwordx4 v[43:46], v[51:52], off offset:-8
.LBB20_163:                             ;   in Loop: Header=BB20_148 Depth=1
	s_or_b32 exec_lo, exec_lo, s2
	v_mov_b32_e32 v41, 0
	v_mov_b32_e32 v42, 0
	s_mov_b32 s2, exec_lo
	v_cmpx_gt_i32_e64 s10, v184
	s_cbranch_execz .LBB20_165
; %bb.164:                              ;   in Loop: Header=BB20_148 Depth=1
	v_add_co_u32 v39, vcc_lo, v215, v169
	v_add_co_ci_u32_e64 v40, null, 0, v216, vcc_lo
	global_load_dwordx4 v[39:42], v[39:40], off offset:-8
.LBB20_165:                             ;   in Loop: Header=BB20_148 Depth=1
	s_or_b32 exec_lo, exec_lo, s2
	v_mov_b32_e32 v47, 0
	v_mov_b32_e32 v49, 0
	;; [unrolled: 1-line block ×4, first 2 shown]
	s_mov_b32 s2, exec_lo
	v_cmpx_gt_i32_e64 s10, v185
	s_cbranch_execz .LBB20_167
; %bb.166:                              ;   in Loop: Header=BB20_148 Depth=1
	v_add_co_u32 v47, vcc_lo, v219, v169
	v_add_co_ci_u32_e64 v48, null, 0, v220, vcc_lo
	global_load_dwordx4 v[47:50], v[47:48], off offset:-8
.LBB20_167:                             ;   in Loop: Header=BB20_148 Depth=1
	s_or_b32 exec_lo, exec_lo, s2
	v_cmp_gt_i32_e64 s2, s10, v186
	s_branch .LBB20_170
.LBB20_168:                             ;   in Loop: Header=BB20_148 Depth=1
	s_mov_b32 s2, 0
                                        ; implicit-def: $vgpr49_vgpr50
                                        ; implicit-def: $vgpr41_vgpr42
                                        ; implicit-def: $vgpr45_vgpr46
	s_cbranch_execz .LBB20_170
; %bb.169:                              ;   in Loop: Header=BB20_148 Depth=1
	s_waitcnt vmcnt(0)
	v_add_co_u32 v39, vcc_lo, v215, v169
	v_add_co_ci_u32_e64 v40, null, 0, v216, vcc_lo
	v_add_co_u32 v47, vcc_lo, v219, v169
	v_add_co_ci_u32_e64 v48, null, 0, v220, vcc_lo
	global_load_dwordx4 v[43:46], v[51:52], off offset:-8
	global_load_dwordx4 v[39:42], v[39:40], off offset:-8
	;; [unrolled: 1-line block ×3, first 2 shown]
	s_or_b32 s2, s2, exec_lo
.LBB20_170:                             ;   in Loop: Header=BB20_148 Depth=1
	v_mov_b32_e32 v51, 0
	v_mov_b32_e32 v53, 0
	;; [unrolled: 1-line block ×4, first 2 shown]
	s_and_saveexec_b32 s13, s2
	s_cbranch_execz .LBB20_172
; %bb.171:                              ;   in Loop: Header=BB20_148 Depth=1
	v_add_co_u32 v51, vcc_lo, v223, v169
	v_add_co_ci_u32_e64 v52, null, 0, v224, vcc_lo
	global_load_dwordx4 v[51:54], v[51:52], off offset:-8
.LBB20_172:                             ;   in Loop: Header=BB20_148 Depth=1
	s_or_b32 exec_lo, exec_lo, s13
	ds_read_b128 v[55:58], v175
	v_cmp_ne_u32_e32 vcc_lo, 1, v119
	s_and_b32 vcc_lo, exec_lo, vcc_lo
	s_waitcnt vmcnt(0) lgkmcnt(0)
	v_mul_f64 v[59:60], v[45:46], v[57:58]
	v_mul_f64 v[61:62], v[45:46], v[55:56]
	;; [unrolled: 1-line block ×8, first 2 shown]
	v_fma_f64 v[71:72], v[43:44], v[55:56], v[59:60]
	v_fma_f64 v[73:74], v[43:44], v[57:58], -v[61:62]
	v_fma_f64 v[75:76], v[39:40], v[55:56], v[63:64]
	v_fma_f64 v[77:78], v[39:40], v[57:58], -v[65:66]
	;; [unrolled: 2-line block ×4, first 2 shown]
	ds_read_b128 v[67:70], v174 offset:256
	ds_read_b128 v[63:66], v174 offset:272
	;; [unrolled: 1-line block ×4, first 2 shown]
	ds_write_b128 v176, v[71:74]
	ds_write_b128 v176, v[75:78] offset:1072
	ds_write_b128 v176, v[79:82] offset:2144
	;; [unrolled: 1-line block ×3, first 2 shown]
	s_waitcnt lgkmcnt(0)
	s_barrier
	buffer_gl0_inv
	ds_read_b128 v[147:150], v177
	ds_read_b128 v[143:146], v177 offset:16
	ds_read_b128 v[139:142], v177 offset:32
	;; [unrolled: 1-line block ×3, first 2 shown]
	v_add_co_u32 v87, s2, v225, v169
	v_add_co_ci_u32_e64 v88, null, 0, v226, s2
	s_waitcnt lgkmcnt(0)
	s_barrier
	buffer_gl0_inv
	s_cbranch_vccnz .LBB20_180
; %bb.173:                              ;   in Loop: Header=BB20_148 Depth=1
	v_mov_b32_e32 v71, 0
	v_mov_b32_e32 v75, 0
	;; [unrolled: 1-line block ×6, first 2 shown]
	s_mov_b32 s2, exec_lo
	v_cmpx_gt_i32_e64 s10, v187
	s_cbranch_execz .LBB20_175
; %bb.174:                              ;   in Loop: Header=BB20_148 Depth=1
	global_load_dwordx4 v[75:78], v[87:88], off offset:-8
.LBB20_175:                             ;   in Loop: Header=BB20_148 Depth=1
	s_or_b32 exec_lo, exec_lo, s2
	v_mov_b32_e32 v73, 0
	v_mov_b32_e32 v74, 0
	s_mov_b32 s2, exec_lo
	v_cmpx_gt_i32_e64 s10, v188
	s_cbranch_execz .LBB20_177
; %bb.176:                              ;   in Loop: Header=BB20_148 Depth=1
	v_add_co_u32 v71, vcc_lo, v221, v169
	v_add_co_ci_u32_e64 v72, null, 0, v222, vcc_lo
	global_load_dwordx4 v[71:74], v[71:72], off
.LBB20_177:                             ;   in Loop: Header=BB20_148 Depth=1
	s_or_b32 exec_lo, exec_lo, s2
	v_mov_b32_e32 v79, 0
	v_mov_b32_e32 v81, 0
	;; [unrolled: 1-line block ×4, first 2 shown]
	s_mov_b32 s2, exec_lo
	v_cmpx_gt_i32_e64 s10, v189
	s_cbranch_execz .LBB20_179
; %bb.178:                              ;   in Loop: Header=BB20_148 Depth=1
	v_add_co_u32 v79, vcc_lo, v217, v169
	v_add_co_ci_u32_e64 v80, null, 0, v218, vcc_lo
	global_load_dwordx4 v[79:82], v[79:80], off
.LBB20_179:                             ;   in Loop: Header=BB20_148 Depth=1
	s_or_b32 exec_lo, exec_lo, s2
	v_cmp_gt_i32_e64 s2, s10, v190
	s_branch .LBB20_182
.LBB20_180:                             ;   in Loop: Header=BB20_148 Depth=1
	s_mov_b32 s2, 0
                                        ; implicit-def: $vgpr81_vgpr82
                                        ; implicit-def: $vgpr73_vgpr74
                                        ; implicit-def: $vgpr77_vgpr78
	s_cbranch_execz .LBB20_182
; %bb.181:                              ;   in Loop: Header=BB20_148 Depth=1
	s_waitcnt vmcnt(0)
	v_add_co_u32 v71, vcc_lo, v221, v169
	v_add_co_ci_u32_e64 v72, null, 0, v222, vcc_lo
	v_add_co_u32 v79, vcc_lo, v217, v169
	v_add_co_ci_u32_e64 v80, null, 0, v218, vcc_lo
	global_load_dwordx4 v[75:78], v[87:88], off offset:-8
	global_load_dwordx4 v[71:74], v[71:72], off
	global_load_dwordx4 v[79:82], v[79:80], off
	s_or_b32 s2, s2, exec_lo
.LBB20_182:                             ;   in Loop: Header=BB20_148 Depth=1
	v_mov_b32_e32 v87, 0
	v_mov_b32_e32 v89, 0
	;; [unrolled: 1-line block ×4, first 2 shown]
	s_and_saveexec_b32 s13, s2
	s_cbranch_execz .LBB20_184
; %bb.183:                              ;   in Loop: Header=BB20_148 Depth=1
	v_add_co_u32 v87, vcc_lo, v213, v169
	v_add_co_ci_u32_e64 v88, null, 0, v214, vcc_lo
	global_load_dwordx4 v[87:90], v[87:88], off
.LBB20_184:                             ;   in Loop: Header=BB20_148 Depth=1
	s_or_b32 exec_lo, exec_lo, s13
	ds_read_b128 v[103:106], v175
	v_cmp_ne_u32_e32 vcc_lo, 1, v119
	s_and_b32 vcc_lo, exec_lo, vcc_lo
	s_waitcnt vmcnt(0) lgkmcnt(0)
	v_mul_f64 v[107:108], v[77:78], v[105:106]
	v_mul_f64 v[109:110], v[77:78], v[103:104]
	;; [unrolled: 1-line block ×8, first 2 shown]
	v_fma_f64 v[120:121], v[75:76], v[103:104], v[107:108]
	v_fma_f64 v[122:123], v[75:76], v[105:106], -v[109:110]
	v_fma_f64 v[124:125], v[71:72], v[103:104], v[111:112]
	v_fma_f64 v[126:127], v[71:72], v[105:106], -v[113:114]
	;; [unrolled: 2-line block ×4, first 2 shown]
	ds_read_b128 v[115:118], v174 offset:512
	ds_read_b128 v[111:114], v174 offset:528
	;; [unrolled: 1-line block ×4, first 2 shown]
	ds_write_b128 v176, v[120:123]
	ds_write_b128 v176, v[124:127] offset:1072
	ds_write_b128 v176, v[128:131] offset:2144
	;; [unrolled: 1-line block ×3, first 2 shown]
	s_waitcnt lgkmcnt(0)
	s_barrier
	buffer_gl0_inv
	ds_read_b128 v[163:166], v177
	ds_read_b128 v[159:162], v177 offset:16
	ds_read_b128 v[155:158], v177 offset:32
	;; [unrolled: 1-line block ×3, first 2 shown]
	v_add_co_u32 v131, s2, v209, v169
	v_add_co_ci_u32_e64 v132, null, 0, v210, s2
	s_waitcnt lgkmcnt(0)
	s_barrier
	buffer_gl0_inv
	s_cbranch_vccnz .LBB20_192
; %bb.185:                              ;   in Loop: Header=BB20_148 Depth=1
	v_mov_b32_e32 v119, 0
	v_mov_b32_e32 v123, 0
	v_mov_b32_e32 v125, 0
	v_mov_b32_e32 v120, 0
	v_mov_b32_e32 v124, 0
	v_mov_b32_e32 v126, 0
	s_mov_b32 s2, exec_lo
	v_cmpx_gt_i32_e64 s10, v191
	s_cbranch_execz .LBB20_187
; %bb.186:                              ;   in Loop: Header=BB20_148 Depth=1
	global_load_dwordx4 v[123:126], v[131:132], off
.LBB20_187:                             ;   in Loop: Header=BB20_148 Depth=1
	s_or_b32 exec_lo, exec_lo, s2
	v_mov_b32_e32 v121, 0
	v_mov_b32_e32 v122, 0
	s_mov_b32 s2, exec_lo
	v_cmpx_gt_i32_e64 s10, v192
	s_cbranch_execz .LBB20_189
; %bb.188:                              ;   in Loop: Header=BB20_148 Depth=1
	v_add_co_u32 v119, vcc_lo, v205, v169
	v_add_co_ci_u32_e64 v120, null, 0, v206, vcc_lo
	global_load_dwordx4 v[119:122], v[119:120], off
.LBB20_189:                             ;   in Loop: Header=BB20_148 Depth=1
	s_or_b32 exec_lo, exec_lo, s2
	v_mov_b32_e32 v127, 0
	v_mov_b32_e32 v129, 0
	v_mov_b32_e32 v128, 0
	v_mov_b32_e32 v130, 0
	s_mov_b32 s2, exec_lo
	v_cmpx_gt_i32_e64 s10, v193
	s_cbranch_execz .LBB20_191
; %bb.190:                              ;   in Loop: Header=BB20_148 Depth=1
	v_add_co_u32 v127, vcc_lo, v201, v169
	v_add_co_ci_u32_e64 v128, null, 0, v202, vcc_lo
	global_load_dwordx4 v[127:130], v[127:128], off
.LBB20_191:                             ;   in Loop: Header=BB20_148 Depth=1
	s_or_b32 exec_lo, exec_lo, s2
	v_cmp_gt_i32_e64 s2, s10, v194
	s_branch .LBB20_194
.LBB20_192:                             ;   in Loop: Header=BB20_148 Depth=1
	s_mov_b32 s2, 0
                                        ; implicit-def: $vgpr129_vgpr130
                                        ; implicit-def: $vgpr121_vgpr122
                                        ; implicit-def: $vgpr125_vgpr126
	s_cbranch_execz .LBB20_194
; %bb.193:                              ;   in Loop: Header=BB20_148 Depth=1
	s_waitcnt vmcnt(0)
	v_add_co_u32 v119, vcc_lo, v205, v169
	v_add_co_ci_u32_e64 v120, null, 0, v206, vcc_lo
	v_add_co_u32 v127, vcc_lo, v201, v169
	v_add_co_ci_u32_e64 v128, null, 0, v202, vcc_lo
	global_load_dwordx4 v[123:126], v[131:132], off
	global_load_dwordx4 v[119:122], v[119:120], off
	;; [unrolled: 1-line block ×3, first 2 shown]
	s_or_b32 s2, s2, exec_lo
.LBB20_194:                             ;   in Loop: Header=BB20_148 Depth=1
	v_mov_b32_e32 v131, 0
	v_mov_b32_e32 v133, 0
	;; [unrolled: 1-line block ×4, first 2 shown]
	s_and_saveexec_b32 s13, s2
	s_cbranch_execz .LBB20_196
; %bb.195:                              ;   in Loop: Header=BB20_148 Depth=1
	v_add_co_u32 v131, vcc_lo, v197, v169
	v_add_co_ci_u32_e64 v132, null, 0, v198, vcc_lo
	global_load_dwordx4 v[131:134], v[131:132], off
.LBB20_196:                             ;   in Loop: Header=BB20_148 Depth=1
	s_or_b32 exec_lo, exec_lo, s13
	ds_read_b128 v[228:231], v175
	v_add_f64 v[163:164], v[163:164], 0
	v_add_f64 v[165:166], v[165:166], 0
	;; [unrolled: 1-line block ×6, first 2 shown]
	v_cmp_gt_i32_e32 vcc_lo, s10, v0
	s_or_b32 s2, s12, vcc_lo
	s_and_b32 s10, s1, s2
	s_waitcnt vmcnt(0) lgkmcnt(0)
	v_mul_f64 v[232:233], v[125:126], v[230:231]
	v_mul_f64 v[234:235], v[125:126], v[228:229]
	;; [unrolled: 1-line block ×8, first 2 shown]
	v_add_f64 v[159:160], v[163:164], v[159:160]
	v_add_f64 v[161:162], v[165:166], v[161:162]
	v_add_f64 v[143:144], v[147:148], v[143:144]
	v_add_f64 v[145:146], v[149:150], v[145:146]
	v_add_f64 v[95:96], v[99:100], v[95:96]
	v_add_f64 v[97:98], v[101:102], v[97:98]
	v_fma_f64 v[232:233], v[123:124], v[228:229], v[232:233]
	v_fma_f64 v[234:235], v[123:124], v[230:231], -v[234:235]
	v_fma_f64 v[236:237], v[119:120], v[228:229], v[236:237]
	v_fma_f64 v[238:239], v[119:120], v[230:231], -v[238:239]
	;; [unrolled: 2-line block ×4, first 2 shown]
	v_add_f64 v[147:148], v[159:160], v[155:156]
	v_add_f64 v[149:150], v[161:162], v[157:158]
	;; [unrolled: 1-line block ×6, first 2 shown]
	ds_write_b128 v176, v[232:235]
	ds_write_b128 v176, v[236:239] offset:1072
	ds_write_b128 v176, v[240:243] offset:2144
	ds_read_b128 v[139:142], v174 offset:768
	ds_read_b128 v[99:102], v174 offset:784
	ds_write_b128 v176, v[228:231] offset:3216
	v_add_f64 v[143:144], v[147:148], v[151:152]
	v_add_f64 v[145:146], v[149:150], v[153:154]
	ds_read_b128 v[95:98], v174 offset:800
	ds_read_b128 v[91:94], v174 offset:816
	s_waitcnt lgkmcnt(0)
	s_barrier
	buffer_gl0_inv
	ds_read_b128 v[147:150], v177
	ds_read_b128 v[151:154], v177 offset:16
	v_add_f64 v[135:136], v[155:156], v[135:136]
	v_add_f64 v[137:138], v[157:158], v[137:138]
	v_add_f64 v[83:84], v[159:160], v[83:84]
	v_add_f64 v[85:86], v[161:162], v[85:86]
	s_waitcnt lgkmcnt(1)
	v_add_f64 v[147:148], v[147:148], 0
	v_add_f64 v[149:150], v[149:150], 0
	s_waitcnt lgkmcnt(0)
	v_add_f64 v[155:156], v[147:148], v[151:152]
	v_add_f64 v[157:158], v[149:150], v[153:154]
	ds_read_b128 v[147:150], v177 offset:32
	ds_read_b128 v[151:154], v177 offset:48
	s_waitcnt lgkmcnt(0)
	s_barrier
	buffer_gl0_inv
	v_add_f64 v[147:148], v[155:156], v[147:148]
	v_add_f64 v[149:150], v[157:158], v[149:150]
	;; [unrolled: 1-line block ×4, first 2 shown]
	ds_write_b128 v227, v[83:86]
	ds_write_b128 v227, v[135:138] offset:256
	ds_write_b128 v227, v[143:146] offset:512
	;; [unrolled: 1-line block ×3, first 2 shown]
	s_waitcnt lgkmcnt(0)
	s_barrier
	buffer_gl0_inv
	s_and_saveexec_b32 s2, s10
	s_cbranch_execz .LBB20_198
; %bb.197:                              ;   in Loop: Header=BB20_148 Depth=1
	ds_read_b128 v[83:86], v178
	ds_read_b128 v[135:138], v178 offset:16
	s_waitcnt lgkmcnt(0)
	v_add_f64 v[143:144], v[135:136], v[83:84]
	v_add_f64 v[145:146], v[137:138], v[85:86]
	ds_read_b128 v[83:86], v178 offset:32
	ds_read_b128 v[135:138], v178 offset:48
	s_waitcnt lgkmcnt(1)
	v_add_f64 v[83:84], v[143:144], v[83:84]
	v_add_f64 v[85:86], v[145:146], v[85:86]
	s_waitcnt lgkmcnt(0)
	v_add_f64 v[143:144], v[83:84], v[135:136]
	v_add_f64 v[145:146], v[85:86], v[137:138]
	ds_read_b128 v[83:86], v178 offset:64
	ds_read_b128 v[135:138], v178 offset:80
	s_waitcnt lgkmcnt(1)
	v_add_f64 v[83:84], v[143:144], v[83:84]
	v_add_f64 v[85:86], v[145:146], v[85:86]
	;; [unrolled: 8-line block ×6, first 2 shown]
	s_waitcnt lgkmcnt(0)
	v_add_f64 v[143:144], v[83:84], v[135:136]
	v_add_f64 v[145:146], v[85:86], v[137:138]
	ds_read_b128 v[83:86], v178 offset:224
	ds_read_b128 v[135:138], v179
	s_waitcnt lgkmcnt(1)
	v_add_f64 v[83:84], v[143:144], v[83:84]
	v_add_f64 v[85:86], v[145:146], v[85:86]
	v_add_nc_u32_e32 v143, s9, v0
	v_ashrrev_i32_e32 v144, 31, v143
	s_waitcnt lgkmcnt(0)
	v_add_f64 v[83:84], v[83:84], v[135:136]
	v_add_f64 v[85:86], v[85:86], v[137:138]
	v_lshlrev_b64 v[135:136], 4, v[143:144]
	v_add_co_u32 v135, vcc_lo, s3, v135
	v_add_co_ci_u32_e64 v136, null, s7, v136, vcc_lo
	global_store_dwordx4 v[135:136], v[83:86], off
.LBB20_198:                             ;   in Loop: Header=BB20_148 Depth=1
	s_or_b32 exec_lo, exec_lo, s2
	v_mul_f64 v[83:84], v[13:14], v[37:38]
	v_mul_f64 v[37:38], v[11:12], v[37:38]
	;; [unrolled: 1-line block ×4, first 2 shown]
	v_add_co_u32 v195, vcc_lo, v195, s4
	v_add_co_ci_u32_e64 v196, null, s5, v196, vcc_lo
	v_add_co_u32 v197, vcc_lo, v197, s4
	v_add_co_ci_u32_e64 v198, null, s5, v198, vcc_lo
	;; [unrolled: 2-line block ×4, first 2 shown]
	v_add_co_u32 v203, vcc_lo, v203, s4
	v_fma_f64 v[11:12], v[11:12], v[35:36], -v[83:84]
	v_fma_f64 v[13:14], v[13:14], v[35:36], v[37:38]
	v_mul_f64 v[35:36], v[17:18], v[29:30]
	v_mul_f64 v[29:30], v[15:16], v[29:30]
	v_fma_f64 v[7:8], v[7:8], v[31:32], -v[85:86]
	v_fma_f64 v[9:10], v[9:10], v[31:32], v[33:34]
	v_add_co_ci_u32_e64 v204, null, s5, v204, vcc_lo
	v_add_co_u32 v205, vcc_lo, v205, s4
	v_add_co_ci_u32_e64 v206, null, s5, v206, vcc_lo
	v_add_co_u32 v207, vcc_lo, v207, s4
	;; [unrolled: 2-line block ×4, first 2 shown]
	v_add_f64 v[2:3], v[2:3], v[11:12]
	v_add_f64 v[4:5], v[4:5], v[13:14]
	v_mul_f64 v[11:12], v[21:22], v[25:26]
	v_mul_f64 v[13:14], v[19:20], v[25:26]
	v_fma_f64 v[15:16], v[15:16], v[27:28], -v[35:36]
	v_fma_f64 v[17:18], v[17:18], v[27:28], v[29:30]
	v_add_co_ci_u32_e64 v212, null, s5, v212, vcc_lo
	v_add_co_u32 v213, vcc_lo, v213, s4
	v_add_co_ci_u32_e64 v214, null, s5, v214, vcc_lo
	v_add_co_u32 v215, vcc_lo, v215, s4
	;; [unrolled: 2-line block ×4, first 2 shown]
	v_add_f64 v[2:3], v[2:3], v[7:8]
	v_add_f64 v[4:5], v[4:5], v[9:10]
	v_mul_f64 v[7:8], v[45:46], v[69:70]
	v_mul_f64 v[9:10], v[43:44], v[69:70]
	v_fma_f64 v[11:12], v[19:20], v[23:24], -v[11:12]
	v_fma_f64 v[13:14], v[21:22], v[23:24], v[13:14]
	v_add_co_ci_u32_e64 v220, null, s5, v220, vcc_lo
	v_add_co_u32 v221, vcc_lo, v221, s4
	v_add_co_ci_u32_e64 v222, null, s5, v222, vcc_lo
	v_add_co_u32 v223, vcc_lo, v223, s4
	;; [unrolled: 2-line block ×3, first 2 shown]
	v_add_co_ci_u32_e64 v226, null, s5, v226, vcc_lo
	s_add_i32 s2, s6, 1
	s_add_i32 s6, s6, 2
	v_add_f64 v[2:3], v[2:3], v[15:16]
	v_add_f64 v[4:5], v[4:5], v[17:18]
	v_mul_f64 v[15:16], v[41:42], v[65:66]
	v_mul_f64 v[17:18], v[39:40], v[65:66]
	v_fma_f64 v[7:8], v[43:44], v[67:68], -v[7:8]
	v_fma_f64 v[9:10], v[45:46], v[67:68], v[9:10]
	s_add_i32 s9, s9, 64
	s_cmp_ge_u32 s6, s22
	s_waitcnt_vscnt null, 0x0
	s_barrier
	buffer_gl0_inv
	v_add_f64 v[2:3], v[2:3], v[11:12]
	v_add_f64 v[4:5], v[4:5], v[13:14]
	v_mul_f64 v[11:12], v[49:50], v[61:62]
	v_mul_f64 v[13:14], v[47:48], v[61:62]
	v_fma_f64 v[15:16], v[39:40], v[63:64], -v[15:16]
	v_fma_f64 v[17:18], v[41:42], v[63:64], v[17:18]
	v_add_f64 v[2:3], v[2:3], v[7:8]
	v_add_f64 v[4:5], v[4:5], v[9:10]
	v_mul_f64 v[7:8], v[53:54], v[57:58]
	v_mul_f64 v[9:10], v[51:52], v[57:58]
	v_fma_f64 v[11:12], v[47:48], v[59:60], -v[11:12]
	v_fma_f64 v[13:14], v[49:50], v[59:60], v[13:14]
	;; [unrolled: 6-line block ×10, first 2 shown]
	v_add_f64 v[2:3], v[2:3], v[7:8]
	v_add_f64 v[4:5], v[4:5], v[9:10]
	v_fma_f64 v[7:8], v[131:132], v[91:92], -v[11:12]
	v_fma_f64 v[9:10], v[133:134], v[91:92], v[13:14]
	v_add_f64 v[2:3], v[2:3], v[15:16]
	v_add_f64 v[4:5], v[4:5], v[17:18]
	;; [unrolled: 1-line block ×4, first 2 shown]
	s_cbranch_scc1 .LBB20_200
; %bb.199:                              ;   in Loop: Header=BB20_148 Depth=1
	s_mov_b32 s6, s2
	s_cmp_eq_u32 s8, s6
	s_cselect_b32 s10, s23, 0
	s_and_saveexec_b32 s2, s0
	s_cbranch_execnz .LBB20_144
	s_branch .LBB20_148
.LBB20_200:
	v_cmp_gt_i32_e32 vcc_lo, s16, v0
	v_mad_u32_u24 v1, 0x430, v1, v169
	s_or_b32 s1, s11, vcc_lo
	ds_write_b128 v1, v[2:5]
	s_and_b32 s0, s0, s1
	s_waitcnt lgkmcnt(0)
	s_barrier
	buffer_gl0_inv
	s_and_saveexec_b32 s1, s0
	s_cbranch_execz .LBB20_202
; %bb.201:
	ds_read_b128 v[0:3], v169 offset:1072
	ds_read_b128 v[4:7], v169
	s_waitcnt lgkmcnt(0)
	v_add_f64 v[8:9], v[0:1], v[4:5]
	v_add_f64 v[10:11], v[2:3], v[6:7]
	ds_read_b128 v[0:3], v169 offset:2144
	ds_read_b128 v[4:7], v169 offset:3216
	s_waitcnt lgkmcnt(1)
	v_add_f64 v[0:1], v[8:9], v[0:1]
	v_add_f64 v[2:3], v[10:11], v[2:3]
	s_waitcnt lgkmcnt(0)
	v_add_f64 v[0:1], v[0:1], v[4:5]
	v_add_f64 v[2:3], v[2:3], v[6:7]
	v_lshlrev_b64 v[4:5], 4, v[167:168]
	v_add_co_u32 v4, vcc_lo, s3, v4
	v_add_co_ci_u32_e64 v5, null, s7, v5, vcc_lo
	global_store_dwordx4 v[4:5], v[0:3], off
.LBB20_202:
	s_endpgm
	.section	.rodata,"a",@progbits
	.p2align	6, 0x0
	.amdhsa_kernel _ZL26rocblas_hemvn_kernel_upperILb1ELi64ELi4ELi33ELi32ELi16El19rocblas_complex_numIdEPKS1_PS1_EviT6_lT7_lT5_lS6_lS7_lS5_lT8_i
		.amdhsa_group_segment_fixed_size 19200
		.amdhsa_private_segment_fixed_size 0
		.amdhsa_kernarg_size 392
		.amdhsa_user_sgpr_count 6
		.amdhsa_user_sgpr_private_segment_buffer 1
		.amdhsa_user_sgpr_dispatch_ptr 0
		.amdhsa_user_sgpr_queue_ptr 0
		.amdhsa_user_sgpr_kernarg_segment_ptr 1
		.amdhsa_user_sgpr_dispatch_id 0
		.amdhsa_user_sgpr_flat_scratch_init 0
		.amdhsa_user_sgpr_private_segment_size 0
		.amdhsa_wavefront_size32 1
		.amdhsa_uses_dynamic_stack 0
		.amdhsa_system_sgpr_private_segment_wavefront_offset 0
		.amdhsa_system_sgpr_workgroup_id_x 1
		.amdhsa_system_sgpr_workgroup_id_y 0
		.amdhsa_system_sgpr_workgroup_id_z 1
		.amdhsa_system_sgpr_workgroup_info 0
		.amdhsa_system_vgpr_workitem_id 1
		.amdhsa_next_free_vgpr 248
		.amdhsa_next_free_sgpr 30
		.amdhsa_reserve_vcc 1
		.amdhsa_reserve_flat_scratch 0
		.amdhsa_float_round_mode_32 0
		.amdhsa_float_round_mode_16_64 0
		.amdhsa_float_denorm_mode_32 3
		.amdhsa_float_denorm_mode_16_64 3
		.amdhsa_dx10_clamp 1
		.amdhsa_ieee_mode 1
		.amdhsa_fp16_overflow 0
		.amdhsa_workgroup_processor_mode 1
		.amdhsa_memory_ordered 1
		.amdhsa_forward_progress 1
		.amdhsa_shared_vgpr_count 0
		.amdhsa_exception_fp_ieee_invalid_op 0
		.amdhsa_exception_fp_denorm_src 0
		.amdhsa_exception_fp_ieee_div_zero 0
		.amdhsa_exception_fp_ieee_overflow 0
		.amdhsa_exception_fp_ieee_underflow 0
		.amdhsa_exception_fp_ieee_inexact 0
		.amdhsa_exception_int_div_zero 0
	.end_amdhsa_kernel
	.section	.text._ZL26rocblas_hemvn_kernel_upperILb1ELi64ELi4ELi33ELi32ELi16El19rocblas_complex_numIdEPKS1_PS1_EviT6_lT7_lT5_lS6_lS7_lS5_lT8_i,"axG",@progbits,_ZL26rocblas_hemvn_kernel_upperILb1ELi64ELi4ELi33ELi32ELi16El19rocblas_complex_numIdEPKS1_PS1_EviT6_lT7_lT5_lS6_lS7_lS5_lT8_i,comdat
.Lfunc_end20:
	.size	_ZL26rocblas_hemvn_kernel_upperILb1ELi64ELi4ELi33ELi32ELi16El19rocblas_complex_numIdEPKS1_PS1_EviT6_lT7_lT5_lS6_lS7_lS5_lT8_i, .Lfunc_end20-_ZL26rocblas_hemvn_kernel_upperILb1ELi64ELi4ELi33ELi32ELi16El19rocblas_complex_numIdEPKS1_PS1_EviT6_lT7_lT5_lS6_lS7_lS5_lT8_i
                                        ; -- End function
	.set _ZL26rocblas_hemvn_kernel_upperILb1ELi64ELi4ELi33ELi32ELi16El19rocblas_complex_numIdEPKS1_PS1_EviT6_lT7_lT5_lS6_lS7_lS5_lT8_i.num_vgpr, 248
	.set _ZL26rocblas_hemvn_kernel_upperILb1ELi64ELi4ELi33ELi32ELi16El19rocblas_complex_numIdEPKS1_PS1_EviT6_lT7_lT5_lS6_lS7_lS5_lT8_i.num_agpr, 0
	.set _ZL26rocblas_hemvn_kernel_upperILb1ELi64ELi4ELi33ELi32ELi16El19rocblas_complex_numIdEPKS1_PS1_EviT6_lT7_lT5_lS6_lS7_lS5_lT8_i.numbered_sgpr, 30
	.set _ZL26rocblas_hemvn_kernel_upperILb1ELi64ELi4ELi33ELi32ELi16El19rocblas_complex_numIdEPKS1_PS1_EviT6_lT7_lT5_lS6_lS7_lS5_lT8_i.num_named_barrier, 0
	.set _ZL26rocblas_hemvn_kernel_upperILb1ELi64ELi4ELi33ELi32ELi16El19rocblas_complex_numIdEPKS1_PS1_EviT6_lT7_lT5_lS6_lS7_lS5_lT8_i.private_seg_size, 0
	.set _ZL26rocblas_hemvn_kernel_upperILb1ELi64ELi4ELi33ELi32ELi16El19rocblas_complex_numIdEPKS1_PS1_EviT6_lT7_lT5_lS6_lS7_lS5_lT8_i.uses_vcc, 1
	.set _ZL26rocblas_hemvn_kernel_upperILb1ELi64ELi4ELi33ELi32ELi16El19rocblas_complex_numIdEPKS1_PS1_EviT6_lT7_lT5_lS6_lS7_lS5_lT8_i.uses_flat_scratch, 0
	.set _ZL26rocblas_hemvn_kernel_upperILb1ELi64ELi4ELi33ELi32ELi16El19rocblas_complex_numIdEPKS1_PS1_EviT6_lT7_lT5_lS6_lS7_lS5_lT8_i.has_dyn_sized_stack, 0
	.set _ZL26rocblas_hemvn_kernel_upperILb1ELi64ELi4ELi33ELi32ELi16El19rocblas_complex_numIdEPKS1_PS1_EviT6_lT7_lT5_lS6_lS7_lS5_lT8_i.has_recursion, 0
	.set _ZL26rocblas_hemvn_kernel_upperILb1ELi64ELi4ELi33ELi32ELi16El19rocblas_complex_numIdEPKS1_PS1_EviT6_lT7_lT5_lS6_lS7_lS5_lT8_i.has_indirect_call, 0
	.section	.AMDGPU.csdata,"",@progbits
; Kernel info:
; codeLenInByte = 12440
; TotalNumSgprs: 32
; NumVgprs: 248
; ScratchSize: 0
; MemoryBound: 1
; FloatMode: 240
; IeeeMode: 1
; LDSByteSize: 19200 bytes/workgroup (compile time only)
; SGPRBlocks: 0
; VGPRBlocks: 30
; NumSGPRsForWavesPerEU: 32
; NumVGPRsForWavesPerEU: 248
; Occupancy: 4
; WaveLimiterHint : 0
; COMPUTE_PGM_RSRC2:SCRATCH_EN: 0
; COMPUTE_PGM_RSRC2:USER_SGPR: 6
; COMPUTE_PGM_RSRC2:TRAP_HANDLER: 0
; COMPUTE_PGM_RSRC2:TGID_X_EN: 1
; COMPUTE_PGM_RSRC2:TGID_Y_EN: 0
; COMPUTE_PGM_RSRC2:TGID_Z_EN: 1
; COMPUTE_PGM_RSRC2:TIDIG_COMP_CNT: 1
	.section	.text._ZL36rocblas_hemvn_kernel_upper_block_sumILi64El19rocblas_complex_numIdEPS1_S1_EviT1_lS3_lT2_lT0_lPT3_i,"axG",@progbits,_ZL36rocblas_hemvn_kernel_upper_block_sumILi64El19rocblas_complex_numIdEPS1_S1_EviT1_lS3_lT2_lT0_lPT3_i,comdat
	.globl	_ZL36rocblas_hemvn_kernel_upper_block_sumILi64El19rocblas_complex_numIdEPS1_S1_EviT1_lS3_lT2_lT0_lPT3_i ; -- Begin function _ZL36rocblas_hemvn_kernel_upper_block_sumILi64El19rocblas_complex_numIdEPS1_S1_EviT1_lS3_lT2_lT0_lPT3_i
	.p2align	8
	.type	_ZL36rocblas_hemvn_kernel_upper_block_sumILi64El19rocblas_complex_numIdEPS1_S1_EviT1_lS3_lT2_lT0_lPT3_i,@function
_ZL36rocblas_hemvn_kernel_upper_block_sumILi64El19rocblas_complex_numIdEPS1_S1_EviT1_lS3_lT2_lT0_lPT3_i: ; @_ZL36rocblas_hemvn_kernel_upper_block_sumILi64El19rocblas_complex_numIdEPS1_S1_EviT1_lS3_lT2_lT0_lPT3_i
; %bb.0:
	s_clause 0x1
	s_load_dwordx4 s[20:23], s[4:5], 0x8
	s_load_dwordx4 s[16:19], s[4:5], 0x20
	s_waitcnt lgkmcnt(0)
	v_cmp_neq_f64_e64 s0, s[20:21], 0
	v_cmp_neq_f64_e64 s1, s[22:23], 0
	s_or_b32 s0, s0, s1
	s_mov_b32 s1, -1
	s_and_b32 vcc_lo, exec_lo, s0
	s_cbranch_vccnz .LBB21_2
; %bb.1:
	v_cmp_neq_f64_e64 s1, s[16:17], 1.0
	v_cmp_neq_f64_e64 s2, s[18:19], 0
	s_or_b32 s1, s1, s2
.LBB21_2:
	s_andn2_b32 vcc_lo, exec_lo, s1
	s_cbranch_vccnz .LBB21_22
; %bb.3:
	s_clause 0x2
	s_load_dwordx8 s[8:15], s[4:5], 0x40
	s_load_dwordx2 s[24:25], s[4:5], 0x38
	s_load_dword s2, s[4:5], 0x0
	s_xor_b32 s3, s0, -1
	v_lshl_or_b32 v4, s6, 6, v0
	s_waitcnt lgkmcnt(0)
	s_mul_i32 s1, s13, s7
	s_mul_hi_u32 s13, s12, s7
	s_mul_i32 s0, s12, s7
	s_add_i32 s1, s13, s1
	s_lshl_b64 s[0:1], s[0:1], 4
	s_add_u32 s12, s24, s0
	s_addc_u32 s1, s25, s1
	s_lshl_b64 s[8:9], s[8:9], 4
	v_cmp_gt_i32_e64 s0, s2, v4
	s_add_u32 s8, s12, s8
	s_addc_u32 s9, s1, s9
	s_andn2_b32 vcc_lo, exec_lo, s3
	s_mov_b32 s12, 0
	s_cbranch_vccnz .LBB21_8
; %bb.4:
	s_mov_b32 s1, 0
                                        ; implicit-def: $vgpr2_vgpr3
                                        ; implicit-def: $vgpr5_vgpr6
	s_and_saveexec_b32 s3, s0
	s_cbranch_execz .LBB21_9
; %bb.5:
	v_cmp_neq_f64_e64 s0, s[16:17], 0
	v_cmp_neq_f64_e64 s12, s[18:19], 0
	v_ashrrev_i32_e32 v0, 31, v4
	v_mul_lo_u32 v7, s11, v4
	v_mad_u64_u32 v[5:6], null, s10, v4, 0
	v_mov_b32_e32 v2, 0
	v_mul_lo_u32 v8, s10, v0
	v_mov_b32_e32 v0, 0
	v_mov_b32_e32 v3, 0
	;; [unrolled: 1-line block ×3, first 2 shown]
	v_add3_u32 v6, v6, v8, v7
	s_or_b32 s0, s0, s12
	s_andn2_b32 vcc_lo, exec_lo, s0
	s_cbranch_vccnz .LBB21_7
; %bb.6:
	v_lshlrev_b64 v[0:1], 4, v[5:6]
	v_add_co_u32 v0, vcc_lo, s8, v0
	v_add_co_ci_u32_e64 v1, null, s9, v1, vcc_lo
	global_load_dwordx4 v[7:10], v[0:1], off
	s_waitcnt vmcnt(0)
	v_mul_f64 v[0:1], s[18:19], v[9:10]
	v_mul_f64 v[2:3], s[16:17], v[9:10]
	v_fma_f64 v[0:1], s[16:17], v[7:8], -v[0:1]
	v_fma_f64 v[2:3], s[18:19], v[7:8], v[2:3]
.LBB21_7:
	s_mov_b32 s12, exec_lo
	s_or_b32 exec_lo, exec_lo, s3
	s_and_b32 vcc_lo, exec_lo, s1
	s_cbranch_vccnz .LBB21_10
	s_branch .LBB21_20
.LBB21_8:
                                        ; implicit-def: $vgpr2_vgpr3
                                        ; implicit-def: $vgpr5_vgpr6
	s_cbranch_execnz .LBB21_10
	s_branch .LBB21_20
.LBB21_9:
	s_or_b32 exec_lo, exec_lo, s3
	s_and_b32 vcc_lo, exec_lo, s1
	s_cbranch_vccz .LBB21_20
.LBB21_10:
	s_mov_b32 s13, exec_lo
                                        ; implicit-def: $vgpr2_vgpr3
                                        ; implicit-def: $vgpr5_vgpr6
	v_cmpx_gt_i32_e64 s2, v4
	s_cbranch_execz .LBB21_19
; %bb.11:
	v_mov_b32_e32 v0, 0
	v_mov_b32_e32 v2, 0
	;; [unrolled: 1-line block ×4, first 2 shown]
	v_ashrrev_i32_e32 v5, 31, v4
	s_cmp_lt_i32 s6, 0
	s_cbranch_scc1 .LBB21_14
; %bb.12:
	s_load_dword s0, s[4:5], 0x68
	s_ashr_i32 s3, s2, 31
	s_mul_hi_u32 s1, s2, s7
	s_mul_i32 s5, s3, s7
	s_add_i32 s4, s6, 1
	s_add_i32 s1, s1, s5
	s_mul_i32 s5, s2, s7
	v_lshlrev_b64 v[2:3], 4, v[4:5]
	v_mov_b32_e32 v0, 0
	v_mov_b32_e32 v1, 0
	s_waitcnt lgkmcnt(0)
	s_mul_i32 s1, s1, s0
	s_mul_hi_u32 s6, s5, s0
	s_mul_i32 s0, s5, s0
	s_add_i32 s1, s6, s1
	s_lshl_b64 s[0:1], s[0:1], 4
	s_add_u32 s0, s14, s0
	s_addc_u32 s1, s15, s1
	v_add_co_u32 v6, vcc_lo, s0, v2
	v_add_co_ci_u32_e64 v7, null, s1, v3, vcc_lo
	v_mov_b32_e32 v2, 0
	v_add_co_u32 v6, vcc_lo, v6, 8
	v_mov_b32_e32 v3, 0
	v_add_co_ci_u32_e64 v7, null, 0, v7, vcc_lo
	s_lshl_b64 s[0:1], s[2:3], 4
.LBB21_13:                              ; =>This Inner Loop Header: Depth=1
	global_load_dwordx4 v[8:11], v[6:7], off offset:-8
	v_add_co_u32 v6, vcc_lo, v6, s0
	v_add_co_ci_u32_e64 v7, null, s1, v7, vcc_lo
	s_add_i32 s4, s4, -1
	s_cmp_eq_u32 s4, 0
	s_waitcnt vmcnt(0)
	v_add_f64 v[2:3], v[2:3], v[8:9]
	v_add_f64 v[0:1], v[0:1], v[10:11]
	s_cbranch_scc0 .LBB21_13
.LBB21_14:
	v_mul_f64 v[6:7], s[22:23], v[0:1]
	v_mul_f64 v[8:9], s[20:21], v[0:1]
	v_cmp_neq_f64_e64 s0, s[16:17], 0
	v_cmp_neq_f64_e64 s1, s[18:19], 0
	v_fma_f64 v[0:1], s[20:21], v[2:3], -v[6:7]
	v_fma_f64 v[2:3], s[22:23], v[2:3], v[8:9]
	v_mul_lo_u32 v7, s11, v4
	v_mul_lo_u32 v8, s10, v5
	s_or_b32 s0, s0, s1
	s_andn2_b32 vcc_lo, exec_lo, s0
	s_cbranch_vccz .LBB21_16
; %bb.15:
	v_mad_u64_u32 v[5:6], null, s10, v4, 0
	v_add3_u32 v6, v6, v8, v7
	s_cbranch_execz .LBB21_17
	s_branch .LBB21_18
.LBB21_16:
                                        ; implicit-def: $vgpr5_vgpr6
.LBB21_17:
	v_mad_u64_u32 v[5:6], null, s10, v4, 0
	v_add3_u32 v6, v6, v8, v7
	v_lshlrev_b64 v[7:8], 4, v[5:6]
	v_add_co_u32 v7, vcc_lo, s8, v7
	v_add_co_ci_u32_e64 v8, null, s9, v8, vcc_lo
	global_load_dwordx4 v[7:10], v[7:8], off
	s_waitcnt vmcnt(0)
	v_mul_f64 v[11:12], s[18:19], v[9:10]
	v_mul_f64 v[9:10], s[16:17], v[9:10]
	v_fma_f64 v[11:12], s[16:17], v[7:8], -v[11:12]
	v_fma_f64 v[7:8], s[18:19], v[7:8], v[9:10]
	v_add_f64 v[0:1], v[0:1], v[11:12]
	v_add_f64 v[2:3], v[2:3], v[7:8]
.LBB21_18:
	s_or_b32 s12, s12, exec_lo
.LBB21_19:
	s_or_b32 exec_lo, exec_lo, s13
.LBB21_20:
	s_and_saveexec_b32 s0, s12
	s_cbranch_execz .LBB21_22
; %bb.21:
	v_lshlrev_b64 v[4:5], 4, v[5:6]
	v_add_co_u32 v4, vcc_lo, s8, v4
	v_add_co_ci_u32_e64 v5, null, s9, v5, vcc_lo
	global_store_dwordx4 v[4:5], v[0:3], off
.LBB21_22:
	s_endpgm
	.section	.rodata,"a",@progbits
	.p2align	6, 0x0
	.amdhsa_kernel _ZL36rocblas_hemvn_kernel_upper_block_sumILi64El19rocblas_complex_numIdEPS1_S1_EviT1_lS3_lT2_lT0_lPT3_i
		.amdhsa_group_segment_fixed_size 0
		.amdhsa_private_segment_fixed_size 0
		.amdhsa_kernarg_size 360
		.amdhsa_user_sgpr_count 6
		.amdhsa_user_sgpr_private_segment_buffer 1
		.amdhsa_user_sgpr_dispatch_ptr 0
		.amdhsa_user_sgpr_queue_ptr 0
		.amdhsa_user_sgpr_kernarg_segment_ptr 1
		.amdhsa_user_sgpr_dispatch_id 0
		.amdhsa_user_sgpr_flat_scratch_init 0
		.amdhsa_user_sgpr_private_segment_size 0
		.amdhsa_wavefront_size32 1
		.amdhsa_uses_dynamic_stack 0
		.amdhsa_system_sgpr_private_segment_wavefront_offset 0
		.amdhsa_system_sgpr_workgroup_id_x 1
		.amdhsa_system_sgpr_workgroup_id_y 0
		.amdhsa_system_sgpr_workgroup_id_z 1
		.amdhsa_system_sgpr_workgroup_info 0
		.amdhsa_system_vgpr_workitem_id 0
		.amdhsa_next_free_vgpr 13
		.amdhsa_next_free_sgpr 26
		.amdhsa_reserve_vcc 1
		.amdhsa_reserve_flat_scratch 0
		.amdhsa_float_round_mode_32 0
		.amdhsa_float_round_mode_16_64 0
		.amdhsa_float_denorm_mode_32 3
		.amdhsa_float_denorm_mode_16_64 3
		.amdhsa_dx10_clamp 1
		.amdhsa_ieee_mode 1
		.amdhsa_fp16_overflow 0
		.amdhsa_workgroup_processor_mode 1
		.amdhsa_memory_ordered 1
		.amdhsa_forward_progress 1
		.amdhsa_shared_vgpr_count 0
		.amdhsa_exception_fp_ieee_invalid_op 0
		.amdhsa_exception_fp_denorm_src 0
		.amdhsa_exception_fp_ieee_div_zero 0
		.amdhsa_exception_fp_ieee_overflow 0
		.amdhsa_exception_fp_ieee_underflow 0
		.amdhsa_exception_fp_ieee_inexact 0
		.amdhsa_exception_int_div_zero 0
	.end_amdhsa_kernel
	.section	.text._ZL36rocblas_hemvn_kernel_upper_block_sumILi64El19rocblas_complex_numIdEPS1_S1_EviT1_lS3_lT2_lT0_lPT3_i,"axG",@progbits,_ZL36rocblas_hemvn_kernel_upper_block_sumILi64El19rocblas_complex_numIdEPS1_S1_EviT1_lS3_lT2_lT0_lPT3_i,comdat
.Lfunc_end21:
	.size	_ZL36rocblas_hemvn_kernel_upper_block_sumILi64El19rocblas_complex_numIdEPS1_S1_EviT1_lS3_lT2_lT0_lPT3_i, .Lfunc_end21-_ZL36rocblas_hemvn_kernel_upper_block_sumILi64El19rocblas_complex_numIdEPS1_S1_EviT1_lS3_lT2_lT0_lPT3_i
                                        ; -- End function
	.set _ZL36rocblas_hemvn_kernel_upper_block_sumILi64El19rocblas_complex_numIdEPS1_S1_EviT1_lS3_lT2_lT0_lPT3_i.num_vgpr, 13
	.set _ZL36rocblas_hemvn_kernel_upper_block_sumILi64El19rocblas_complex_numIdEPS1_S1_EviT1_lS3_lT2_lT0_lPT3_i.num_agpr, 0
	.set _ZL36rocblas_hemvn_kernel_upper_block_sumILi64El19rocblas_complex_numIdEPS1_S1_EviT1_lS3_lT2_lT0_lPT3_i.numbered_sgpr, 26
	.set _ZL36rocblas_hemvn_kernel_upper_block_sumILi64El19rocblas_complex_numIdEPS1_S1_EviT1_lS3_lT2_lT0_lPT3_i.num_named_barrier, 0
	.set _ZL36rocblas_hemvn_kernel_upper_block_sumILi64El19rocblas_complex_numIdEPS1_S1_EviT1_lS3_lT2_lT0_lPT3_i.private_seg_size, 0
	.set _ZL36rocblas_hemvn_kernel_upper_block_sumILi64El19rocblas_complex_numIdEPS1_S1_EviT1_lS3_lT2_lT0_lPT3_i.uses_vcc, 1
	.set _ZL36rocblas_hemvn_kernel_upper_block_sumILi64El19rocblas_complex_numIdEPS1_S1_EviT1_lS3_lT2_lT0_lPT3_i.uses_flat_scratch, 0
	.set _ZL36rocblas_hemvn_kernel_upper_block_sumILi64El19rocblas_complex_numIdEPS1_S1_EviT1_lS3_lT2_lT0_lPT3_i.has_dyn_sized_stack, 0
	.set _ZL36rocblas_hemvn_kernel_upper_block_sumILi64El19rocblas_complex_numIdEPS1_S1_EviT1_lS3_lT2_lT0_lPT3_i.has_recursion, 0
	.set _ZL36rocblas_hemvn_kernel_upper_block_sumILi64El19rocblas_complex_numIdEPS1_S1_EviT1_lS3_lT2_lT0_lPT3_i.has_indirect_call, 0
	.section	.AMDGPU.csdata,"",@progbits
; Kernel info:
; codeLenInByte = 864
; TotalNumSgprs: 28
; NumVgprs: 13
; ScratchSize: 0
; MemoryBound: 0
; FloatMode: 240
; IeeeMode: 1
; LDSByteSize: 0 bytes/workgroup (compile time only)
; SGPRBlocks: 0
; VGPRBlocks: 1
; NumSGPRsForWavesPerEU: 28
; NumVGPRsForWavesPerEU: 13
; Occupancy: 16
; WaveLimiterHint : 0
; COMPUTE_PGM_RSRC2:SCRATCH_EN: 0
; COMPUTE_PGM_RSRC2:USER_SGPR: 6
; COMPUTE_PGM_RSRC2:TRAP_HANDLER: 0
; COMPUTE_PGM_RSRC2:TGID_X_EN: 1
; COMPUTE_PGM_RSRC2:TGID_Y_EN: 0
; COMPUTE_PGM_RSRC2:TGID_Z_EN: 1
; COMPUTE_PGM_RSRC2:TIDIG_COMP_CNT: 0
	.section	.text._ZL26rocblas_hemvn_kernel_upperILb1ELi64ELi4ELi33ELi32ELi16Ei19rocblas_complex_numIdEPKS1_PS1_EviT6_lT7_lT5_lS6_lS7_lS5_lT8_i,"axG",@progbits,_ZL26rocblas_hemvn_kernel_upperILb1ELi64ELi4ELi33ELi32ELi16Ei19rocblas_complex_numIdEPKS1_PS1_EviT6_lT7_lT5_lS6_lS7_lS5_lT8_i,comdat
	.globl	_ZL26rocblas_hemvn_kernel_upperILb1ELi64ELi4ELi33ELi32ELi16Ei19rocblas_complex_numIdEPKS1_PS1_EviT6_lT7_lT5_lS6_lS7_lS5_lT8_i ; -- Begin function _ZL26rocblas_hemvn_kernel_upperILb1ELi64ELi4ELi33ELi32ELi16Ei19rocblas_complex_numIdEPKS1_PS1_EviT6_lT7_lT5_lS6_lS7_lS5_lT8_i
	.p2align	8
	.type	_ZL26rocblas_hemvn_kernel_upperILb1ELi64ELi4ELi33ELi32ELi16Ei19rocblas_complex_numIdEPKS1_PS1_EviT6_lT7_lT5_lS6_lS7_lS5_lT8_i,@function
_ZL26rocblas_hemvn_kernel_upperILb1ELi64ELi4ELi33ELi32ELi16Ei19rocblas_complex_numIdEPKS1_PS1_EviT6_lT7_lT5_lS6_lS7_lS5_lT8_i: ; @_ZL26rocblas_hemvn_kernel_upperILb1ELi64ELi4ELi33ELi32ELi16Ei19rocblas_complex_numIdEPKS1_PS1_EviT6_lT7_lT5_lS6_lS7_lS5_lT8_i
; %bb.0:
	s_load_dwordx2 s[0:1], s[4:5], 0x94
	s_add_u32 s12, s4, 0x88
	s_addc_u32 s13, s5, 0
	s_waitcnt lgkmcnt(0)
	s_lshr_b32 s2, s0, 16
	s_and_b32 s0, s0, 0xffff
	s_and_b32 s1, s1, 0xffff
	s_mul_i32 s0, s2, s0
	s_mul_i32 s0, s0, s1
	s_cmpk_lg_i32 s0, 0x100
	s_cbranch_scc1 .LBB22_202
; %bb.1:
	s_load_dwordx4 s[0:3], s[4:5], 0x8
	s_waitcnt lgkmcnt(0)
	v_cmp_neq_f64_e64 s10, s[0:1], 0
	v_cmp_neq_f64_e64 s11, s[2:3], 0
	s_clause 0x1
	s_load_dwordx4 s[0:3], s[4:5], 0x58
	s_load_dwordx2 s[8:9], s[4:5], 0x68
	s_or_b32 s10, s10, s11
	s_mov_b32 s11, -1
	s_and_b32 vcc_lo, exec_lo, s10
	s_cbranch_vccnz .LBB22_3
; %bb.2:
	s_waitcnt lgkmcnt(0)
	v_cmp_neq_f64_e64 s2, s[2:3], 1.0
	v_cmp_neq_f64_e64 s3, s[8:9], 0
	s_or_b32 s11, s2, s3
.LBB22_3:
	s_andn2_b32 vcc_lo, exec_lo, s11
	s_cbranch_vccnz .LBB22_202
; %bb.4:
	s_andn2_b32 vcc_lo, exec_lo, s10
	s_cbranch_vccnz .LBB22_202
; %bb.5:
	s_waitcnt lgkmcnt(0)
	s_clause 0x2
	s_load_dwordx4 s[8:11], s[4:5], 0x38
	s_load_dwordx2 s[2:3], s[4:5], 0x48
	s_load_dword s27, s[4:5], 0x50
	s_mul_i32 s1, s1, s7
	s_mul_hi_u32 s14, s0, s7
	s_mul_i32 s0, s0, s7
	s_add_i32 s1, s14, s1
	s_load_dword s28, s[4:5], 0x0
	s_lshl_b64 s[0:1], s[0:1], 4
	s_load_dword s24, s[12:13], 0x0
	s_waitcnt lgkmcnt(0)
	s_add_u32 s10, s10, s0
	s_addc_u32 s11, s11, s1
	s_lshl_b64 s[0:1], s[2:3], 4
	s_add_u32 s0, s10, s0
	s_addc_u32 s1, s11, s1
	s_lshl_b32 s16, s6, 6
	s_ashr_i32 s11, s28, 31
	v_add_nc_u32_e32 v167, s16, v0
	s_lshr_b32 s2, s11, 26
	s_add_i32 s3, s24, -1
	s_add_i32 s2, s28, s2
	v_mul_lo_u32 v2, s27, v167
	s_andn2_b32 s2, s2, 63
	s_sub_i32 s25, s28, s2
	s_cmp_eq_u32 s6, s3
	s_mov_b32 s3, -1
	s_cselect_b32 s12, s25, 0
	v_ashrrev_i32_e32 v3, 31, v2
	v_lshlrev_b64 v[2:3], 4, v[2:3]
	v_add_co_u32 v38, vcc_lo, s0, v2
	v_add_co_ci_u32_e64 v39, null, s1, v3, vcc_lo
	v_cmp_eq_u32_e64 s0, 0, v1
	s_and_saveexec_b32 s1, s0
	s_cbranch_execz .LBB22_10
; %bb.6:
	v_cmp_le_i32_e32 vcc_lo, s12, v0
	s_cmp_lg_u32 s12, 0
	v_lshl_add_u32 v2, v0, 4, 0x4700
	s_cselect_b32 s2, -1, 0
	s_and_b32 s2, s2, vcc_lo
	s_and_saveexec_b32 s10, s2
	s_xor_b32 s2, exec_lo, s10
	s_cbranch_execz .LBB22_8
; %bb.7:
	v_mov_b32_e32 v3, 0
	v_mov_b32_e32 v4, v3
	;; [unrolled: 1-line block ×4, first 2 shown]
	ds_write_b128 v2, v[3:6]
                                        ; implicit-def: $vgpr2
.LBB22_8:
	s_andn2_saveexec_b32 s2, s2
	s_cbranch_execz .LBB22_10
; %bb.9:
	global_load_dwordx4 v[3:6], v[38:39], off
	s_waitcnt vmcnt(0)
	ds_write2_b64 v2, v[3:4], v[5:6] offset1:1
.LBB22_10:
	s_or_b32 exec_lo, exec_lo, s1
	s_clause 0x1
	s_load_dwordx4 s[20:23], s[4:5], 0x20
	s_load_dword s14, s[4:5], 0x30
	v_lshl_add_u32 v44, v1, 6, v0
	v_and_b32_e32 v10, 31, v0
	s_mul_i32 s1, s9, s7
	s_mul_hi_u32 s2, s8, s7
	s_mul_i32 s8, s8, s7
	v_lshrrev_b32_e32 v13, 5, v44
	s_add_i32 s9, s2, s1
	v_lshlrev_b32_e32 v14, 4, v10
	s_lshl_b64 s[8:9], s[8:9], 4
                                        ; implicit-def: $vgpr6_vgpr7
	s_waitcnt lgkmcnt(0)
	s_add_u32 s1, s20, s8
	v_mad_u64_u32 v[2:3], null, s14, v13, v[10:11]
	s_addc_u32 s2, s21, s9
	s_lshl_b64 s[8:9], s[22:23], 4
	s_mul_i32 s18, s14, s16
	s_add_u32 s1, s1, s8
	s_addc_u32 s2, s2, s9
	s_ashr_i32 s17, s16, 31
	v_ashrrev_i32_e32 v3, 31, v2
	s_lshl_b64 s[8:9], s[16:17], 4
	s_add_u32 s10, s1, s8
	s_addc_u32 s2, s2, s9
	v_lshlrev_b64 v[40:41], 4, v[2:3]
	s_ashr_i32 s19, s18, 31
	v_cmp_gt_i32_e64 s1, s12, v10
	s_lshl_b64 s[8:9], s[18:19], 4
	s_cmp_eq_u32 s12, 0
	s_cselect_b32 s26, -1, 0
	v_add_co_u32 v2, vcc_lo, s10, v40
	v_add_co_ci_u32_e64 v3, null, s2, v41, vcc_lo
	s_cmp_lg_u32 s12, 0
	v_add_co_u32 v2, s2, v2, s8
	v_add_co_ci_u32_e64 v3, null, s9, v3, s2
	s_cselect_b32 s17, -1, 0
	s_and_b32 vcc_lo, exec_lo, s17
	s_cbranch_vccz .LBB22_28
; %bb.11:
	v_sub_co_u32 v4, vcc_lo, v2, v14
	s_ashr_i32 s13, s12, 31
	v_subrev_co_ci_u32_e64 v5, null, 0, v3, vcc_lo
	s_lshl_b64 s[2:3], s[12:13], 4
	v_mad_u32_u24 v7, 0x210, v13, v14
	v_add_co_u32 v4, vcc_lo, v4, s2
	v_add_co_ci_u32_e64 v5, null, s3, v5, vcc_lo
	s_mov_b32 s8, exec_lo
	v_add_co_u32 v4, vcc_lo, v4, -16
	v_add_co_ci_u32_e64 v5, null, -1, v5, vcc_lo
	v_cndmask_b32_e64 v4, v4, v2, s1
	v_cndmask_b32_e64 v5, v5, v3, s1
	v_cmpx_le_i32_e64 s12, v13
	s_xor_b32 s8, exec_lo, s8
	s_cbranch_execz .LBB22_13
; %bb.12:
	v_mov_b32_e32 v15, 0
	v_mov_b32_e32 v16, v15
	;; [unrolled: 1-line block ×4, first 2 shown]
	ds_write_b128 v7, v[15:18]
                                        ; implicit-def: $vgpr7
.LBB22_13:
	s_or_saveexec_b32 s8, s8
	v_mul_u32_u24_e32 v6, 0x210, v13
	s_xor_b32 exec_lo, exec_lo, s8
	s_cbranch_execz .LBB22_15
; %bb.14:
	global_load_dwordx4 v[15:18], v[4:5], off
	s_waitcnt vmcnt(0)
	ds_write2_b64 v7, v[15:16], v[17:18] offset1:1
.LBB22_15:
	s_or_b32 exec_lo, exec_lo, s8
	v_add_nc_u32_e32 v7, 8, v13
	v_cmp_le_i32_e32 vcc_lo, s12, v7
	v_add_nc_u32_e32 v7, v6, v14
	s_and_saveexec_b32 s8, vcc_lo
	s_xor_b32 s8, exec_lo, s8
	s_cbranch_execz .LBB22_17
; %bb.16:
	v_mov_b32_e32 v15, 0
	v_mov_b32_e32 v16, v15
	;; [unrolled: 1-line block ×4, first 2 shown]
	ds_write_b128 v7, v[15:18] offset:4224
.LBB22_17:
	s_andn2_saveexec_b32 s8, s8
	s_cbranch_execz .LBB22_19
; %bb.18:
	s_lshl_b32 s18, s14, 3
	s_ashr_i32 s19, s18, 31
	s_lshl_b64 s[18:19], s[18:19], 4
	v_add_co_u32 v8, vcc_lo, v4, s18
	v_add_co_ci_u32_e64 v9, null, s19, v5, vcc_lo
	global_load_dwordx4 v[15:18], v[8:9], off
	v_add3_u32 v8, v6, v14, 0x1080
	s_waitcnt vmcnt(0)
	ds_write2_b64 v8, v[15:16], v[17:18] offset1:1
.LBB22_19:
	s_or_b32 exec_lo, exec_lo, s8
	v_add_nc_u32_e32 v8, 16, v13
	s_mov_b32 s8, exec_lo
	v_cmpx_le_i32_e64 s12, v8
	s_xor_b32 s8, exec_lo, s8
	s_cbranch_execz .LBB22_21
; %bb.20:
	v_mov_b32_e32 v15, 0
	v_mov_b32_e32 v16, v15
	;; [unrolled: 1-line block ×4, first 2 shown]
	ds_write_b128 v7, v[15:18] offset:8448
.LBB22_21:
	s_andn2_saveexec_b32 s8, s8
	s_cbranch_execz .LBB22_23
; %bb.22:
	s_lshl_b32 s18, s14, 4
	s_ashr_i32 s19, s18, 31
	s_lshl_b64 s[18:19], s[18:19], 4
	v_add_co_u32 v8, vcc_lo, v4, s18
	v_add_co_ci_u32_e64 v9, null, s19, v5, vcc_lo
	global_load_dwordx4 v[15:18], v[8:9], off
	v_add3_u32 v8, v6, v14, 0x2100
	s_waitcnt vmcnt(0)
	ds_write2_b64 v8, v[15:16], v[17:18] offset1:1
.LBB22_23:
	s_or_b32 exec_lo, exec_lo, s8
	v_add_nc_u32_e32 v8, 24, v13
	s_mov_b32 s8, exec_lo
	v_cmpx_le_i32_e64 s12, v8
	s_xor_b32 s8, exec_lo, s8
	s_cbranch_execz .LBB22_25
; %bb.24:
	v_mov_b32_e32 v15, 0
                                        ; implicit-def: $vgpr6
	v_mov_b32_e32 v16, v15
	v_mov_b32_e32 v17, v15
	;; [unrolled: 1-line block ×3, first 2 shown]
	ds_write_b128 v7, v[15:18] offset:12672
.LBB22_25:
	s_andn2_saveexec_b32 s8, s8
	s_cbranch_execz .LBB22_27
; %bb.26:
	s_mul_i32 s18, s14, 24
	v_add3_u32 v6, v6, v14, 0x3180
	s_ashr_i32 s19, s18, 31
	s_lshl_b64 s[18:19], s[18:19], 4
	v_add_co_u32 v7, vcc_lo, v4, s18
	v_add_co_ci_u32_e64 v8, null, s19, v5, vcc_lo
	global_load_dwordx4 v[15:18], v[7:8], off
	s_waitcnt vmcnt(0)
	ds_write2_b64 v6, v[15:16], v[17:18] offset1:1
.LBB22_27:
	s_or_b32 exec_lo, exec_lo, s8
	v_add_co_u32 v4, vcc_lo, v4, v14
	v_add_co_ci_u32_e64 v5, null, 0, v5, vcc_lo
	v_sub_co_u32 v4, vcc_lo, v4, s2
	v_subrev_co_ci_u32_e64 v5, null, s3, v5, vcc_lo
	s_mov_b32 s3, 0
	v_add_co_u32 v4, vcc_lo, v4, 16
	v_add_co_ci_u32_e64 v5, null, 0, v5, vcc_lo
	v_cndmask_b32_e64 v6, v4, v2, s1
	v_cndmask_b32_e64 v7, v5, v3, s1
.LBB22_28:
	v_mul_u32_u24_e32 v15, 0x210, v13
	s_and_b32 vcc_lo, exec_lo, s3
	s_cbranch_vccz .LBB22_30
; %bb.29:
	s_lshl_b32 s2, s14, 3
	s_ashr_i32 s15, s14, 31
	s_ashr_i32 s3, s2, 31
	s_lshl_b64 s[2:3], s[2:3], 4
	v_add_co_u32 v4, vcc_lo, v2, s2
	v_add_co_ci_u32_e64 v5, null, s3, v3, vcc_lo
	s_lshl_b64 s[2:3], s[14:15], 7
	v_add_co_u32 v6, vcc_lo, v4, s2
	v_add_co_ci_u32_e64 v7, null, s3, v5, vcc_lo
	v_add_co_u32 v8, vcc_lo, v6, s2
	v_add_co_ci_u32_e64 v9, null, s3, v7, vcc_lo
	s_clause 0x3
	global_load_dwordx4 v[16:19], v[2:3], off
	global_load_dwordx4 v[20:23], v[4:5], off
	;; [unrolled: 1-line block ×4, first 2 shown]
	v_lshl_add_u32 v4, v10, 4, v15
	v_mov_b32_e32 v7, v3
	v_mov_b32_e32 v6, v2
	v_add_nc_u32_e32 v5, 0x1080, v4
	v_add_nc_u32_e32 v8, 0x2100, v4
	;; [unrolled: 1-line block ×3, first 2 shown]
	s_waitcnt vmcnt(3)
	ds_write2_b64 v4, v[16:17], v[18:19] offset1:1
	s_waitcnt vmcnt(2)
	ds_write2_b64 v5, v[20:21], v[22:23] offset1:1
	;; [unrolled: 2-line block ×4, first 2 shown]
.LBB22_30:
	v_lshlrev_b32_e32 v18, 2, v13
	v_mul_u32_u24_e32 v16, 0x210, v10
	s_mov_b32 s1, 0
	s_waitcnt lgkmcnt(0)
	s_barrier
	v_cmp_le_u32_e64 s2, v18, v10
	buffer_gl0_inv
                                        ; implicit-def: $vgpr8
	s_and_saveexec_b32 s3, s2
	s_xor_b32 s3, exec_lo, s3
	s_cbranch_execz .LBB22_34
; %bb.31:
	s_mov_b32 s8, exec_lo
                                        ; implicit-def: $vgpr8
	v_cmpx_eq_u32_e64 v18, v10
	s_xor_b32 s8, exec_lo, s8
; %bb.32:
	s_mov_b32 s1, exec_lo
	v_add_nc_u32_e32 v8, v14, v16
; %bb.33:
	s_or_b32 exec_lo, exec_lo, s8
	s_and_b32 s1, s1, exec_lo
.LBB22_34:
	s_or_saveexec_b32 s3, s3
	v_lshl_or_b32 v2, v10, 9, v14
	v_mov_b32_e32 v4, 0
	v_mov_b32_e32 v5, 0
	v_mad_u32_u24 v9, 0x840, v13, v14
	v_lshl_add_u32 v11, v18, 4, v2
	s_xor_b32 exec_lo, exec_lo, s3
	s_cbranch_execz .LBB22_36
; %bb.35:
	ds_read_b128 v[2:5], v9
	v_mov_b32_e32 v8, v11
	s_or_b32 s1, s1, exec_lo
	s_waitcnt lgkmcnt(0)
	v_xor_b32_e32 v5, 0x80000000, v5
	ds_write_b64 v11, v[2:3]
.LBB22_36:
	s_or_b32 exec_lo, exec_lo, s3
	s_and_saveexec_b32 s3, s1
; %bb.37:
	ds_write_b64 v8, v[4:5] offset:8
; %bb.38:
	s_or_b32 exec_lo, exec_lo, s3
	v_or_b32_e32 v19, 1, v18
	v_cmp_ge_u32_e64 s3, v18, v10
	s_mov_b32 s1, 0
                                        ; implicit-def: $vgpr4_vgpr5
                                        ; implicit-def: $vgpr12
	v_mad_u32_u24 v8, 0x210, v19, v14
	s_and_saveexec_b32 s8, s3
	s_xor_b32 s8, exec_lo, s8
	s_cbranch_execnz .LBB22_78
; %bb.39:
	s_andn2_saveexec_b32 s8, s8
	s_cbranch_execnz .LBB22_79
.LBB22_40:
	s_or_b32 exec_lo, exec_lo, s8
	s_and_saveexec_b32 s8, s1
.LBB22_41:
	ds_write_b64 v12, v[4:5] offset:8
.LBB22_42:
	s_or_b32 exec_lo, exec_lo, s8
	v_or_b32_e32 v20, 2, v18
	s_mov_b32 s1, 0
                                        ; implicit-def: $vgpr12
	v_cmp_le_u32_e64 s8, v20, v10
	s_and_saveexec_b32 s9, s8
	s_xor_b32 s9, exec_lo, s9
	s_cbranch_execz .LBB22_46
; %bb.43:
	s_mov_b32 s10, exec_lo
                                        ; implicit-def: $vgpr12
	v_cmpx_eq_u32_e64 v20, v10
; %bb.44:
	v_add_nc_u32_e32 v12, v14, v16
	s_mov_b32 s1, exec_lo
; %bb.45:
	s_or_b32 exec_lo, exec_lo, s10
	s_and_b32 s1, s1, exec_lo
.LBB22_46:
	s_or_saveexec_b32 s9, s9
	v_mov_b32_e32 v4, 0
	v_mov_b32_e32 v5, 0
	s_xor_b32 exec_lo, exec_lo, s9
	s_cbranch_execz .LBB22_48
; %bb.47:
	v_mad_u32_u24 v2, 0x210, v20, v14
	v_add_nc_u32_e32 v12, 32, v11
	s_or_b32 s1, s1, exec_lo
	ds_read_b128 v[2:5], v2
	s_waitcnt lgkmcnt(0)
	v_xor_b32_e32 v5, 0x80000000, v5
	ds_write_b64 v11, v[2:3] offset:32
.LBB22_48:
	s_or_b32 exec_lo, exec_lo, s9
	s_and_saveexec_b32 s9, s1
; %bb.49:
	ds_write_b64 v12, v[4:5] offset:8
; %bb.50:
	s_or_b32 exec_lo, exec_lo, s9
	v_or_b32_e32 v21, 3, v18
	s_mov_b32 s1, 0
                                        ; implicit-def: $vgpr12
	v_cmp_le_u32_e64 s9, v21, v10
	s_and_saveexec_b32 s10, s9
	s_xor_b32 s10, exec_lo, s10
	s_cbranch_execz .LBB22_54
; %bb.51:
	s_mov_b32 s13, exec_lo
                                        ; implicit-def: $vgpr12
	v_cmpx_eq_u32_e64 v21, v10
; %bb.52:
	v_add_nc_u32_e32 v12, v14, v16
	s_mov_b32 s1, exec_lo
; %bb.53:
	s_or_b32 exec_lo, exec_lo, s13
	s_and_b32 s1, s1, exec_lo
                                        ; implicit-def: $vgpr11
.LBB22_54:
	s_or_saveexec_b32 s10, s10
	v_mov_b32_e32 v4, 0
	v_mov_b32_e32 v5, 0
	s_xor_b32 exec_lo, exec_lo, s10
	s_cbranch_execz .LBB22_56
; %bb.55:
	v_mad_u32_u24 v2, 0x210, v21, v14
	v_add_nc_u32_e32 v12, 48, v11
	s_or_b32 s1, s1, exec_lo
	ds_read_b128 v[2:5], v2
	s_waitcnt lgkmcnt(0)
	v_xor_b32_e32 v5, 0x80000000, v5
	ds_write_b64 v11, v[2:3] offset:48
.LBB22_56:
	s_or_b32 exec_lo, exec_lo, s10
	s_and_saveexec_b32 s10, s1
; %bb.57:
	ds_write_b64 v12, v[4:5] offset:8
; %bb.58:
	s_or_b32 exec_lo, exec_lo, s10
	v_lshlrev_b32_e32 v22, 4, v18
	s_waitcnt lgkmcnt(0)
	s_barrier
	buffer_gl0_inv
	ds_read_b128 v[2:5], v9
	ds_read_b128 v[23:26], v22 offset:18176
	ds_read_b128 v[27:30], v8
	ds_read_b128 v[31:34], v8 offset:1056
	ds_read_b128 v[45:48], v22 offset:18192
	;; [unrolled: 1-line block ×4, first 2 shown]
	v_cmp_gt_u32_e64 s1, 32, v44
	s_waitcnt lgkmcnt(5)
	v_mul_f64 v[11:12], v[25:26], v[4:5]
	v_mul_f64 v[4:5], v[23:24], v[4:5]
	s_waitcnt lgkmcnt(2)
	v_mul_f64 v[8:9], v[47:48], v[29:30]
	v_mul_f64 v[29:30], v[45:46], v[29:30]
	s_waitcnt lgkmcnt(0)
	v_mul_f64 v[35:36], v[53:54], v[51:52]
	v_fma_f64 v[11:12], v[23:24], v[2:3], -v[11:12]
	v_fma_f64 v[23:24], v[25:26], v[2:3], v[4:5]
	v_mul_f64 v[25:26], v[55:56], v[51:52]
	v_fma_f64 v[8:9], v[45:46], v[27:28], -v[8:9]
	v_fma_f64 v[27:28], v[47:48], v[27:28], v[29:30]
	ds_read_b128 v[2:5], v22 offset:18224
	v_fma_f64 v[35:36], v[55:56], v[49:50], v[35:36]
	s_waitcnt lgkmcnt(0)
	s_barrier
	buffer_gl0_inv
	v_add_f64 v[11:12], v[11:12], 0
	v_add_f64 v[23:24], v[23:24], 0
	v_fma_f64 v[25:26], v[53:54], v[49:50], -v[25:26]
	v_mul_f64 v[29:30], v[4:5], v[33:34]
	v_mul_f64 v[33:34], v[2:3], v[33:34]
	v_add_f64 v[8:9], v[11:12], v[8:9]
	v_add_f64 v[11:12], v[23:24], v[27:28]
	v_fma_f64 v[2:3], v[2:3], v[31:32], -v[29:30]
	v_fma_f64 v[4:5], v[4:5], v[31:32], v[33:34]
	v_add_f64 v[8:9], v[8:9], v[25:26]
	v_add_f64 v[11:12], v[11:12], v[35:36]
	;; [unrolled: 1-line block ×4, first 2 shown]
	v_mul_u32_u24_e32 v2, 33, v10
	v_mov_b32_e32 v4, 0
	v_mov_b32_e32 v5, 0
	v_lshlrev_b32_e32 v45, 4, v2
	v_mov_b32_e32 v2, 0
	v_mov_b32_e32 v3, 0
	v_lshl_add_u32 v46, v13, 4, v45
	ds_write_b128 v46, v[23:26]
	s_waitcnt lgkmcnt(0)
	s_barrier
	buffer_gl0_inv
	s_and_saveexec_b32 s10, s1
	s_cbranch_execz .LBB22_60
; %bb.59:
	ds_read_b128 v[2:5], v45
	ds_read_b128 v[23:26], v45 offset:16
	s_waitcnt lgkmcnt(0)
	v_add_f64 v[8:9], v[23:24], v[2:3]
	v_add_f64 v[11:12], v[25:26], v[4:5]
	ds_read_b128 v[2:5], v45 offset:32
	ds_read_b128 v[23:26], v45 offset:48
	s_waitcnt lgkmcnt(1)
	v_add_f64 v[2:3], v[8:9], v[2:3]
	v_add_f64 v[4:5], v[11:12], v[4:5]
	s_waitcnt lgkmcnt(0)
	v_add_f64 v[8:9], v[2:3], v[23:24]
	v_add_f64 v[11:12], v[4:5], v[25:26]
	ds_read_b128 v[2:5], v45 offset:64
	ds_read_b128 v[23:26], v45 offset:80
	s_waitcnt lgkmcnt(1)
	v_add_f64 v[2:3], v[8:9], v[2:3]
	v_add_f64 v[4:5], v[11:12], v[4:5]
	;; [unrolled: 8-line block ×3, first 2 shown]
	s_waitcnt lgkmcnt(0)
	v_add_f64 v[2:3], v[2:3], v[23:24]
	v_add_f64 v[4:5], v[4:5], v[25:26]
.LBB22_60:
	s_or_b32 exec_lo, exec_lo, s10
	s_lshl_b32 s20, s14, 5
	v_mad_u32_u24 v17, 0x210, v13, v14
	s_ashr_i32 s21, s20, 31
	s_lshl_b64 s[18:19], s[20:21], 4
	s_barrier
	v_add_co_u32 v23, vcc_lo, v6, s18
	v_add_co_ci_u32_e64 v24, null, s19, v7, vcc_lo
	buffer_gl0_inv
	v_add_co_u32 v6, vcc_lo, 0x200, v23
	v_add_co_ci_u32_e64 v7, null, 0, v24, vcc_lo
	s_and_b32 vcc_lo, exec_lo, s17
	s_cbranch_vccz .LBB22_82
; %bb.61:
	v_sub_co_u32 v8, vcc_lo, v23, v14
	s_ashr_i32 s13, s12, 31
	v_subrev_co_ci_u32_e64 v9, null, 0, v24, vcc_lo
	s_lshl_b64 s[22:23], s[12:13], 4
	v_or_b32_e32 v11, 32, v10
	v_add_co_u32 v8, vcc_lo, v8, s22
	v_add_co_ci_u32_e64 v9, null, s23, v9, vcc_lo
	s_sub_i32 s13, s12, 32
	v_add_co_u32 v8, vcc_lo, v8, -16
	v_add_co_ci_u32_e64 v9, null, -1, v9, vcc_lo
	v_cmp_gt_i32_e32 vcc_lo, s12, v11
	v_cmp_le_i32_e64 s10, s13, v13
	v_cndmask_b32_e32 v9, v9, v7, vcc_lo
	v_cndmask_b32_e32 v8, v8, v6, vcc_lo
	s_and_saveexec_b32 s15, s10
	s_xor_b32 s10, exec_lo, s15
	s_cbranch_execz .LBB22_63
; %bb.62:
	v_mov_b32_e32 v25, 0
	v_mov_b32_e32 v26, v25
	;; [unrolled: 1-line block ×4, first 2 shown]
	ds_write_b128 v17, v[25:28]
.LBB22_63:
	s_andn2_saveexec_b32 s10, s10
	s_cbranch_execz .LBB22_65
; %bb.64:
	global_load_dwordx4 v[25:28], v[8:9], off
	s_waitcnt vmcnt(0)
	ds_write2_b64 v17, v[25:26], v[27:28] offset1:1
.LBB22_65:
	s_or_b32 exec_lo, exec_lo, s10
	v_add_nc_u32_e32 v11, 8, v13
	v_cmp_le_i32_e64 s10, s13, v11
	v_add_nc_u32_e32 v11, v15, v14
	s_and_saveexec_b32 s15, s10
	s_xor_b32 s10, exec_lo, s15
	s_cbranch_execz .LBB22_67
; %bb.66:
	v_mov_b32_e32 v25, 0
	v_mov_b32_e32 v26, v25
	;; [unrolled: 1-line block ×4, first 2 shown]
	ds_write_b128 v11, v[25:28] offset:4224
.LBB22_67:
	s_andn2_saveexec_b32 s15, s10
	s_cbranch_execz .LBB22_69
; %bb.68:
	s_lshl_b32 s30, s14, 3
	v_add3_u32 v12, v15, v14, 0x1080
	s_ashr_i32 s31, s30, 31
	s_lshl_b64 s[30:31], s[30:31], 4
	v_add_co_u32 v25, s10, v8, s30
	v_add_co_ci_u32_e64 v26, null, s31, v9, s10
	global_load_dwordx4 v[25:28], v[25:26], off
	s_waitcnt vmcnt(0)
	ds_write2_b64 v12, v[25:26], v[27:28] offset1:1
.LBB22_69:
	s_or_b32 exec_lo, exec_lo, s15
	v_add_nc_u32_e32 v12, 16, v13
	v_cmp_le_i32_e64 s10, s13, v12
	s_and_saveexec_b32 s15, s10
	s_xor_b32 s10, exec_lo, s15
	s_cbranch_execz .LBB22_71
; %bb.70:
	v_mov_b32_e32 v25, 0
	v_mov_b32_e32 v26, v25
	;; [unrolled: 1-line block ×4, first 2 shown]
	ds_write_b128 v11, v[25:28] offset:8448
.LBB22_71:
	s_andn2_saveexec_b32 s15, s10
	s_cbranch_execz .LBB22_73
; %bb.72:
	s_lshl_b32 s30, s14, 4
	v_add3_u32 v12, v15, v14, 0x2100
	s_ashr_i32 s31, s30, 31
	s_lshl_b64 s[30:31], s[30:31], 4
	v_add_co_u32 v25, s10, v8, s30
	v_add_co_ci_u32_e64 v26, null, s31, v9, s10
	global_load_dwordx4 v[25:28], v[25:26], off
	s_waitcnt vmcnt(0)
	ds_write2_b64 v12, v[25:26], v[27:28] offset1:1
.LBB22_73:
	s_or_b32 exec_lo, exec_lo, s15
	v_add_nc_u32_e32 v12, 24, v13
	v_cmp_le_i32_e64 s10, s13, v12
	s_and_saveexec_b32 s13, s10
	s_xor_b32 s10, exec_lo, s13
	s_cbranch_execz .LBB22_75
; %bb.74:
	v_mov_b32_e32 v25, 0
	v_mov_b32_e32 v26, v25
	v_mov_b32_e32 v27, v25
	v_mov_b32_e32 v28, v25
	ds_write_b128 v11, v[25:28] offset:12672
.LBB22_75:
	s_andn2_saveexec_b32 s13, s10
	s_cbranch_execz .LBB22_77
; %bb.76:
	s_mul_i32 s30, s14, 24
	s_ashr_i32 s31, s30, 31
	s_lshl_b64 s[30:31], s[30:31], 4
	v_add_co_u32 v11, s10, v8, s30
	v_add_co_ci_u32_e64 v12, null, s31, v9, s10
	global_load_dwordx4 v[25:28], v[11:12], off
	v_add3_u32 v11, v15, v14, 0x3180
	s_waitcnt vmcnt(0)
	ds_write2_b64 v11, v[25:26], v[27:28] offset1:1
.LBB22_77:
	s_or_b32 exec_lo, exec_lo, s13
	v_add_co_u32 v8, s10, v8, v14
	v_add_co_ci_u32_e64 v9, null, 0, v9, s10
	v_sub_co_u32 v8, s10, v8, s22
	v_subrev_co_ci_u32_e64 v9, null, s23, v9, s10
	v_add_co_u32 v8, s10, 0x210, v8
	v_add_co_ci_u32_e64 v9, null, 0, v9, s10
	v_cndmask_b32_e32 v11, v8, v6, vcc_lo
	v_cndmask_b32_e32 v12, v9, v7, vcc_lo
	s_branch .LBB22_84
.LBB22_78:
	ds_read_b128 v[2:5], v8
	s_mov_b32 s1, exec_lo
	v_add_nc_u32_e32 v12, 16, v11
	s_waitcnt lgkmcnt(0)
	v_xor_b32_e32 v5, 0x80000000, v5
	ds_write_b64 v11, v[2:3] offset:16
	s_andn2_saveexec_b32 s8, s8
	s_cbranch_execz .LBB22_40
.LBB22_79:
	s_mov_b32 s9, s1
	s_mov_b32 s10, exec_lo
                                        ; implicit-def: $vgpr12
	v_cmpx_eq_u32_e64 v19, v10
; %bb.80:
	v_add_nc_u32_e32 v12, v14, v16
	s_or_b32 s9, s1, exec_lo
; %bb.81:
	s_or_b32 exec_lo, exec_lo, s10
	v_mov_b32_e32 v4, 0
	v_mov_b32_e32 v5, 0
	s_andn2_b32 s1, s1, exec_lo
	s_and_b32 s9, s9, exec_lo
	s_or_b32 s1, s1, s9
	s_or_b32 exec_lo, exec_lo, s8
	s_and_saveexec_b32 s8, s1
	s_cbranch_execnz .LBB22_41
	s_branch .LBB22_42
.LBB22_82:
                                        ; implicit-def: $vgpr11_vgpr12
	s_cbranch_execz .LBB22_84
; %bb.83:
	s_lshl_b32 s22, s14, 3
	s_ashr_i32 s15, s14, 31
	s_ashr_i32 s23, s22, 31
	s_lshl_b64 s[22:23], s[22:23], 4
	v_add_co_u32 v8, vcc_lo, v23, s22
	v_add_co_ci_u32_e64 v9, null, s23, v24, vcc_lo
	s_lshl_b64 s[22:23], s[14:15], 7
	v_add_co_u32 v11, vcc_lo, v8, s22
	v_add_co_ci_u32_e64 v12, null, s23, v9, vcc_lo
	v_add_co_u32 v35, vcc_lo, v11, s22
	v_add_co_ci_u32_e64 v36, null, s23, v12, vcc_lo
	s_clause 0x3
	global_load_dwordx4 v[23:26], v[6:7], off
	global_load_dwordx4 v[27:30], v[8:9], off offset:512
	global_load_dwordx4 v[31:34], v[11:12], off offset:512
	;; [unrolled: 1-line block ×3, first 2 shown]
	v_mov_b32_e32 v12, v7
	v_mov_b32_e32 v11, v6
	v_add_nc_u32_e32 v8, 0x1080, v17
	v_add_nc_u32_e32 v9, 0x2100, v17
	;; [unrolled: 1-line block ×3, first 2 shown]
	s_waitcnt vmcnt(3)
	ds_write2_b64 v17, v[23:24], v[25:26] offset1:1
	s_waitcnt vmcnt(2)
	ds_write2_b64 v8, v[27:28], v[29:30] offset1:1
	;; [unrolled: 2-line block ×4, first 2 shown]
.LBB22_84:
	v_mul_u32_u24_e32 v6, 0x840, v13
	s_mov_b32 s10, 0
	s_waitcnt lgkmcnt(0)
	s_barrier
	buffer_gl0_inv
                                        ; implicit-def: $vgpr23
	s_and_saveexec_b32 s13, s2
	s_xor_b32 s2, exec_lo, s13
	s_cbranch_execz .LBB22_88
; %bb.85:
	s_mov_b32 s13, exec_lo
                                        ; implicit-def: $vgpr23
	v_cmpx_eq_u32_e64 v18, v10
	s_xor_b32 s13, exec_lo, s13
; %bb.86:
	v_add_nc_u32_e32 v23, v14, v16
	s_mov_b32 s10, exec_lo
; %bb.87:
	s_or_b32 exec_lo, exec_lo, s13
	s_and_b32 s10, s10, exec_lo
.LBB22_88:
	s_or_saveexec_b32 s2, s2
	v_mov_b32_e32 v8, 0
	v_mov_b32_e32 v9, 0
	v_add_nc_u32_e32 v34, v14, v6
	v_lshl_add_u32 v18, v18, 4, v45
	s_xor_b32 exec_lo, exec_lo, s2
	s_cbranch_execz .LBB22_90
; %bb.89:
	ds_read_b128 v[6:9], v34
	v_mov_b32_e32 v23, v18
	s_or_b32 s10, s10, exec_lo
	s_waitcnt lgkmcnt(0)
	v_xor_b32_e32 v9, 0x80000000, v9
	ds_write_b64 v18, v[6:7]
.LBB22_90:
	s_or_b32 exec_lo, exec_lo, s2
	v_mul_u32_u24_e32 v6, 0x210, v19
	s_and_saveexec_b32 s2, s10
; %bb.91:
	ds_write_b64 v23, v[8:9] offset:8
; %bb.92:
	s_or_b32 exec_lo, exec_lo, s2
	v_add_nc_u32_e32 v47, v14, v6
	s_mov_b32 s2, 0
                                        ; implicit-def: $vgpr8_vgpr9
                                        ; implicit-def: $vgpr23
	s_and_saveexec_b32 s10, s3
	s_xor_b32 s3, exec_lo, s10
	s_cbranch_execnz .LBB22_132
; %bb.93:
	s_andn2_saveexec_b32 s3, s3
	s_cbranch_execnz .LBB22_133
.LBB22_94:
	s_or_b32 exec_lo, exec_lo, s3
	s_and_saveexec_b32 s3, s2
.LBB22_95:
	ds_write_b64 v23, v[8:9] offset:8
.LBB22_96:
	s_or_b32 exec_lo, exec_lo, s3
	s_mov_b32 s2, 0
                                        ; implicit-def: $vgpr19
	s_and_saveexec_b32 s3, s8
	s_xor_b32 s3, exec_lo, s3
	s_cbranch_execz .LBB22_100
; %bb.97:
	s_mov_b32 s8, exec_lo
                                        ; implicit-def: $vgpr19
	v_cmpx_eq_u32_e64 v20, v10
; %bb.98:
	v_add_nc_u32_e32 v19, v14, v16
	s_mov_b32 s2, exec_lo
; %bb.99:
	s_or_b32 exec_lo, exec_lo, s8
	s_and_b32 s2, s2, exec_lo
.LBB22_100:
	s_or_saveexec_b32 s3, s3
	v_mov_b32_e32 v8, 0
	v_mov_b32_e32 v9, 0
	s_xor_b32 exec_lo, exec_lo, s3
	s_cbranch_execz .LBB22_102
; %bb.101:
	ds_read_b128 v[6:9], v47 offset:528
	v_add_nc_u32_e32 v19, 32, v18
	s_or_b32 s2, s2, exec_lo
	s_waitcnt lgkmcnt(0)
	v_xor_b32_e32 v9, 0x80000000, v9
	ds_write_b64 v18, v[6:7] offset:32
.LBB22_102:
	s_or_b32 exec_lo, exec_lo, s3
	s_and_saveexec_b32 s3, s2
; %bb.103:
	ds_write_b64 v19, v[8:9] offset:8
; %bb.104:
	s_or_b32 exec_lo, exec_lo, s3
	s_mov_b32 s2, 0
                                        ; implicit-def: $vgpr19
	s_and_saveexec_b32 s3, s9
	s_xor_b32 s3, exec_lo, s3
	s_cbranch_execz .LBB22_108
; %bb.105:
	s_mov_b32 s8, exec_lo
                                        ; implicit-def: $vgpr19
	v_cmpx_eq_u32_e64 v21, v10
; %bb.106:
	v_add_nc_u32_e32 v19, v14, v16
	s_mov_b32 s2, exec_lo
; %bb.107:
	s_or_b32 exec_lo, exec_lo, s8
	s_and_b32 s2, s2, exec_lo
                                        ; implicit-def: $vgpr18
.LBB22_108:
	s_or_saveexec_b32 s3, s3
	v_mov_b32_e32 v8, 0
	v_mov_b32_e32 v9, 0
	s_xor_b32 exec_lo, exec_lo, s3
	s_cbranch_execz .LBB22_110
; %bb.109:
	ds_read_b128 v[6:9], v47 offset:1056
	v_add_nc_u32_e32 v19, 48, v18
	s_or_b32 s2, s2, exec_lo
	s_waitcnt lgkmcnt(0)
	v_xor_b32_e32 v9, 0x80000000, v9
	ds_write_b64 v18, v[6:7] offset:48
.LBB22_110:
	s_or_b32 exec_lo, exec_lo, s3
	v_add_nc_u32_e32 v16, 0x4700, v22
	s_and_saveexec_b32 s3, s2
; %bb.111:
	ds_write_b64 v19, v[8:9] offset:8
; %bb.112:
	s_or_b32 exec_lo, exec_lo, s3
	s_waitcnt lgkmcnt(0)
	s_barrier
	buffer_gl0_inv
	ds_read_b128 v[6:9], v34
	ds_read_b128 v[18:21], v16 offset:512
	ds_read_b128 v[22:25], v16 offset:528
	ds_read_b128 v[26:29], v47
	ds_read_b128 v[30:33], v47 offset:1056
	ds_read_b128 v[48:51], v16 offset:544
	ds_read_b128 v[52:55], v47 offset:528
	v_cmp_eq_u32_e64 s2, 1, v13
	s_waitcnt lgkmcnt(5)
	v_mul_f64 v[35:36], v[20:21], v[8:9]
	v_mul_f64 v[8:9], v[18:19], v[8:9]
	s_waitcnt lgkmcnt(3)
	v_mul_f64 v[42:43], v[24:25], v[28:29]
	v_mul_f64 v[28:29], v[22:23], v[28:29]
	v_fma_f64 v[18:19], v[18:19], v[6:7], -v[35:36]
	v_fma_f64 v[20:21], v[20:21], v[6:7], v[8:9]
	s_waitcnt lgkmcnt(0)
	v_mul_f64 v[35:36], v[50:51], v[54:55]
	v_mul_f64 v[54:55], v[48:49], v[54:55]
	v_fma_f64 v[22:23], v[22:23], v[26:27], -v[42:43]
	v_fma_f64 v[24:25], v[24:25], v[26:27], v[28:29]
	ds_read_b128 v[6:9], v16 offset:560
	s_waitcnt lgkmcnt(0)
	s_barrier
	buffer_gl0_inv
	v_add_f64 v[18:19], v[18:19], 0
	v_add_f64 v[20:21], v[20:21], 0
	v_mul_f64 v[26:27], v[8:9], v[32:33]
	v_mul_f64 v[28:29], v[6:7], v[32:33]
	v_fma_f64 v[32:33], v[48:49], v[52:53], -v[35:36]
	v_fma_f64 v[35:36], v[50:51], v[52:53], v[54:55]
	v_add_f64 v[18:19], v[18:19], v[22:23]
	v_add_f64 v[20:21], v[20:21], v[24:25]
	v_fma_f64 v[6:7], v[6:7], v[30:31], -v[26:27]
	v_fma_f64 v[8:9], v[8:9], v[30:31], v[28:29]
	v_add_f64 v[18:19], v[18:19], v[32:33]
	v_add_f64 v[20:21], v[20:21], v[35:36]
	;; [unrolled: 1-line block ×4, first 2 shown]
	ds_write_b128 v46, v[6:9]
	s_waitcnt lgkmcnt(0)
	s_barrier
	buffer_gl0_inv
	s_and_saveexec_b32 s3, s2
	s_cbranch_execz .LBB22_114
; %bb.113:
	ds_read_b128 v[2:5], v45
	ds_read_b128 v[6:9], v45 offset:16
	s_waitcnt lgkmcnt(0)
	v_add_f64 v[18:19], v[6:7], v[2:3]
	v_add_f64 v[20:21], v[8:9], v[4:5]
	ds_read_b128 v[2:5], v45 offset:32
	ds_read_b128 v[6:9], v45 offset:48
	s_waitcnt lgkmcnt(1)
	v_add_f64 v[2:3], v[18:19], v[2:3]
	v_add_f64 v[4:5], v[20:21], v[4:5]
	s_waitcnt lgkmcnt(0)
	v_add_f64 v[18:19], v[2:3], v[6:7]
	v_add_f64 v[20:21], v[4:5], v[8:9]
	ds_read_b128 v[2:5], v45 offset:64
	ds_read_b128 v[6:9], v45 offset:80
	s_waitcnt lgkmcnt(1)
	v_add_f64 v[2:3], v[18:19], v[2:3]
	v_add_f64 v[4:5], v[20:21], v[4:5]
	;; [unrolled: 8-line block ×3, first 2 shown]
	s_waitcnt lgkmcnt(0)
	v_add_f64 v[2:3], v[2:3], v[6:7]
	v_add_f64 v[4:5], v[4:5], v[8:9]
.LBB22_114:
	s_or_b32 exec_lo, exec_lo, s3
	v_add_co_u32 v6, vcc_lo, 0xfffffe00, v11
	v_add_co_ci_u32_e64 v7, null, -1, v12, vcc_lo
	s_and_b32 vcc_lo, exec_lo, s17
	s_barrier
	buffer_gl0_inv
	s_cbranch_vccz .LBB22_136
; %bb.115:
	v_sub_co_u32 v8, vcc_lo, v11, v14
	s_ashr_i32 s13, s12, 31
	v_subrev_co_ci_u32_e64 v9, null, 0, v12, vcc_lo
	s_lshl_b64 s[8:9], s[12:13], 4
	s_sub_i32 s10, s12, 32
	v_add_co_u32 v8, vcc_lo, v8, s8
	v_add_co_ci_u32_e64 v9, null, s9, v9, vcc_lo
	v_cmp_le_i32_e64 s3, s10, v13
	v_add_co_u32 v8, vcc_lo, 0xfffffdf0, v8
	v_add_co_ci_u32_e64 v9, null, -1, v9, vcc_lo
	v_cmp_gt_i32_e32 vcc_lo, s12, v10
	v_cndmask_b32_e32 v9, v9, v7, vcc_lo
	v_cndmask_b32_e32 v8, v8, v6, vcc_lo
	s_and_saveexec_b32 s13, s3
	s_xor_b32 s3, exec_lo, s13
	s_cbranch_execz .LBB22_117
; %bb.116:
	v_mov_b32_e32 v18, 0
	v_mov_b32_e32 v19, v18
	;; [unrolled: 1-line block ×4, first 2 shown]
	ds_write_b128 v17, v[18:21]
.LBB22_117:
	s_andn2_saveexec_b32 s3, s3
	s_cbranch_execz .LBB22_119
; %bb.118:
	global_load_dwordx4 v[18:21], v[8:9], off
	s_waitcnt vmcnt(0)
	ds_write2_b64 v17, v[18:19], v[20:21] offset1:1
.LBB22_119:
	s_or_b32 exec_lo, exec_lo, s3
	v_add_nc_u32_e32 v10, 8, v13
	v_add_nc_u32_e32 v20, v15, v14
	v_cmp_le_i32_e64 s3, s10, v10
	s_and_saveexec_b32 s13, s3
	s_xor_b32 s3, exec_lo, s13
	s_cbranch_execz .LBB22_121
; %bb.120:
	v_mov_b32_e32 v21, 0
	v_mov_b32_e32 v22, v21
	;; [unrolled: 1-line block ×4, first 2 shown]
	ds_write_b128 v20, v[21:24] offset:4224
.LBB22_121:
	s_andn2_saveexec_b32 s13, s3
	s_cbranch_execz .LBB22_123
; %bb.122:
	s_lshl_b32 s22, s14, 3
	s_ashr_i32 s23, s22, 31
	s_lshl_b64 s[22:23], s[22:23], 4
	v_add_co_u32 v18, s3, v8, s22
	v_add_co_ci_u32_e64 v19, null, s23, v9, s3
	global_load_dwordx4 v[21:24], v[18:19], off
	v_add3_u32 v18, v15, v14, 0x1080
	s_waitcnt vmcnt(0)
	ds_write2_b64 v18, v[21:22], v[23:24] offset1:1
.LBB22_123:
	s_or_b32 exec_lo, exec_lo, s13
	v_add_nc_u32_e32 v19, 16, v13
	v_cmp_le_i32_e64 s3, s10, v19
	s_and_saveexec_b32 s13, s3
	s_xor_b32 s3, exec_lo, s13
	s_cbranch_execz .LBB22_125
; %bb.124:
	v_mov_b32_e32 v21, 0
	v_mov_b32_e32 v22, v21
	;; [unrolled: 1-line block ×4, first 2 shown]
	ds_write_b128 v20, v[21:24] offset:8448
.LBB22_125:
	s_andn2_saveexec_b32 s13, s3
	s_cbranch_execz .LBB22_127
; %bb.126:
	s_lshl_b32 s22, s14, 4
	v_add3_u32 v18, v15, v14, 0x2100
	s_ashr_i32 s23, s22, 31
	s_lshl_b64 s[22:23], s[22:23], 4
	v_add_co_u32 v21, s3, v8, s22
	v_add_co_ci_u32_e64 v22, null, s23, v9, s3
	global_load_dwordx4 v[21:24], v[21:22], off
	s_waitcnt vmcnt(0)
	ds_write2_b64 v18, v[21:22], v[23:24] offset1:1
.LBB22_127:
	s_or_b32 exec_lo, exec_lo, s13
	v_add_nc_u32_e32 v18, 24, v13
	v_cmp_le_i32_e64 s3, s10, v18
	s_and_saveexec_b32 s10, s3
	s_xor_b32 s3, exec_lo, s10
	s_cbranch_execz .LBB22_129
; %bb.128:
	v_mov_b32_e32 v21, 0
                                        ; implicit-def: $vgpr15
	v_mov_b32_e32 v22, v21
	v_mov_b32_e32 v23, v21
	;; [unrolled: 1-line block ×3, first 2 shown]
	ds_write_b128 v20, v[21:24] offset:12672
.LBB22_129:
	s_andn2_saveexec_b32 s10, s3
	s_cbranch_execz .LBB22_131
; %bb.130:
	s_mul_i32 s22, s14, 24
	v_add3_u32 v15, v15, v14, 0x3180
	s_ashr_i32 s23, s22, 31
	s_lshl_b64 s[22:23], s[22:23], 4
	v_add_co_u32 v20, s3, v8, s22
	v_add_co_ci_u32_e64 v21, null, s23, v9, s3
	global_load_dwordx4 v[20:23], v[20:21], off
	s_waitcnt vmcnt(0)
	ds_write2_b64 v15, v[20:21], v[22:23] offset1:1
.LBB22_131:
	s_or_b32 exec_lo, exec_lo, s10
	v_add_co_u32 v8, s3, v8, v14
	v_add_co_ci_u32_e64 v9, null, 0, v9, s3
	v_sub_co_u32 v8, s3, v8, s8
	v_subrev_co_ci_u32_e64 v9, null, s9, v9, s3
	v_add_co_u32 v8, s3, v8, 16
	v_add_co_ci_u32_e64 v9, null, 0, v9, s3
	v_cndmask_b32_e32 v42, v8, v6, vcc_lo
	v_cndmask_b32_e32 v43, v9, v7, vcc_lo
	s_branch .LBB22_138
.LBB22_132:
	ds_read_b128 v[6:9], v47
	s_mov_b32 s2, exec_lo
	v_add_nc_u32_e32 v23, 16, v18
                                        ; implicit-def: $vgpr19
	s_waitcnt lgkmcnt(0)
	v_xor_b32_e32 v9, 0x80000000, v9
	ds_write_b64 v18, v[6:7] offset:16
	s_andn2_saveexec_b32 s3, s3
	s_cbranch_execz .LBB22_94
.LBB22_133:
	s_mov_b32 s10, s2
	s_mov_b32 s13, exec_lo
                                        ; implicit-def: $vgpr23
	v_cmpx_eq_u32_e64 v19, v10
; %bb.134:
	v_add_nc_u32_e32 v23, v14, v16
	s_or_b32 s10, s2, exec_lo
; %bb.135:
	s_or_b32 exec_lo, exec_lo, s13
	v_mov_b32_e32 v8, 0
	v_mov_b32_e32 v9, 0
	s_andn2_b32 s2, s2, exec_lo
	s_and_b32 s10, s10, exec_lo
	s_or_b32 s2, s2, s10
	s_or_b32 exec_lo, exec_lo, s3
	s_and_saveexec_b32 s3, s2
	s_cbranch_execnz .LBB22_95
	s_branch .LBB22_96
.LBB22_136:
                                        ; implicit-def: $vgpr42_vgpr43
                                        ; implicit-def: $vgpr10
                                        ; implicit-def: $vgpr19
                                        ; implicit-def: $vgpr18
	s_cbranch_execz .LBB22_138
; %bb.137:
	s_lshl_b32 s8, s14, 3
	s_ashr_i32 s15, s14, 31
	s_ashr_i32 s9, s8, 31
	v_mov_b32_e32 v43, v7
	s_lshl_b64 s[8:9], s[8:9], 4
	v_add_nc_u32_e32 v19, 16, v13
	v_add_co_u32 v8, vcc_lo, v11, s8
	v_add_co_ci_u32_e64 v9, null, s9, v12, vcc_lo
	s_lshl_b64 s[8:9], s[14:15], 7
	v_add_nc_u32_e32 v18, 24, v13
	v_add_co_u32 v10, vcc_lo, v8, s8
	v_add_co_ci_u32_e64 v11, null, s9, v9, vcc_lo
	v_mov_b32_e32 v42, v6
	v_add_co_u32 v14, vcc_lo, v10, s8
	v_add_co_ci_u32_e64 v15, null, s9, v11, vcc_lo
	s_clause 0x3
	global_load_dwordx4 v[20:23], v[6:7], off
	global_load_dwordx4 v[24:27], v[8:9], off offset:-512
	global_load_dwordx4 v[28:31], v[10:11], off offset:-512
	;; [unrolled: 1-line block ×3, first 2 shown]
	v_add_nc_u32_e32 v10, 8, v13
	v_add_nc_u32_e32 v8, 0x1080, v17
	;; [unrolled: 1-line block ×4, first 2 shown]
	s_waitcnt vmcnt(3)
	ds_write2_b64 v17, v[20:21], v[22:23] offset1:1
	s_waitcnt vmcnt(2)
	ds_write2_b64 v8, v[24:25], v[26:27] offset1:1
	;; [unrolled: 2-line block ×4, first 2 shown]
.LBB22_138:
	v_lshlrev_b32_e32 v11, 4, v13
	s_waitcnt lgkmcnt(0)
	s_barrier
	buffer_gl0_inv
	v_lshlrev_b32_e32 v10, 4, v10
	v_add_nc_u32_e32 v6, v45, v11
	ds_read_b128 v[6:9], v6
	ds_read_b128 v[11:14], v11 offset:18176
	v_add_nc_u32_e32 v15, v45, v10
	ds_read_b128 v[20:23], v15
	ds_read_b128 v[24:27], v10 offset:18176
	v_lshlrev_b32_e32 v10, 4, v19
	v_add_nc_u32_e32 v15, v45, v10
	ds_read_b128 v[28:31], v15
	ds_read_b128 v[48:51], v10 offset:18176
	v_lshlrev_b32_e32 v10, 4, v18
	s_waitcnt lgkmcnt(4)
	v_mul_f64 v[32:33], v[8:9], v[13:14]
	v_mul_f64 v[8:9], v[8:9], v[11:12]
	s_waitcnt lgkmcnt(2)
	v_mul_f64 v[35:36], v[22:23], v[26:27]
	v_mul_f64 v[22:23], v[22:23], v[24:25]
	s_waitcnt lgkmcnt(0)
	v_mul_f64 v[17:18], v[30:31], v[50:51]
	v_mul_f64 v[30:31], v[30:31], v[48:49]
	v_fma_f64 v[32:33], v[6:7], v[11:12], v[32:33]
	v_fma_f64 v[14:15], v[6:7], v[13:14], -v[8:9]
	v_add_nc_u32_e32 v6, v45, v10
	ds_read_b128 v[6:9], v6
	ds_read_b128 v[10:13], v10 offset:18176
	v_fma_f64 v[24:25], v[20:21], v[24:25], v[35:36]
	v_fma_f64 v[19:20], v[20:21], v[26:27], -v[22:23]
	v_fma_f64 v[17:18], v[28:29], v[48:49], v[17:18]
	v_fma_f64 v[28:29], v[28:29], v[50:51], -v[30:31]
	v_add_f64 v[21:22], v[32:33], 0
	v_add_f64 v[14:15], v[14:15], 0
	s_waitcnt lgkmcnt(0)
	v_mul_f64 v[26:27], v[8:9], v[12:13]
	v_mul_f64 v[8:9], v[8:9], v[10:11]
	v_add_f64 v[21:22], v[21:22], v[24:25]
	v_add_f64 v[14:15], v[14:15], v[19:20]
	v_fma_f64 v[10:11], v[6:7], v[10:11], v[26:27]
	v_fma_f64 v[6:7], v[6:7], v[12:13], -v[8:9]
	v_add_f64 v[8:9], v[21:22], v[17:18]
	v_add_f64 v[12:13], v[14:15], v[28:29]
	ds_read_b128 v[30:33], v16 offset:512
	ds_read_b128 v[22:25], v16 offset:528
	v_add_f64 v[48:49], v[8:9], v[10:11]
	v_add_f64 v[50:51], v[12:13], v[6:7]
	ds_read_b128 v[10:13], v16 offset:544
	ds_read_b128 v[6:9], v16 offset:560
	ds_read_b128 v[26:29], v47
	ds_read_b128 v[18:21], v47 offset:528
	ds_read_b128 v[34:37], v34
	ds_read_b128 v[14:17], v47 offset:1056
	s_waitcnt lgkmcnt(0)
	s_barrier
	buffer_gl0_inv
	ds_write_b128 v46, v[48:51]
	s_waitcnt lgkmcnt(0)
	s_barrier
	buffer_gl0_inv
	s_and_saveexec_b32 s3, s2
	s_cbranch_execz .LBB22_140
; %bb.139:
	ds_read_b128 v[47:50], v45
	ds_read_b128 v[51:54], v45 offset:16
	s_waitcnt lgkmcnt(1)
	v_add_f64 v[2:3], v[2:3], v[47:48]
	v_add_f64 v[4:5], v[4:5], v[49:50]
	s_waitcnt lgkmcnt(0)
	v_add_f64 v[51:52], v[2:3], v[51:52]
	v_add_f64 v[53:54], v[4:5], v[53:54]
	ds_read_b128 v[2:5], v45 offset:32
	ds_read_b128 v[47:50], v45 offset:48
	s_waitcnt lgkmcnt(1)
	v_add_f64 v[2:3], v[51:52], v[2:3]
	v_add_f64 v[4:5], v[53:54], v[4:5]
	s_waitcnt lgkmcnt(0)
	v_add_f64 v[51:52], v[2:3], v[47:48]
	v_add_f64 v[53:54], v[4:5], v[49:50]
	ds_read_b128 v[2:5], v45 offset:64
	ds_read_b128 v[47:50], v45 offset:80
	s_waitcnt lgkmcnt(1)
	v_add_f64 v[2:3], v[51:52], v[2:3]
	v_add_f64 v[4:5], v[53:54], v[4:5]
	s_waitcnt lgkmcnt(0)
	v_add_f64 v[51:52], v[2:3], v[47:48]
	v_add_f64 v[53:54], v[4:5], v[49:50]
	ds_read_b128 v[2:5], v45 offset:96
	ds_read_b128 v[47:50], v45 offset:112
	s_waitcnt lgkmcnt(1)
	v_add_f64 v[2:3], v[51:52], v[2:3]
	v_add_f64 v[4:5], v[53:54], v[4:5]
	s_waitcnt lgkmcnt(0)
	v_add_f64 v[2:3], v[2:3], v[47:48]
	v_add_f64 v[4:5], v[4:5], v[49:50]
.LBB22_140:
	s_or_b32 exec_lo, exec_lo, s3
	v_mul_f64 v[47:48], v[32:33], v[36:37]
	v_mul_f64 v[36:37], v[30:31], v[36:37]
	;; [unrolled: 1-line block ×4, first 2 shown]
	s_barrier
	buffer_gl0_inv
	v_fma_f64 v[30:31], v[30:31], v[34:35], -v[47:48]
	v_fma_f64 v[32:33], v[32:33], v[34:35], v[36:37]
	v_mul_f64 v[34:35], v[12:13], v[20:21]
	v_mul_f64 v[20:21], v[10:11], v[20:21]
	v_fma_f64 v[22:23], v[22:23], v[26:27], -v[49:50]
	v_fma_f64 v[24:25], v[24:25], v[26:27], v[28:29]
	v_add_f64 v[26:27], v[30:31], 0
	v_add_f64 v[28:29], v[32:33], 0
	v_mul_f64 v[30:31], v[8:9], v[16:17]
	v_mul_f64 v[16:17], v[6:7], v[16:17]
	v_fma_f64 v[10:11], v[10:11], v[18:19], -v[34:35]
	v_fma_f64 v[12:13], v[12:13], v[18:19], v[20:21]
	v_add_f64 v[18:19], v[26:27], v[22:23]
	v_add_f64 v[20:21], v[28:29], v[24:25]
	v_fma_f64 v[6:7], v[6:7], v[14:15], -v[30:31]
	v_fma_f64 v[8:9], v[8:9], v[14:15], v[16:17]
	v_add_f64 v[10:11], v[18:19], v[10:11]
	v_add_f64 v[12:13], v[20:21], v[12:13]
	;; [unrolled: 1-line block ×4, first 2 shown]
	ds_write_b128 v46, v[6:9]
	s_waitcnt lgkmcnt(0)
	s_barrier
	buffer_gl0_inv
	s_and_saveexec_b32 s2, s1
	s_cbranch_execz .LBB22_142
; %bb.141:
	ds_read_b128 v[6:9], v45
	ds_read_b128 v[10:13], v45 offset:16
	s_waitcnt lgkmcnt(1)
	v_add_f64 v[2:3], v[2:3], v[6:7]
	v_add_f64 v[4:5], v[4:5], v[8:9]
	s_waitcnt lgkmcnt(0)
	v_add_f64 v[10:11], v[2:3], v[10:11]
	v_add_f64 v[12:13], v[4:5], v[12:13]
	ds_read_b128 v[2:5], v45 offset:32
	ds_read_b128 v[6:9], v45 offset:48
	s_waitcnt lgkmcnt(1)
	v_add_f64 v[2:3], v[10:11], v[2:3]
	v_add_f64 v[4:5], v[12:13], v[4:5]
	s_waitcnt lgkmcnt(0)
	v_add_f64 v[10:11], v[2:3], v[6:7]
	v_add_f64 v[12:13], v[4:5], v[8:9]
	ds_read_b128 v[2:5], v45 offset:64
	;; [unrolled: 8-line block ×3, first 2 shown]
	ds_read_b128 v[6:9], v45 offset:112
	s_waitcnt lgkmcnt(1)
	v_add_f64 v[2:3], v[10:11], v[2:3]
	v_add_f64 v[4:5], v[12:13], v[4:5]
	s_waitcnt lgkmcnt(0)
	v_add_f64 v[2:3], v[2:3], v[6:7]
	v_add_f64 v[4:5], v[4:5], v[8:9]
.LBB22_142:
	s_or_b32 exec_lo, exec_lo, s2
	s_load_dwordx2 s[2:3], s[4:5], 0x78
	s_mul_hi_u32 s1, s28, s7
	s_mul_i32 s11, s11, s7
	s_mul_i32 s4, s28, s7
	s_add_i32 s1, s1, s11
	s_mul_hi_u32 s5, s4, s24
	s_mul_i32 s1, s1, s24
	s_mul_i32 s4, s4, s24
	s_add_i32 s5, s5, s1
	s_mul_hi_i32 s9, s28, s6
	s_lshl_b64 s[4:5], s[4:5], 4
	s_mul_i32 s8, s28, s6
	v_lshlrev_b32_e32 v170, 4, v0
	s_waitcnt lgkmcnt(0)
	s_barrier
	buffer_gl0_inv
	s_add_u32 s1, s2, s4
	s_addc_u32 s4, s3, s5
	s_lshl_b64 s[2:3], s[8:9], 4
	s_add_u32 s7, s1, s2
	s_addc_u32 s13, s4, s3
	s_add_i32 s2, s6, 1
	s_cmp_ge_u32 s2, s24
	s_cbranch_scc1 .LBB22_200
; %bb.143:
	v_lshlrev_b32_e32 v171, 2, v1
	v_lshrrev_b32_e32 v8, 4, v44
	s_mul_i32 s4, s27, s16
	v_and_b32_e32 v9, 15, v0
	v_and_b32_e32 v11, 48, v0
	v_mad_u64_u32 v[6:7], null, s14, v171, v[0:1]
	v_lshlrev_b32_e32 v10, 6, v8
	s_ashr_i32 s5, s4, 31
	v_mul_i32_i24_e32 v12, 0xffffffd0, v8
	s_lshl_b64 s[4:5], s[4:5], 4
	s_lshl_b32 s10, s14, 4
	v_mad_u32_u24 v178, 0x430, v9, v10
	v_ashrrev_i32_e32 v7, 31, v6
	v_lshlrev_b32_e32 v10, 4, v11
	v_or_b32_e32 v11, 0xf0, v170
	v_sub_co_u32 v172, vcc_lo, v38, s4
	v_subrev_co_ci_u32_e64 v173, null, s5, v39, vcc_lo
	v_add_co_u32 v8, vcc_lo, s20, v6
	v_mad_u32_u24 v179, 0x430, v9, v10
	v_mad_u32_u24 v180, 0x430, v9, v11
	v_add_co_ci_u32_e64 v9, null, s21, v7, vcc_lo
	v_lshlrev_b64 v[6:7], 4, v[6:7]
	s_mul_i32 s16, s14, 3
	s_ashr_i32 s15, s14, 31
	v_lshlrev_b64 v[8:9], 4, v[8:9]
	s_ashr_i32 s17, s16, 31
	v_sub_co_u32 v195, vcc_lo, 0, v40
	s_lshl_b32 s23, s27, 6
	s_ashr_i32 s11, s10, 31
	v_mad_i64_i32 v[10:11], null, s10, 48, v[8:9]
	s_lshl_b32 s28, s14, 1
	s_mul_i32 s27, s27, s2
	s_lshl_b64 s[2:3], s[14:15], 4
	v_sub_co_ci_u32_e64 v196, null, 0, v41, vcc_lo
	v_add_co_u32 v13, vcc_lo, s18, v6
	s_mul_i32 s5, s14, 0x300
	s_lshl_b64 s[16:17], s[16:17], 4
	s_lshl_b64 s[14:15], s[14:15], 5
	s_add_i32 s22, s24, -2
	s_ashr_i32 s29, s28, 31
	s_lshl_b32 s4, s27, 6
	s_lshl_b64 s[8:9], s[10:11], 6
	v_add_co_ci_u32_e64 v14, null, s19, v7, vcc_lo
	v_add_co_u32 v15, vcc_lo, v10, s16
	s_add_u32 s27, s14, s18
	s_mul_hi_i32 s20, s10, 48
	s_addc_u32 s30, s15, s19
	v_add_co_ci_u32_e64 v16, null, s17, v11, vcc_lo
	v_add_co_u32 v17, vcc_lo, s27, v6
	s_add_u32 s5, s5, s14
	s_addc_u32 s14, s20, s15
	v_add_co_ci_u32_e64 v18, null, s30, v7, vcc_lo
	v_add_co_u32 v8, vcc_lo, s5, v8
	s_add_u32 s5, s2, s18
	v_add_co_ci_u32_e64 v9, null, s14, v9, vcc_lo
	s_addc_u32 s31, s3, s19
	v_add_co_u32 v19, vcc_lo, s5, v6
	s_lshl_b64 s[14:15], s[28:29], 4
	v_add_co_ci_u32_e64 v20, null, s31, v7, vcc_lo
	v_add_co_u32 v21, vcc_lo, v10, s14
	s_add_u32 s20, s18, s14
	v_add_co_ci_u32_e64 v22, null, s15, v11, vcc_lo
	s_addc_u32 s21, s19, s15
	v_add_co_u32 v23, vcc_lo, s20, v6
	v_add_co_ci_u32_e64 v24, null, s21, v7, vcc_lo
	v_add_co_u32 v25, vcc_lo, v10, s2
	s_add_u32 s20, s18, s16
	v_add_co_ci_u32_e64 v26, null, s3, v11, vcc_lo
	s_addc_u32 s21, s19, s17
	v_add_co_u32 v27, vcc_lo, s20, v6
	v_add_co_ci_u32_e64 v28, null, s21, v7, vcc_lo
	s_lshl_b64 s[20:21], s[10:11], 4
	v_add_co_u32 v197, vcc_lo, v42, v10
	s_add_u32 s28, s18, s20
	s_addc_u32 s29, s19, s21
	s_lshl_b64 s[10:11], s[10:11], 5
	v_add_co_ci_u32_e64 v198, null, v43, v11, vcc_lo
	s_add_u32 s18, s10, s18
	s_addc_u32 s19, s11, s19
	v_add_co_u32 v10, vcc_lo, s28, v6
	s_add_u32 s33, s18, s16
	s_addc_u32 s34, s19, s17
	v_add_co_ci_u32_e64 v11, null, s29, v7, vcc_lo
	v_add_co_u32 v29, vcc_lo, s33, v6
	s_add_u32 s5, s5, s20
	s_addc_u32 s31, s31, s21
	v_add_co_ci_u32_e64 v30, null, s34, v7, vcc_lo
	v_add_co_u32 v31, vcc_lo, s5, v6
	s_add_u32 s5, s27, s10
	v_add_co_ci_u32_e64 v32, null, s31, v7, vcc_lo
	s_addc_u32 s10, s30, s11
	v_add_co_u32 v33, vcc_lo, s5, v6
	s_add_u32 s5, s28, s14
	v_add_co_ci_u32_e64 v34, null, s10, v7, vcc_lo
	s_addc_u32 s10, s29, s15
	;; [unrolled: 4-line block ×4, first 2 shown]
	v_add_co_u32 v39, vcc_lo, s5, v6
	s_add_u32 s2, s18, s2
	s_addc_u32 s3, s19, s3
	v_add_co_ci_u32_e64 v40, null, s10, v7, vcc_lo
	v_add_co_u32 v41, vcc_lo, s2, v6
	s_add_u32 s2, s28, s16
	v_cmp_gt_u32_e64 s1, 64, v44
	v_add_co_ci_u32_e64 v44, null, s3, v7, vcc_lo
	s_addc_u32 s3, s29, s17
	v_add_co_u32 v45, vcc_lo, s2, v6
	v_add_co_ci_u32_e64 v46, null, s3, v7, vcc_lo
	v_add_co_u32 v6, vcc_lo, s18, v6
	v_add_co_ci_u32_e64 v7, null, s19, v7, vcc_lo
	;; [unrolled: 2-line block ×31, first 2 shown]
	v_add_co_u32 v236, vcc_lo, v6, 8
	v_add_nc_u32_e32 v174, 0x4300, v170
	v_lshl_add_u32 v175, v1, 6, 0x4300
	v_add_nc_u32_e32 v176, 0x4700, v170
	v_mad_u32_u24 v177, 0x10c0, v1, v170
	v_or_b32_e32 v181, 1, v171
	v_or_b32_e32 v182, 2, v171
	;; [unrolled: 1-line block ×3, first 2 shown]
	v_add_nc_u32_e32 v184, 16, v171
	v_add_nc_u32_e32 v185, 17, v171
	;; [unrolled: 1-line block ×13, first 2 shown]
	v_add_co_ci_u32_e64 v237, null, 0, v7, vcc_lo
	v_add_nc_u32_e32 v238, v178, v12
	v_mov_b32_e32 v6, 0
	s_cmp_eq_u32 s22, s6
	s_cselect_b32 s3, s25, 0
	s_and_saveexec_b32 s2, s0
	s_cbranch_execz .LBB22_148
.LBB22_144:
	v_cmp_le_i32_e32 vcc_lo, s3, v0
	s_cmp_lg_u32 s3, 0
	s_cselect_b32 s5, -1, 0
	s_and_b32 s5, s5, vcc_lo
	s_and_saveexec_b32 s10, s5
	s_xor_b32 s5, exec_lo, s10
	s_cbranch_execz .LBB22_146
; %bb.145:
	v_mov_b32_e32 v7, v6
	v_mov_b32_e32 v8, v6
	;; [unrolled: 1-line block ×3, first 2 shown]
	ds_write_b128 v174, v[6:9]
.LBB22_146:
	s_andn2_saveexec_b32 s5, s5
	s_cbranch_execz .LBB22_148
; %bb.147:
	s_ashr_i32 s5, s4, 31
	s_lshl_b64 s[10:11], s[4:5], 4
	v_add_co_u32 v7, vcc_lo, v172, s10
	v_add_co_ci_u32_e64 v8, null, s11, v173, vcc_lo
	global_load_dwordx4 v[7:10], v[7:8], off
	s_waitcnt vmcnt(0)
	ds_write2_b64 v174, v[7:8], v[9:10] offset1:1
.LBB22_148:                             ; =>This Inner Loop Header: Depth=1
	s_or_b32 exec_lo, exec_lo, s2
	s_cmp_eq_u32 s3, 0
	v_add_co_u32 v19, vcc_lo, v216, v195
	s_cselect_b32 s5, -1, 0
	s_cmp_lg_u32 s3, 0
	v_add_co_ci_u32_e64 v20, null, v217, v196, vcc_lo
	s_cselect_b32 s2, -1, 0
	s_waitcnt lgkmcnt(0)
	s_and_b32 vcc_lo, exec_lo, s2
	s_barrier
	buffer_gl0_inv
	s_cbranch_vccz .LBB22_156
; %bb.149:                              ;   in Loop: Header=BB22_148 Depth=1
	v_mov_b32_e32 v7, 0
	v_mov_b32_e32 v11, 0
	;; [unrolled: 1-line block ×6, first 2 shown]
	s_mov_b32 s10, exec_lo
	v_cmpx_gt_i32_e64 s3, v171
	s_cbranch_execz .LBB22_151
; %bb.150:                              ;   in Loop: Header=BB22_148 Depth=1
	global_load_dwordx4 v[11:14], v[19:20], off offset:-8
.LBB22_151:                             ;   in Loop: Header=BB22_148 Depth=1
	s_or_b32 exec_lo, exec_lo, s10
	v_mov_b32_e32 v9, 0
	v_mov_b32_e32 v10, 0
	s_mov_b32 s10, exec_lo
	v_cmpx_gt_i32_e64 s3, v181
	s_cbranch_execz .LBB22_153
; %bb.152:                              ;   in Loop: Header=BB22_148 Depth=1
	v_add_co_u32 v7, vcc_lo, v220, v195
	v_add_co_ci_u32_e64 v8, null, v221, v196, vcc_lo
	global_load_dwordx4 v[7:10], v[7:8], off offset:-8
.LBB22_153:                             ;   in Loop: Header=BB22_148 Depth=1
	s_or_b32 exec_lo, exec_lo, s10
	v_mov_b32_e32 v15, 0
	v_mov_b32_e32 v17, 0
	;; [unrolled: 1-line block ×4, first 2 shown]
	s_mov_b32 s10, exec_lo
	v_cmpx_gt_i32_e64 s3, v182
	s_cbranch_execz .LBB22_155
; %bb.154:                              ;   in Loop: Header=BB22_148 Depth=1
	v_add_co_u32 v15, vcc_lo, v222, v195
	v_add_co_ci_u32_e64 v16, null, v223, v196, vcc_lo
	global_load_dwordx4 v[15:18], v[15:16], off offset:-8
.LBB22_155:                             ;   in Loop: Header=BB22_148 Depth=1
	s_or_b32 exec_lo, exec_lo, s10
	v_cmp_gt_i32_e64 s10, s3, v183
	s_branch .LBB22_158
.LBB22_156:                             ;   in Loop: Header=BB22_148 Depth=1
	s_mov_b32 s10, 0
                                        ; implicit-def: $vgpr17_vgpr18
                                        ; implicit-def: $vgpr9_vgpr10
                                        ; implicit-def: $vgpr13_vgpr14
	s_cbranch_execz .LBB22_158
; %bb.157:                              ;   in Loop: Header=BB22_148 Depth=1
	s_waitcnt vmcnt(0)
	v_add_co_u32 v7, vcc_lo, v220, v195
	v_add_co_ci_u32_e64 v8, null, v221, v196, vcc_lo
	v_add_co_u32 v15, vcc_lo, v202, v195
	v_add_co_ci_u32_e64 v16, null, v203, v196, vcc_lo
	global_load_dwordx4 v[11:14], v[19:20], off offset:-8
	global_load_dwordx4 v[7:10], v[7:8], off offset:-8
	global_load_dwordx4 v[15:18], v[15:16], off
	s_or_b32 s10, s10, exec_lo
.LBB22_158:                             ;   in Loop: Header=BB22_148 Depth=1
	v_mov_b32_e32 v19, 0
	v_mov_b32_e32 v21, 0
	;; [unrolled: 1-line block ×4, first 2 shown]
	s_and_saveexec_b32 s11, s10
	s_cbranch_execz .LBB22_160
; %bb.159:                              ;   in Loop: Header=BB22_148 Depth=1
	v_add_co_u32 v19, vcc_lo, v224, v195
	v_add_co_ci_u32_e64 v20, null, v225, v196, vcc_lo
	global_load_dwordx4 v[19:22], v[19:20], off offset:-8
.LBB22_160:                             ;   in Loop: Header=BB22_148 Depth=1
	s_or_b32 exec_lo, exec_lo, s11
	ds_read_b128 v[23:26], v176
	v_cndmask_b32_e64 v95, 0, 1, s2
	s_waitcnt vmcnt(0) lgkmcnt(0)
	v_mul_f64 v[27:28], v[13:14], v[25:26]
	v_mul_f64 v[29:30], v[13:14], v[23:24]
	;; [unrolled: 1-line block ×8, first 2 shown]
	v_fma_f64 v[39:40], v[11:12], v[23:24], v[27:28]
	v_fma_f64 v[41:42], v[11:12], v[25:26], -v[29:30]
	v_fma_f64 v[43:44], v[7:8], v[23:24], v[31:32]
	v_fma_f64 v[45:46], v[7:8], v[25:26], -v[33:34]
	;; [unrolled: 2-line block ×4, first 2 shown]
	ds_read_b128 v[35:38], v175
	ds_read_b128 v[31:34], v175 offset:16
	ds_read_b128 v[27:30], v175 offset:32
	ds_read_b128 v[23:26], v175 offset:48
	ds_write_b128 v177, v[39:42]
	ds_write_b128 v177, v[43:46] offset:1072
	ds_write_b128 v177, v[47:50] offset:2144
	;; [unrolled: 1-line block ×3, first 2 shown]
	s_waitcnt lgkmcnt(0)
	s_barrier
	buffer_gl0_inv
	ds_read_b128 v[131:134], v178
	ds_read_b128 v[127:130], v178 offset:16
	ds_read_b128 v[123:126], v178 offset:32
	ds_read_b128 v[119:122], v178 offset:48
	v_add_co_u32 v51, vcc_lo, v226, v195
	v_add_co_ci_u32_e64 v52, null, v227, v196, vcc_lo
	s_andn2_b32 vcc_lo, exec_lo, s2
	s_waitcnt lgkmcnt(0)
	s_barrier
	buffer_gl0_inv
	s_cbranch_vccnz .LBB22_168
; %bb.161:                              ;   in Loop: Header=BB22_148 Depth=1
	v_mov_b32_e32 v39, 0
	v_mov_b32_e32 v43, 0
	;; [unrolled: 1-line block ×6, first 2 shown]
	s_mov_b32 s2, exec_lo
	v_cmpx_gt_i32_e64 s3, v184
	s_cbranch_execz .LBB22_163
; %bb.162:                              ;   in Loop: Header=BB22_148 Depth=1
	global_load_dwordx4 v[43:46], v[51:52], off offset:-8
.LBB22_163:                             ;   in Loop: Header=BB22_148 Depth=1
	s_or_b32 exec_lo, exec_lo, s2
	v_mov_b32_e32 v41, 0
	v_mov_b32_e32 v42, 0
	s_mov_b32 s2, exec_lo
	v_cmpx_gt_i32_e64 s3, v185
	s_cbranch_execz .LBB22_165
; %bb.164:                              ;   in Loop: Header=BB22_148 Depth=1
	v_add_co_u32 v39, vcc_lo, v228, v195
	v_add_co_ci_u32_e64 v40, null, v229, v196, vcc_lo
	global_load_dwordx4 v[39:42], v[39:40], off offset:-8
.LBB22_165:                             ;   in Loop: Header=BB22_148 Depth=1
	s_or_b32 exec_lo, exec_lo, s2
	v_mov_b32_e32 v47, 0
	v_mov_b32_e32 v49, 0
	;; [unrolled: 1-line block ×4, first 2 shown]
	s_mov_b32 s2, exec_lo
	v_cmpx_gt_i32_e64 s3, v186
	s_cbranch_execz .LBB22_167
; %bb.166:                              ;   in Loop: Header=BB22_148 Depth=1
	v_add_co_u32 v47, vcc_lo, v232, v195
	v_add_co_ci_u32_e64 v48, null, v233, v196, vcc_lo
	global_load_dwordx4 v[47:50], v[47:48], off offset:-8
.LBB22_167:                             ;   in Loop: Header=BB22_148 Depth=1
	s_or_b32 exec_lo, exec_lo, s2
	v_cmp_gt_i32_e64 s2, s3, v187
	s_branch .LBB22_170
.LBB22_168:                             ;   in Loop: Header=BB22_148 Depth=1
	s_mov_b32 s2, 0
                                        ; implicit-def: $vgpr49_vgpr50
                                        ; implicit-def: $vgpr41_vgpr42
                                        ; implicit-def: $vgpr45_vgpr46
	s_cbranch_execz .LBB22_170
; %bb.169:                              ;   in Loop: Header=BB22_148 Depth=1
	s_waitcnt vmcnt(0)
	v_add_co_u32 v39, vcc_lo, v228, v195
	v_add_co_ci_u32_e64 v40, null, v229, v196, vcc_lo
	v_add_co_u32 v47, vcc_lo, v212, v195
	v_add_co_ci_u32_e64 v48, null, v213, v196, vcc_lo
	global_load_dwordx4 v[43:46], v[51:52], off offset:-8
	global_load_dwordx4 v[39:42], v[39:40], off offset:-8
	global_load_dwordx4 v[47:50], v[47:48], off
	s_or_b32 s2, s2, exec_lo
.LBB22_170:                             ;   in Loop: Header=BB22_148 Depth=1
	v_mov_b32_e32 v51, 0
	v_mov_b32_e32 v53, 0
	;; [unrolled: 1-line block ×4, first 2 shown]
	s_and_saveexec_b32 s10, s2
	s_cbranch_execz .LBB22_172
; %bb.171:                              ;   in Loop: Header=BB22_148 Depth=1
	v_add_co_u32 v51, vcc_lo, v234, v195
	v_add_co_ci_u32_e64 v52, null, v235, v196, vcc_lo
	global_load_dwordx4 v[51:54], v[51:52], off offset:-8
.LBB22_172:                             ;   in Loop: Header=BB22_148 Depth=1
	s_or_b32 exec_lo, exec_lo, s10
	ds_read_b128 v[55:58], v176
	v_cmp_ne_u32_e32 vcc_lo, 1, v95
	s_and_b32 vcc_lo, exec_lo, vcc_lo
	s_waitcnt vmcnt(0) lgkmcnt(0)
	v_mul_f64 v[59:60], v[45:46], v[57:58]
	v_mul_f64 v[61:62], v[45:46], v[55:56]
	;; [unrolled: 1-line block ×8, first 2 shown]
	v_fma_f64 v[71:72], v[43:44], v[55:56], v[59:60]
	v_fma_f64 v[73:74], v[43:44], v[57:58], -v[61:62]
	v_fma_f64 v[75:76], v[39:40], v[55:56], v[63:64]
	v_fma_f64 v[77:78], v[39:40], v[57:58], -v[65:66]
	;; [unrolled: 2-line block ×4, first 2 shown]
	ds_read_b128 v[67:70], v175 offset:256
	ds_read_b128 v[63:66], v175 offset:272
	;; [unrolled: 1-line block ×4, first 2 shown]
	ds_write_b128 v177, v[71:74]
	ds_write_b128 v177, v[75:78] offset:1072
	ds_write_b128 v177, v[79:82] offset:2144
	;; [unrolled: 1-line block ×3, first 2 shown]
	s_waitcnt lgkmcnt(0)
	s_barrier
	buffer_gl0_inv
	ds_read_b128 v[147:150], v178
	ds_read_b128 v[143:146], v178 offset:16
	ds_read_b128 v[139:142], v178 offset:32
	;; [unrolled: 1-line block ×3, first 2 shown]
	v_add_co_u32 v83, s2, v236, v195
	v_add_co_ci_u32_e64 v84, null, v237, v196, s2
	s_waitcnt lgkmcnt(0)
	s_barrier
	buffer_gl0_inv
	s_cbranch_vccnz .LBB22_180
; %bb.173:                              ;   in Loop: Header=BB22_148 Depth=1
	v_mov_b32_e32 v71, 0
	v_mov_b32_e32 v75, 0
	;; [unrolled: 1-line block ×6, first 2 shown]
	s_mov_b32 s2, exec_lo
	v_cmpx_gt_i32_e64 s3, v188
	s_cbranch_execz .LBB22_175
; %bb.174:                              ;   in Loop: Header=BB22_148 Depth=1
	global_load_dwordx4 v[75:78], v[83:84], off offset:-8
.LBB22_175:                             ;   in Loop: Header=BB22_148 Depth=1
	s_or_b32 exec_lo, exec_lo, s2
	v_mov_b32_e32 v73, 0
	v_mov_b32_e32 v74, 0
	s_mov_b32 s2, exec_lo
	v_cmpx_gt_i32_e64 s3, v189
	s_cbranch_execz .LBB22_177
; %bb.176:                              ;   in Loop: Header=BB22_148 Depth=1
	v_add_co_u32 v71, vcc_lo, v214, v195
	v_add_co_ci_u32_e64 v72, null, v215, v196, vcc_lo
	global_load_dwordx4 v[71:74], v[71:72], off
.LBB22_177:                             ;   in Loop: Header=BB22_148 Depth=1
	s_or_b32 exec_lo, exec_lo, s2
	v_mov_b32_e32 v79, 0
	v_mov_b32_e32 v81, 0
	;; [unrolled: 1-line block ×4, first 2 shown]
	s_mov_b32 s2, exec_lo
	v_cmpx_gt_i32_e64 s3, v190
	s_cbranch_execz .LBB22_179
; %bb.178:                              ;   in Loop: Header=BB22_148 Depth=1
	v_add_co_u32 v79, vcc_lo, v210, v195
	v_add_co_ci_u32_e64 v80, null, v211, v196, vcc_lo
	global_load_dwordx4 v[79:82], v[79:80], off
.LBB22_179:                             ;   in Loop: Header=BB22_148 Depth=1
	s_or_b32 exec_lo, exec_lo, s2
	v_cmp_gt_i32_e64 s2, s3, v191
	s_branch .LBB22_182
.LBB22_180:                             ;   in Loop: Header=BB22_148 Depth=1
	s_mov_b32 s2, 0
                                        ; implicit-def: $vgpr81_vgpr82
                                        ; implicit-def: $vgpr73_vgpr74
                                        ; implicit-def: $vgpr77_vgpr78
	s_cbranch_execz .LBB22_182
; %bb.181:                              ;   in Loop: Header=BB22_148 Depth=1
	s_waitcnt vmcnt(0)
	v_add_co_u32 v71, vcc_lo, v214, v195
	v_add_co_ci_u32_e64 v72, null, v215, v196, vcc_lo
	v_add_co_u32 v79, vcc_lo, v230, v195
	v_add_co_ci_u32_e64 v80, null, v231, v196, vcc_lo
	global_load_dwordx4 v[75:78], v[83:84], off offset:-8
	global_load_dwordx4 v[71:74], v[71:72], off
	global_load_dwordx4 v[79:82], v[79:80], off offset:-8
	s_or_b32 s2, s2, exec_lo
.LBB22_182:                             ;   in Loop: Header=BB22_148 Depth=1
	v_mov_b32_e32 v83, 0
	v_mov_b32_e32 v85, 0
	;; [unrolled: 1-line block ×4, first 2 shown]
	s_and_saveexec_b32 s10, s2
	s_cbranch_execz .LBB22_184
; %bb.183:                              ;   in Loop: Header=BB22_148 Depth=1
	v_add_co_u32 v83, vcc_lo, v208, v195
	v_add_co_ci_u32_e64 v84, null, v209, v196, vcc_lo
	global_load_dwordx4 v[83:86], v[83:84], off
.LBB22_184:                             ;   in Loop: Header=BB22_148 Depth=1
	s_or_b32 exec_lo, exec_lo, s10
	ds_read_b128 v[87:90], v176
	v_cmp_ne_u32_e32 vcc_lo, 1, v95
	s_and_b32 vcc_lo, exec_lo, vcc_lo
	s_waitcnt vmcnt(0) lgkmcnt(0)
	v_mul_f64 v[91:92], v[77:78], v[89:90]
	v_mul_f64 v[93:94], v[77:78], v[87:88]
	;; [unrolled: 1-line block ×8, first 2 shown]
	v_fma_f64 v[107:108], v[75:76], v[87:88], v[91:92]
	v_fma_f64 v[109:110], v[75:76], v[89:90], -v[93:94]
	v_fma_f64 v[111:112], v[71:72], v[87:88], v[96:97]
	v_fma_f64 v[113:114], v[71:72], v[89:90], -v[98:99]
	;; [unrolled: 2-line block ×4, first 2 shown]
	ds_read_b128 v[103:106], v175 offset:512
	ds_read_b128 v[99:102], v175 offset:528
	;; [unrolled: 1-line block ×4, first 2 shown]
	ds_write_b128 v177, v[107:110]
	ds_write_b128 v177, v[111:114] offset:1072
	ds_write_b128 v177, v[115:118] offset:2144
	;; [unrolled: 1-line block ×3, first 2 shown]
	s_waitcnt lgkmcnt(0)
	s_barrier
	buffer_gl0_inv
	ds_read_b128 v[163:166], v178
	ds_read_b128 v[159:162], v178 offset:16
	ds_read_b128 v[155:158], v178 offset:32
	;; [unrolled: 1-line block ×3, first 2 shown]
	v_add_co_u32 v115, s2, v197, v195
	v_add_co_ci_u32_e64 v116, null, v198, v196, s2
	s_waitcnt lgkmcnt(0)
	s_barrier
	buffer_gl0_inv
	s_cbranch_vccnz .LBB22_192
; %bb.185:                              ;   in Loop: Header=BB22_148 Depth=1
	v_mov_b32_e32 v95, 0
	v_mov_b32_e32 v107, 0
	;; [unrolled: 1-line block ×6, first 2 shown]
	s_mov_b32 s2, exec_lo
	v_cmpx_gt_i32_e64 s3, v192
	s_cbranch_execz .LBB22_187
; %bb.186:                              ;   in Loop: Header=BB22_148 Depth=1
	global_load_dwordx4 v[107:110], v[115:116], off
.LBB22_187:                             ;   in Loop: Header=BB22_148 Depth=1
	s_or_b32 exec_lo, exec_lo, s2
	v_mov_b32_e32 v97, 0
	v_mov_b32_e32 v98, 0
	s_mov_b32 s2, exec_lo
	v_cmpx_gt_i32_e64 s3, v193
	s_cbranch_execz .LBB22_189
; %bb.188:                              ;   in Loop: Header=BB22_148 Depth=1
	v_add_co_u32 v95, vcc_lo, v206, v195
	v_add_co_ci_u32_e64 v96, null, v207, v196, vcc_lo
	global_load_dwordx4 v[95:98], v[95:96], off
.LBB22_189:                             ;   in Loop: Header=BB22_148 Depth=1
	s_or_b32 exec_lo, exec_lo, s2
	v_mov_b32_e32 v111, 0
	v_mov_b32_e32 v113, 0
	;; [unrolled: 1-line block ×4, first 2 shown]
	s_mov_b32 s2, exec_lo
	v_cmpx_gt_i32_e64 s3, v194
	s_cbranch_execz .LBB22_191
; %bb.190:                              ;   in Loop: Header=BB22_148 Depth=1
	v_add_co_u32 v111, vcc_lo, v204, v195
	v_add_co_ci_u32_e64 v112, null, v205, v196, vcc_lo
	global_load_dwordx4 v[111:114], v[111:112], off
.LBB22_191:                             ;   in Loop: Header=BB22_148 Depth=1
	s_or_b32 exec_lo, exec_lo, s2
	v_cmp_gt_i32_e64 s2, s3, v199
	s_branch .LBB22_194
.LBB22_192:                             ;   in Loop: Header=BB22_148 Depth=1
	s_mov_b32 s2, 0
                                        ; implicit-def: $vgpr113_vgpr114
                                        ; implicit-def: $vgpr97_vgpr98
                                        ; implicit-def: $vgpr109_vgpr110
	s_cbranch_execz .LBB22_194
; %bb.193:                              ;   in Loop: Header=BB22_148 Depth=1
	s_waitcnt vmcnt(0)
	v_add_co_u32 v95, vcc_lo, v206, v195
	v_add_co_ci_u32_e64 v96, null, v207, v196, vcc_lo
	v_add_co_u32 v111, vcc_lo, v218, v195
	v_add_co_ci_u32_e64 v112, null, v219, v196, vcc_lo
	global_load_dwordx4 v[107:110], v[115:116], off
	global_load_dwordx4 v[95:98], v[95:96], off
	global_load_dwordx4 v[111:114], v[111:112], off offset:-8
	s_or_b32 s2, s2, exec_lo
.LBB22_194:                             ;   in Loop: Header=BB22_148 Depth=1
	v_mov_b32_e32 v115, 0
	v_mov_b32_e32 v117, 0
	;; [unrolled: 1-line block ×4, first 2 shown]
	s_and_saveexec_b32 s10, s2
	s_cbranch_execz .LBB22_196
; %bb.195:                              ;   in Loop: Header=BB22_148 Depth=1
	v_add_co_u32 v115, vcc_lo, v200, v195
	v_add_co_ci_u32_e64 v116, null, v201, v196, vcc_lo
	global_load_dwordx4 v[115:118], v[115:116], off
.LBB22_196:                             ;   in Loop: Header=BB22_148 Depth=1
	s_or_b32 exec_lo, exec_lo, s10
	v_add_f64 v[147:148], v[147:148], 0
	v_add_f64 v[149:150], v[149:150], 0
	;; [unrolled: 1-line block ×6, first 2 shown]
	v_cmp_gt_i32_e32 vcc_lo, s3, v0
	s_or_b32 s2, s5, vcc_lo
	s_and_b32 s3, s1, s2
	v_add_f64 v[143:144], v[147:148], v[143:144]
	v_add_f64 v[145:146], v[149:150], v[145:146]
	;; [unrolled: 1-line block ×16, first 2 shown]
	ds_read_b128 v[143:146], v176
	ds_read_b128 v[131:134], v175 offset:768
	ds_read_b128 v[127:130], v175 offset:784
	;; [unrolled: 1-line block ×4, first 2 shown]
	v_add_f64 v[151:152], v[155:156], v[151:152]
	v_add_f64 v[153:154], v[157:158], v[153:154]
	s_waitcnt vmcnt(0) lgkmcnt(4)
	v_mul_f64 v[147:148], v[109:110], v[145:146]
	v_mul_f64 v[149:150], v[109:110], v[143:144]
	v_fma_f64 v[147:148], v[107:108], v[143:144], v[147:148]
	v_fma_f64 v[149:150], v[107:108], v[145:146], -v[149:150]
	ds_write_b128 v177, v[147:150]
	v_mul_f64 v[147:148], v[97:98], v[145:146]
	v_mul_f64 v[149:150], v[97:98], v[143:144]
	v_fma_f64 v[147:148], v[95:96], v[143:144], v[147:148]
	v_fma_f64 v[149:150], v[95:96], v[145:146], -v[149:150]
	ds_write_b128 v177, v[147:150] offset:1072
	v_mul_f64 v[147:148], v[113:114], v[145:146]
	v_mul_f64 v[149:150], v[113:114], v[143:144]
	v_fma_f64 v[147:148], v[111:112], v[143:144], v[147:148]
	v_fma_f64 v[149:150], v[111:112], v[145:146], -v[149:150]
	ds_write_b128 v177, v[147:150] offset:2144
	v_mul_f64 v[147:148], v[117:118], v[145:146]
	v_fma_f64 v[147:148], v[115:116], v[143:144], v[147:148]
	v_mul_f64 v[143:144], v[117:118], v[143:144]
	v_fma_f64 v[149:150], v[115:116], v[145:146], -v[143:144]
	ds_write_b128 v177, v[147:150] offset:3216
	s_waitcnt lgkmcnt(0)
	s_barrier
	buffer_gl0_inv
	ds_read_b128 v[143:146], v178
	ds_read_b128 v[147:150], v178 offset:16
	ds_read_b128 v[155:158], v178 offset:32
	ds_read_b128 v[159:162], v178 offset:48
	s_waitcnt lgkmcnt(0)
	s_barrier
	buffer_gl0_inv
	v_add_f64 v[143:144], v[143:144], 0
	v_add_f64 v[145:146], v[145:146], 0
	;; [unrolled: 1-line block ×8, first 2 shown]
	ds_write_b128 v238, v[139:142]
	ds_write_b128 v238, v[135:138] offset:256
	ds_write_b128 v238, v[151:154] offset:512
	ds_write_b128 v238, v[143:146] offset:768
	s_waitcnt lgkmcnt(0)
	s_barrier
	buffer_gl0_inv
	s_and_saveexec_b32 s2, s3
	s_cbranch_execz .LBB22_198
; %bb.197:                              ;   in Loop: Header=BB22_148 Depth=1
	ds_read_b128 v[135:138], v179
	ds_read_b128 v[139:142], v179 offset:16
	v_ashrrev_i32_e32 v169, 31, v168
	s_waitcnt lgkmcnt(0)
	v_add_f64 v[143:144], v[139:140], v[135:136]
	v_add_f64 v[145:146], v[141:142], v[137:138]
	ds_read_b128 v[135:138], v179 offset:32
	ds_read_b128 v[139:142], v179 offset:48
	s_waitcnt lgkmcnt(1)
	v_add_f64 v[135:136], v[143:144], v[135:136]
	v_add_f64 v[137:138], v[145:146], v[137:138]
	s_waitcnt lgkmcnt(0)
	v_add_f64 v[143:144], v[135:136], v[139:140]
	v_add_f64 v[145:146], v[137:138], v[141:142]
	ds_read_b128 v[135:138], v179 offset:64
	ds_read_b128 v[139:142], v179 offset:80
	s_waitcnt lgkmcnt(1)
	v_add_f64 v[135:136], v[143:144], v[135:136]
	v_add_f64 v[137:138], v[145:146], v[137:138]
	;; [unrolled: 8-line block ×6, first 2 shown]
	s_waitcnt lgkmcnt(0)
	v_add_f64 v[143:144], v[135:136], v[139:140]
	v_add_f64 v[145:146], v[137:138], v[141:142]
	ds_read_b128 v[135:138], v179 offset:224
	ds_read_b128 v[139:142], v180
	s_waitcnt lgkmcnt(1)
	v_add_f64 v[135:136], v[143:144], v[135:136]
	v_add_f64 v[137:138], v[145:146], v[137:138]
	s_waitcnt lgkmcnt(0)
	v_add_f64 v[135:136], v[135:136], v[139:140]
	v_add_f64 v[137:138], v[137:138], v[141:142]
	v_lshlrev_b64 v[139:140], 4, v[168:169]
	v_add_co_u32 v139, vcc_lo, s7, v139
	v_add_co_ci_u32_e64 v140, null, s13, v140, vcc_lo
	global_store_dwordx4 v[139:140], v[135:138], off
.LBB22_198:                             ;   in Loop: Header=BB22_148 Depth=1
	s_or_b32 exec_lo, exec_lo, s2
	v_mul_f64 v[135:136], v[13:14], v[37:38]
	v_mul_f64 v[37:38], v[11:12], v[37:38]
	;; [unrolled: 1-line block ×4, first 2 shown]
	v_add_co_u32 v216, vcc_lo, v216, s8
	v_add_co_ci_u32_e64 v217, null, s9, v217, vcc_lo
	v_add_co_u32 v200, vcc_lo, v200, s8
	v_add_co_ci_u32_e64 v201, null, s9, v201, vcc_lo
	;; [unrolled: 2-line block ×4, first 2 shown]
	v_add_co_u32 v220, vcc_lo, v220, s8
	v_fma_f64 v[11:12], v[11:12], v[35:36], -v[135:136]
	v_fma_f64 v[13:14], v[13:14], v[35:36], v[37:38]
	v_mul_f64 v[35:36], v[17:18], v[29:30]
	v_mul_f64 v[29:30], v[15:16], v[29:30]
	v_fma_f64 v[7:8], v[7:8], v[31:32], -v[137:138]
	v_fma_f64 v[9:10], v[9:10], v[31:32], v[33:34]
	v_add_co_ci_u32_e64 v221, null, s9, v221, vcc_lo
	v_add_co_u32 v204, vcc_lo, v204, s8
	v_add_co_ci_u32_e64 v205, null, s9, v205, vcc_lo
	v_add_co_u32 v222, vcc_lo, v222, s8
	;; [unrolled: 2-line block ×4, first 2 shown]
	v_add_f64 v[2:3], v[2:3], v[11:12]
	v_add_f64 v[4:5], v[4:5], v[13:14]
	v_mul_f64 v[11:12], v[21:22], v[25:26]
	v_mul_f64 v[13:14], v[19:20], v[25:26]
	v_fma_f64 v[15:16], v[15:16], v[27:28], -v[35:36]
	v_fma_f64 v[17:18], v[17:18], v[27:28], v[29:30]
	v_add_co_ci_u32_e64 v225, null, s9, v225, vcc_lo
	v_add_co_u32 v197, vcc_lo, v197, s8
	v_add_co_ci_u32_e64 v198, null, s9, v198, vcc_lo
	v_add_co_u32 v226, vcc_lo, v226, s8
	;; [unrolled: 2-line block ×4, first 2 shown]
	v_add_f64 v[2:3], v[2:3], v[7:8]
	v_add_f64 v[4:5], v[4:5], v[9:10]
	v_mul_f64 v[7:8], v[45:46], v[69:70]
	v_mul_f64 v[9:10], v[43:44], v[69:70]
	v_fma_f64 v[11:12], v[19:20], v[23:24], -v[11:12]
	v_fma_f64 v[13:14], v[21:22], v[23:24], v[13:14]
	v_mul_f64 v[19:20], v[117:118], v[121:122]
	v_mul_f64 v[21:22], v[115:116], v[121:122]
	v_add_co_ci_u32_e64 v229, null, s9, v229, vcc_lo
	v_add_co_u32 v230, vcc_lo, v230, s8
	v_add_co_ci_u32_e64 v231, null, s9, v231, vcc_lo
	v_add_co_u32 v232, vcc_lo, v232, s8
	;; [unrolled: 2-line block ×3, first 2 shown]
	v_add_co_ci_u32_e64 v211, null, s9, v211, vcc_lo
	v_add_f64 v[2:3], v[2:3], v[15:16]
	v_add_f64 v[4:5], v[4:5], v[17:18]
	v_mul_f64 v[15:16], v[41:42], v[65:66]
	v_mul_f64 v[17:18], v[39:40], v[65:66]
	v_fma_f64 v[7:8], v[43:44], v[67:68], -v[7:8]
	v_fma_f64 v[9:10], v[45:46], v[67:68], v[9:10]
	v_add_co_u32 v212, vcc_lo, v212, s8
	v_add_co_ci_u32_e64 v213, null, s9, v213, vcc_lo
	v_add_co_u32 v214, vcc_lo, v214, s8
	v_add_co_ci_u32_e64 v215, null, s9, v215, vcc_lo
	;; [unrolled: 2-line block ×3, first 2 shown]
	v_add_co_u32 v236, vcc_lo, v236, s8
	v_add_nc_u32_e32 v168, 64, v168
	v_add_co_ci_u32_e64 v237, null, s9, v237, vcc_lo
	v_add_f64 v[2:3], v[2:3], v[11:12]
	v_add_f64 v[4:5], v[4:5], v[13:14]
	v_mul_f64 v[11:12], v[49:50], v[61:62]
	v_mul_f64 v[13:14], v[47:48], v[61:62]
	v_fma_f64 v[15:16], v[39:40], v[63:64], -v[15:16]
	v_fma_f64 v[17:18], v[41:42], v[63:64], v[17:18]
	s_add_i32 s3, s6, 2
	s_add_i32 s2, s6, 1
	;; [unrolled: 1-line block ×3, first 2 shown]
	s_cmp_ge_u32 s3, s24
	s_waitcnt_vscnt null, 0x0
	s_barrier
	buffer_gl0_inv
	v_add_f64 v[2:3], v[2:3], v[7:8]
	v_add_f64 v[4:5], v[4:5], v[9:10]
	v_mul_f64 v[7:8], v[53:54], v[57:58]
	v_mul_f64 v[9:10], v[51:52], v[57:58]
	v_fma_f64 v[11:12], v[47:48], v[59:60], -v[11:12]
	v_fma_f64 v[13:14], v[49:50], v[59:60], v[13:14]
	v_add_f64 v[2:3], v[2:3], v[15:16]
	v_add_f64 v[4:5], v[4:5], v[17:18]
	v_mul_f64 v[15:16], v[77:78], v[105:106]
	v_mul_f64 v[17:18], v[75:76], v[105:106]
	v_fma_f64 v[7:8], v[51:52], v[55:56], -v[7:8]
	v_fma_f64 v[9:10], v[53:54], v[55:56], v[9:10]
	;; [unrolled: 6-line block ×8, first 2 shown]
	v_add_f64 v[2:3], v[2:3], v[11:12]
	v_add_f64 v[4:5], v[4:5], v[13:14]
	v_fma_f64 v[11:12], v[111:112], v[123:124], -v[15:16]
	v_fma_f64 v[13:14], v[113:114], v[123:124], v[17:18]
	v_add_f64 v[2:3], v[2:3], v[7:8]
	v_add_f64 v[4:5], v[4:5], v[9:10]
	v_fma_f64 v[7:8], v[115:116], v[119:120], -v[19:20]
	v_fma_f64 v[9:10], v[117:118], v[119:120], v[21:22]
	v_add_f64 v[2:3], v[2:3], v[11:12]
	v_add_f64 v[4:5], v[4:5], v[13:14]
	v_add_f64 v[2:3], v[2:3], v[7:8]
	v_add_f64 v[4:5], v[4:5], v[9:10]
	s_cbranch_scc1 .LBB22_200
; %bb.199:                              ;   in Loop: Header=BB22_148 Depth=1
	s_mov_b32 s6, s2
	s_cmp_eq_u32 s22, s6
	s_cselect_b32 s3, s25, 0
	s_and_saveexec_b32 s2, s0
	s_cbranch_execnz .LBB22_144
	s_branch .LBB22_148
.LBB22_200:
	v_cmp_gt_i32_e32 vcc_lo, s12, v0
	v_mad_u32_u24 v1, 0x430, v1, v170
	s_or_b32 s1, s26, vcc_lo
	ds_write_b128 v1, v[2:5]
	s_and_b32 s0, s0, s1
	s_waitcnt lgkmcnt(0)
	s_barrier
	buffer_gl0_inv
	s_and_saveexec_b32 s1, s0
	s_cbranch_execz .LBB22_202
; %bb.201:
	ds_read_b128 v[0:3], v170 offset:1072
	ds_read_b128 v[4:7], v170
	v_ashrrev_i32_e32 v168, 31, v167
	s_waitcnt lgkmcnt(0)
	v_add_f64 v[8:9], v[0:1], v[4:5]
	v_add_f64 v[10:11], v[2:3], v[6:7]
	ds_read_b128 v[0:3], v170 offset:2144
	ds_read_b128 v[4:7], v170 offset:3216
	s_waitcnt lgkmcnt(1)
	v_add_f64 v[0:1], v[8:9], v[0:1]
	v_add_f64 v[2:3], v[10:11], v[2:3]
	s_waitcnt lgkmcnt(0)
	v_add_f64 v[0:1], v[0:1], v[4:5]
	v_add_f64 v[2:3], v[2:3], v[6:7]
	v_lshlrev_b64 v[4:5], 4, v[167:168]
	v_add_co_u32 v4, vcc_lo, s7, v4
	v_add_co_ci_u32_e64 v5, null, s13, v5, vcc_lo
	global_store_dwordx4 v[4:5], v[0:3], off
.LBB22_202:
	s_endpgm
	.section	.rodata,"a",@progbits
	.p2align	6, 0x0
	.amdhsa_kernel _ZL26rocblas_hemvn_kernel_upperILb1ELi64ELi4ELi33ELi32ELi16Ei19rocblas_complex_numIdEPKS1_PS1_EviT6_lT7_lT5_lS6_lS7_lS5_lT8_i
		.amdhsa_group_segment_fixed_size 19200
		.amdhsa_private_segment_fixed_size 0
		.amdhsa_kernarg_size 392
		.amdhsa_user_sgpr_count 6
		.amdhsa_user_sgpr_private_segment_buffer 1
		.amdhsa_user_sgpr_dispatch_ptr 0
		.amdhsa_user_sgpr_queue_ptr 0
		.amdhsa_user_sgpr_kernarg_segment_ptr 1
		.amdhsa_user_sgpr_dispatch_id 0
		.amdhsa_user_sgpr_flat_scratch_init 0
		.amdhsa_user_sgpr_private_segment_size 0
		.amdhsa_wavefront_size32 1
		.amdhsa_uses_dynamic_stack 0
		.amdhsa_system_sgpr_private_segment_wavefront_offset 0
		.amdhsa_system_sgpr_workgroup_id_x 1
		.amdhsa_system_sgpr_workgroup_id_y 0
		.amdhsa_system_sgpr_workgroup_id_z 1
		.amdhsa_system_sgpr_workgroup_info 0
		.amdhsa_system_vgpr_workitem_id 1
		.amdhsa_next_free_vgpr 239
		.amdhsa_next_free_sgpr 35
		.amdhsa_reserve_vcc 1
		.amdhsa_reserve_flat_scratch 0
		.amdhsa_float_round_mode_32 0
		.amdhsa_float_round_mode_16_64 0
		.amdhsa_float_denorm_mode_32 3
		.amdhsa_float_denorm_mode_16_64 3
		.amdhsa_dx10_clamp 1
		.amdhsa_ieee_mode 1
		.amdhsa_fp16_overflow 0
		.amdhsa_workgroup_processor_mode 1
		.amdhsa_memory_ordered 1
		.amdhsa_forward_progress 1
		.amdhsa_shared_vgpr_count 0
		.amdhsa_exception_fp_ieee_invalid_op 0
		.amdhsa_exception_fp_denorm_src 0
		.amdhsa_exception_fp_ieee_div_zero 0
		.amdhsa_exception_fp_ieee_overflow 0
		.amdhsa_exception_fp_ieee_underflow 0
		.amdhsa_exception_fp_ieee_inexact 0
		.amdhsa_exception_int_div_zero 0
	.end_amdhsa_kernel
	.section	.text._ZL26rocblas_hemvn_kernel_upperILb1ELi64ELi4ELi33ELi32ELi16Ei19rocblas_complex_numIdEPKS1_PS1_EviT6_lT7_lT5_lS6_lS7_lS5_lT8_i,"axG",@progbits,_ZL26rocblas_hemvn_kernel_upperILb1ELi64ELi4ELi33ELi32ELi16Ei19rocblas_complex_numIdEPKS1_PS1_EviT6_lT7_lT5_lS6_lS7_lS5_lT8_i,comdat
.Lfunc_end22:
	.size	_ZL26rocblas_hemvn_kernel_upperILb1ELi64ELi4ELi33ELi32ELi16Ei19rocblas_complex_numIdEPKS1_PS1_EviT6_lT7_lT5_lS6_lS7_lS5_lT8_i, .Lfunc_end22-_ZL26rocblas_hemvn_kernel_upperILb1ELi64ELi4ELi33ELi32ELi16Ei19rocblas_complex_numIdEPKS1_PS1_EviT6_lT7_lT5_lS6_lS7_lS5_lT8_i
                                        ; -- End function
	.set _ZL26rocblas_hemvn_kernel_upperILb1ELi64ELi4ELi33ELi32ELi16Ei19rocblas_complex_numIdEPKS1_PS1_EviT6_lT7_lT5_lS6_lS7_lS5_lT8_i.num_vgpr, 239
	.set _ZL26rocblas_hemvn_kernel_upperILb1ELi64ELi4ELi33ELi32ELi16Ei19rocblas_complex_numIdEPKS1_PS1_EviT6_lT7_lT5_lS6_lS7_lS5_lT8_i.num_agpr, 0
	.set _ZL26rocblas_hemvn_kernel_upperILb1ELi64ELi4ELi33ELi32ELi16Ei19rocblas_complex_numIdEPKS1_PS1_EviT6_lT7_lT5_lS6_lS7_lS5_lT8_i.numbered_sgpr, 35
	.set _ZL26rocblas_hemvn_kernel_upperILb1ELi64ELi4ELi33ELi32ELi16Ei19rocblas_complex_numIdEPKS1_PS1_EviT6_lT7_lT5_lS6_lS7_lS5_lT8_i.num_named_barrier, 0
	.set _ZL26rocblas_hemvn_kernel_upperILb1ELi64ELi4ELi33ELi32ELi16Ei19rocblas_complex_numIdEPKS1_PS1_EviT6_lT7_lT5_lS6_lS7_lS5_lT8_i.private_seg_size, 0
	.set _ZL26rocblas_hemvn_kernel_upperILb1ELi64ELi4ELi33ELi32ELi16Ei19rocblas_complex_numIdEPKS1_PS1_EviT6_lT7_lT5_lS6_lS7_lS5_lT8_i.uses_vcc, 1
	.set _ZL26rocblas_hemvn_kernel_upperILb1ELi64ELi4ELi33ELi32ELi16Ei19rocblas_complex_numIdEPKS1_PS1_EviT6_lT7_lT5_lS6_lS7_lS5_lT8_i.uses_flat_scratch, 0
	.set _ZL26rocblas_hemvn_kernel_upperILb1ELi64ELi4ELi33ELi32ELi16Ei19rocblas_complex_numIdEPKS1_PS1_EviT6_lT7_lT5_lS6_lS7_lS5_lT8_i.has_dyn_sized_stack, 0
	.set _ZL26rocblas_hemvn_kernel_upperILb1ELi64ELi4ELi33ELi32ELi16Ei19rocblas_complex_numIdEPKS1_PS1_EviT6_lT7_lT5_lS6_lS7_lS5_lT8_i.has_recursion, 0
	.set _ZL26rocblas_hemvn_kernel_upperILb1ELi64ELi4ELi33ELi32ELi16Ei19rocblas_complex_numIdEPKS1_PS1_EviT6_lT7_lT5_lS6_lS7_lS5_lT8_i.has_indirect_call, 0
	.section	.AMDGPU.csdata,"",@progbits
; Kernel info:
; codeLenInByte = 12664
; TotalNumSgprs: 37
; NumVgprs: 239
; ScratchSize: 0
; MemoryBound: 1
; FloatMode: 240
; IeeeMode: 1
; LDSByteSize: 19200 bytes/workgroup (compile time only)
; SGPRBlocks: 0
; VGPRBlocks: 29
; NumSGPRsForWavesPerEU: 37
; NumVGPRsForWavesPerEU: 239
; Occupancy: 4
; WaveLimiterHint : 1
; COMPUTE_PGM_RSRC2:SCRATCH_EN: 0
; COMPUTE_PGM_RSRC2:USER_SGPR: 6
; COMPUTE_PGM_RSRC2:TRAP_HANDLER: 0
; COMPUTE_PGM_RSRC2:TGID_X_EN: 1
; COMPUTE_PGM_RSRC2:TGID_Y_EN: 0
; COMPUTE_PGM_RSRC2:TGID_Z_EN: 1
; COMPUTE_PGM_RSRC2:TIDIG_COMP_CNT: 1
	.section	.text._ZL36rocblas_hemvn_kernel_upper_block_sumILi64Ei19rocblas_complex_numIdEPS1_S1_EviT1_lS3_lT2_lT0_lPT3_i,"axG",@progbits,_ZL36rocblas_hemvn_kernel_upper_block_sumILi64Ei19rocblas_complex_numIdEPS1_S1_EviT1_lS3_lT2_lT0_lPT3_i,comdat
	.globl	_ZL36rocblas_hemvn_kernel_upper_block_sumILi64Ei19rocblas_complex_numIdEPS1_S1_EviT1_lS3_lT2_lT0_lPT3_i ; -- Begin function _ZL36rocblas_hemvn_kernel_upper_block_sumILi64Ei19rocblas_complex_numIdEPS1_S1_EviT1_lS3_lT2_lT0_lPT3_i
	.p2align	8
	.type	_ZL36rocblas_hemvn_kernel_upper_block_sumILi64Ei19rocblas_complex_numIdEPS1_S1_EviT1_lS3_lT2_lT0_lPT3_i,@function
_ZL36rocblas_hemvn_kernel_upper_block_sumILi64Ei19rocblas_complex_numIdEPS1_S1_EviT1_lS3_lT2_lT0_lPT3_i: ; @_ZL36rocblas_hemvn_kernel_upper_block_sumILi64Ei19rocblas_complex_numIdEPS1_S1_EviT1_lS3_lT2_lT0_lPT3_i
; %bb.0:
	s_clause 0x1
	s_load_dwordx4 s[12:15], s[4:5], 0x8
	s_load_dwordx4 s[8:11], s[4:5], 0x20
	s_waitcnt lgkmcnt(0)
	v_cmp_neq_f64_e64 s0, s[12:13], 0
	v_cmp_neq_f64_e64 s1, s[14:15], 0
	s_or_b32 s17, s0, s1
	s_mov_b32 s0, -1
	s_and_b32 vcc_lo, exec_lo, s17
	s_cbranch_vccnz .LBB23_2
; %bb.1:
	v_cmp_neq_f64_e64 s0, s[8:9], 1.0
	v_cmp_neq_f64_e64 s1, s[10:11], 0
	s_or_b32 s0, s0, s1
.LBB23_2:
	s_andn2_b32 vcc_lo, exec_lo, s0
	s_cbranch_vccnz .LBB23_22
; %bb.3:
	s_clause 0x3
	s_load_dwordx4 s[0:3], s[4:5], 0x50
	s_load_dwordx4 s[24:27], s[4:5], 0x38
	s_load_dword s21, s[4:5], 0x48
	s_load_dword s16, s[4:5], 0x0
	v_lshl_or_b32 v4, s6, 6, v0
	s_xor_b32 s17, s17, -1
	s_waitcnt lgkmcnt(0)
	s_mul_i32 s1, s1, s7
	s_mul_hi_u32 s18, s0, s7
	s_mul_i32 s0, s0, s7
	s_add_i32 s1, s18, s1
	s_lshl_b64 s[0:1], s[0:1], 4
	s_add_u32 s20, s24, s0
	s_addc_u32 s1, s25, s1
	s_lshl_b64 s[18:19], s[26:27], 4
	v_cmp_gt_i32_e64 s0, s16, v4
	s_add_u32 s18, s20, s18
	s_addc_u32 s19, s1, s19
	s_andn2_b32 vcc_lo, exec_lo, s17
	s_mov_b32 s20, 0
	s_cbranch_vccnz .LBB23_8
; %bb.4:
	s_mov_b32 s1, 0
                                        ; implicit-def: $vgpr2_vgpr3
                                        ; implicit-def: $vgpr5_vgpr6
	s_and_saveexec_b32 s17, s0
	s_cbranch_execz .LBB23_9
; %bb.5:
	v_cmp_neq_f64_e64 s0, s[8:9], 0
	v_cmp_neq_f64_e64 s20, s[10:11], 0
	v_mul_lo_u32 v5, s21, v4
	v_mov_b32_e32 v2, 0
	v_mov_b32_e32 v0, 0
	;; [unrolled: 1-line block ×4, first 2 shown]
	v_ashrrev_i32_e32 v6, 31, v5
	s_or_b32 s0, s0, s20
	s_andn2_b32 vcc_lo, exec_lo, s0
	s_cbranch_vccnz .LBB23_7
; %bb.6:
	v_lshlrev_b64 v[0:1], 4, v[5:6]
	v_add_co_u32 v0, vcc_lo, s18, v0
	v_add_co_ci_u32_e64 v1, null, s19, v1, vcc_lo
	global_load_dwordx4 v[7:10], v[0:1], off
	s_waitcnt vmcnt(0)
	v_mul_f64 v[0:1], s[10:11], v[9:10]
	v_mul_f64 v[2:3], s[8:9], v[9:10]
	v_fma_f64 v[0:1], s[8:9], v[7:8], -v[0:1]
	v_fma_f64 v[2:3], s[10:11], v[7:8], v[2:3]
.LBB23_7:
	s_mov_b32 s20, exec_lo
	s_or_b32 exec_lo, exec_lo, s17
	s_and_b32 vcc_lo, exec_lo, s1
	s_cbranch_vccnz .LBB23_10
	s_branch .LBB23_20
.LBB23_8:
                                        ; implicit-def: $vgpr2_vgpr3
                                        ; implicit-def: $vgpr5_vgpr6
	s_cbranch_execnz .LBB23_10
	s_branch .LBB23_20
.LBB23_9:
	s_or_b32 exec_lo, exec_lo, s17
	s_and_b32 vcc_lo, exec_lo, s1
	s_cbranch_vccz .LBB23_20
.LBB23_10:
	s_mov_b32 s22, exec_lo
                                        ; implicit-def: $vgpr2_vgpr3
                                        ; implicit-def: $vgpr5_vgpr6
	v_cmpx_gt_i32_e64 s16, v4
	s_cbranch_execz .LBB23_19
; %bb.11:
	v_mov_b32_e32 v0, 0
	v_mov_b32_e32 v2, 0
	;; [unrolled: 1-line block ×4, first 2 shown]
	s_cmp_lt_i32 s6, 0
	s_cbranch_scc1 .LBB23_14
; %bb.12:
	s_load_dword s0, s[4:5], 0x68
	s_ashr_i32 s17, s16, 31
	s_mul_hi_u32 s1, s16, s7
	s_mul_i32 s5, s17, s7
	v_mov_b32_e32 v5, 0
	s_add_i32 s1, s1, s5
	s_mul_i32 s5, s16, s7
	s_add_i32 s4, s6, 1
	v_mov_b32_e32 v0, 0
	v_lshlrev_b64 v[2:3], 4, v[4:5]
	v_mov_b32_e32 v1, 0
	s_waitcnt lgkmcnt(0)
	s_mul_i32 s1, s1, s0
	s_mul_hi_u32 s6, s5, s0
	s_mul_i32 s0, s5, s0
	s_add_i32 s1, s6, s1
	s_lshl_b64 s[0:1], s[0:1], 4
	s_add_u32 s0, s2, s0
	s_addc_u32 s1, s3, s1
	v_add_co_u32 v5, vcc_lo, s0, v2
	v_add_co_ci_u32_e64 v6, null, s1, v3, vcc_lo
	v_mov_b32_e32 v2, 0
	v_add_co_u32 v5, vcc_lo, v5, 8
	v_mov_b32_e32 v3, 0
	v_add_co_ci_u32_e64 v6, null, 0, v6, vcc_lo
	s_lshl_b64 s[0:1], s[16:17], 4
.LBB23_13:                              ; =>This Inner Loop Header: Depth=1
	global_load_dwordx4 v[7:10], v[5:6], off offset:-8
	v_add_co_u32 v5, vcc_lo, v5, s0
	v_add_co_ci_u32_e64 v6, null, s1, v6, vcc_lo
	s_add_i32 s4, s4, -1
	s_cmp_eq_u32 s4, 0
	s_waitcnt vmcnt(0)
	v_add_f64 v[2:3], v[2:3], v[7:8]
	v_add_f64 v[0:1], v[0:1], v[9:10]
	s_cbranch_scc0 .LBB23_13
.LBB23_14:
	v_mul_f64 v[5:6], s[14:15], v[0:1]
	v_mul_f64 v[7:8], s[12:13], v[0:1]
	v_cmp_neq_f64_e64 s0, s[8:9], 0
	v_cmp_neq_f64_e64 s1, s[10:11], 0
	v_fma_f64 v[0:1], s[12:13], v[2:3], -v[5:6]
	v_fma_f64 v[2:3], s[14:15], v[2:3], v[7:8]
	v_mul_lo_u32 v5, s21, v4
	s_or_b32 s0, s0, s1
	s_andn2_b32 vcc_lo, exec_lo, s0
	v_ashrrev_i32_e32 v6, 31, v5
	s_cbranch_vccz .LBB23_16
; %bb.15:
	s_cbranch_execz .LBB23_17
	s_branch .LBB23_18
.LBB23_16:
.LBB23_17:
	v_lshlrev_b64 v[7:8], 4, v[5:6]
	v_add_co_u32 v7, vcc_lo, s18, v7
	v_add_co_ci_u32_e64 v8, null, s19, v8, vcc_lo
	global_load_dwordx4 v[7:10], v[7:8], off
	s_waitcnt vmcnt(0)
	v_mul_f64 v[11:12], s[10:11], v[9:10]
	v_mul_f64 v[9:10], s[8:9], v[9:10]
	v_fma_f64 v[11:12], s[8:9], v[7:8], -v[11:12]
	v_fma_f64 v[7:8], s[10:11], v[7:8], v[9:10]
	v_add_f64 v[0:1], v[0:1], v[11:12]
	v_add_f64 v[2:3], v[2:3], v[7:8]
.LBB23_18:
	s_or_b32 s20, s20, exec_lo
.LBB23_19:
	s_or_b32 exec_lo, exec_lo, s22
.LBB23_20:
	s_and_saveexec_b32 s0, s20
	s_cbranch_execz .LBB23_22
; %bb.21:
	v_lshlrev_b64 v[4:5], 4, v[5:6]
	v_add_co_u32 v4, vcc_lo, s18, v4
	v_add_co_ci_u32_e64 v5, null, s19, v5, vcc_lo
	global_store_dwordx4 v[4:5], v[0:3], off
.LBB23_22:
	s_endpgm
	.section	.rodata,"a",@progbits
	.p2align	6, 0x0
	.amdhsa_kernel _ZL36rocblas_hemvn_kernel_upper_block_sumILi64Ei19rocblas_complex_numIdEPS1_S1_EviT1_lS3_lT2_lT0_lPT3_i
		.amdhsa_group_segment_fixed_size 0
		.amdhsa_private_segment_fixed_size 0
		.amdhsa_kernarg_size 360
		.amdhsa_user_sgpr_count 6
		.amdhsa_user_sgpr_private_segment_buffer 1
		.amdhsa_user_sgpr_dispatch_ptr 0
		.amdhsa_user_sgpr_queue_ptr 0
		.amdhsa_user_sgpr_kernarg_segment_ptr 1
		.amdhsa_user_sgpr_dispatch_id 0
		.amdhsa_user_sgpr_flat_scratch_init 0
		.amdhsa_user_sgpr_private_segment_size 0
		.amdhsa_wavefront_size32 1
		.amdhsa_uses_dynamic_stack 0
		.amdhsa_system_sgpr_private_segment_wavefront_offset 0
		.amdhsa_system_sgpr_workgroup_id_x 1
		.amdhsa_system_sgpr_workgroup_id_y 0
		.amdhsa_system_sgpr_workgroup_id_z 1
		.amdhsa_system_sgpr_workgroup_info 0
		.amdhsa_system_vgpr_workitem_id 0
		.amdhsa_next_free_vgpr 13
		.amdhsa_next_free_sgpr 28
		.amdhsa_reserve_vcc 1
		.amdhsa_reserve_flat_scratch 0
		.amdhsa_float_round_mode_32 0
		.amdhsa_float_round_mode_16_64 0
		.amdhsa_float_denorm_mode_32 3
		.amdhsa_float_denorm_mode_16_64 3
		.amdhsa_dx10_clamp 1
		.amdhsa_ieee_mode 1
		.amdhsa_fp16_overflow 0
		.amdhsa_workgroup_processor_mode 1
		.amdhsa_memory_ordered 1
		.amdhsa_forward_progress 1
		.amdhsa_shared_vgpr_count 0
		.amdhsa_exception_fp_ieee_invalid_op 0
		.amdhsa_exception_fp_denorm_src 0
		.amdhsa_exception_fp_ieee_div_zero 0
		.amdhsa_exception_fp_ieee_overflow 0
		.amdhsa_exception_fp_ieee_underflow 0
		.amdhsa_exception_fp_ieee_inexact 0
		.amdhsa_exception_int_div_zero 0
	.end_amdhsa_kernel
	.section	.text._ZL36rocblas_hemvn_kernel_upper_block_sumILi64Ei19rocblas_complex_numIdEPS1_S1_EviT1_lS3_lT2_lT0_lPT3_i,"axG",@progbits,_ZL36rocblas_hemvn_kernel_upper_block_sumILi64Ei19rocblas_complex_numIdEPS1_S1_EviT1_lS3_lT2_lT0_lPT3_i,comdat
.Lfunc_end23:
	.size	_ZL36rocblas_hemvn_kernel_upper_block_sumILi64Ei19rocblas_complex_numIdEPS1_S1_EviT1_lS3_lT2_lT0_lPT3_i, .Lfunc_end23-_ZL36rocblas_hemvn_kernel_upper_block_sumILi64Ei19rocblas_complex_numIdEPS1_S1_EviT1_lS3_lT2_lT0_lPT3_i
                                        ; -- End function
	.set _ZL36rocblas_hemvn_kernel_upper_block_sumILi64Ei19rocblas_complex_numIdEPS1_S1_EviT1_lS3_lT2_lT0_lPT3_i.num_vgpr, 13
	.set _ZL36rocblas_hemvn_kernel_upper_block_sumILi64Ei19rocblas_complex_numIdEPS1_S1_EviT1_lS3_lT2_lT0_lPT3_i.num_agpr, 0
	.set _ZL36rocblas_hemvn_kernel_upper_block_sumILi64Ei19rocblas_complex_numIdEPS1_S1_EviT1_lS3_lT2_lT0_lPT3_i.numbered_sgpr, 28
	.set _ZL36rocblas_hemvn_kernel_upper_block_sumILi64Ei19rocblas_complex_numIdEPS1_S1_EviT1_lS3_lT2_lT0_lPT3_i.num_named_barrier, 0
	.set _ZL36rocblas_hemvn_kernel_upper_block_sumILi64Ei19rocblas_complex_numIdEPS1_S1_EviT1_lS3_lT2_lT0_lPT3_i.private_seg_size, 0
	.set _ZL36rocblas_hemvn_kernel_upper_block_sumILi64Ei19rocblas_complex_numIdEPS1_S1_EviT1_lS3_lT2_lT0_lPT3_i.uses_vcc, 1
	.set _ZL36rocblas_hemvn_kernel_upper_block_sumILi64Ei19rocblas_complex_numIdEPS1_S1_EviT1_lS3_lT2_lT0_lPT3_i.uses_flat_scratch, 0
	.set _ZL36rocblas_hemvn_kernel_upper_block_sumILi64Ei19rocblas_complex_numIdEPS1_S1_EviT1_lS3_lT2_lT0_lPT3_i.has_dyn_sized_stack, 0
	.set _ZL36rocblas_hemvn_kernel_upper_block_sumILi64Ei19rocblas_complex_numIdEPS1_S1_EviT1_lS3_lT2_lT0_lPT3_i.has_recursion, 0
	.set _ZL36rocblas_hemvn_kernel_upper_block_sumILi64Ei19rocblas_complex_numIdEPS1_S1_EviT1_lS3_lT2_lT0_lPT3_i.has_indirect_call, 0
	.section	.AMDGPU.csdata,"",@progbits
; Kernel info:
; codeLenInByte = 812
; TotalNumSgprs: 30
; NumVgprs: 13
; ScratchSize: 0
; MemoryBound: 0
; FloatMode: 240
; IeeeMode: 1
; LDSByteSize: 0 bytes/workgroup (compile time only)
; SGPRBlocks: 0
; VGPRBlocks: 1
; NumSGPRsForWavesPerEU: 30
; NumVGPRsForWavesPerEU: 13
; Occupancy: 16
; WaveLimiterHint : 0
; COMPUTE_PGM_RSRC2:SCRATCH_EN: 0
; COMPUTE_PGM_RSRC2:USER_SGPR: 6
; COMPUTE_PGM_RSRC2:TRAP_HANDLER: 0
; COMPUTE_PGM_RSRC2:TGID_X_EN: 1
; COMPUTE_PGM_RSRC2:TGID_Y_EN: 0
; COMPUTE_PGM_RSRC2:TGID_Z_EN: 1
; COMPUTE_PGM_RSRC2:TIDIG_COMP_CNT: 0
	.section	.text._ZL26rocblas_hemvn_kernel_lowerILb1ELi64ELi4ELi33ELi32ELi16ElPK19rocblas_complex_numIdES3_PS1_EviT6_lT7_lT5_lS6_lS7_lS5_lT8_i,"axG",@progbits,_ZL26rocblas_hemvn_kernel_lowerILb1ELi64ELi4ELi33ELi32ELi16ElPK19rocblas_complex_numIdES3_PS1_EviT6_lT7_lT5_lS6_lS7_lS5_lT8_i,comdat
	.globl	_ZL26rocblas_hemvn_kernel_lowerILb1ELi64ELi4ELi33ELi32ELi16ElPK19rocblas_complex_numIdES3_PS1_EviT6_lT7_lT5_lS6_lS7_lS5_lT8_i ; -- Begin function _ZL26rocblas_hemvn_kernel_lowerILb1ELi64ELi4ELi33ELi32ELi16ElPK19rocblas_complex_numIdES3_PS1_EviT6_lT7_lT5_lS6_lS7_lS5_lT8_i
	.p2align	8
	.type	_ZL26rocblas_hemvn_kernel_lowerILb1ELi64ELi4ELi33ELi32ELi16ElPK19rocblas_complex_numIdES3_PS1_EviT6_lT7_lT5_lS6_lS7_lS5_lT8_i,@function
_ZL26rocblas_hemvn_kernel_lowerILb1ELi64ELi4ELi33ELi32ELi16ElPK19rocblas_complex_numIdES3_PS1_EviT6_lT7_lT5_lS6_lS7_lS5_lT8_i: ; @_ZL26rocblas_hemvn_kernel_lowerILb1ELi64ELi4ELi33ELi32ELi16ElPK19rocblas_complex_numIdES3_PS1_EviT6_lT7_lT5_lS6_lS7_lS5_lT8_i
; %bb.0:
	s_load_dwordx2 s[2:3], s[4:5], 0x84
	s_add_u32 s0, s4, 0x78
	s_addc_u32 s1, s5, 0
	s_waitcnt lgkmcnt(0)
	s_lshr_b32 s8, s2, 16
	s_and_b32 s2, s2, 0xffff
	s_and_b32 s3, s3, 0xffff
	s_mul_i32 s2, s8, s2
	s_mul_i32 s2, s2, s3
	s_cmpk_lg_i32 s2, 0x100
	s_cbranch_scc1 .LBB24_151
; %bb.1:
	s_load_dwordx16 s[8:23], s[4:5], 0x8
	s_waitcnt lgkmcnt(0)
	s_mul_i32 s3, s11, s7
	s_mul_hi_u32 s11, s10, s7
	s_mul_i32 s2, s10, s7
	s_add_i32 s3, s11, s3
	s_lshl_b64 s[2:3], s[2:3], 4
	s_add_u32 s2, s8, s2
	s_addc_u32 s3, s9, s3
	s_load_dwordx4 s[8:11], s[2:3], 0x0
	s_waitcnt lgkmcnt(0)
	v_cmp_neq_f64_e64 s2, s[8:9], 0
	v_cmp_neq_f64_e64 s3, s[10:11], 0
	s_clause 0x1
	s_load_dwordx2 s[10:11], s[4:5], 0x68
	s_load_dwordx8 s[24:31], s[4:5], 0x48
	s_or_b32 s2, s2, s3
	s_mov_b32 s3, -1
	s_and_b32 vcc_lo, exec_lo, s2
	s_cbranch_vccnz .LBB24_3
; %bb.2:
	s_waitcnt lgkmcnt(0)
	s_mul_i32 s3, s31, s7
	s_mul_hi_u32 s9, s30, s7
	s_mul_i32 s8, s30, s7
	s_add_i32 s9, s9, s3
	s_lshl_b64 s[8:9], s[8:9], 4
	s_add_u32 s8, s28, s8
	s_addc_u32 s9, s29, s9
	s_load_dwordx4 s[28:31], s[8:9], 0x0
	s_waitcnt lgkmcnt(0)
	v_cmp_neq_f64_e64 s3, s[28:29], 1.0
	v_cmp_neq_f64_e64 s8, s[30:31], 0
	s_or_b32 s3, s3, s8
.LBB24_3:
	s_andn2_b32 vcc_lo, exec_lo, s3
	s_cbranch_vccnz .LBB24_151
; %bb.4:
	s_andn2_b32 vcc_lo, exec_lo, s2
	s_cbranch_vccnz .LBB24_151
; %bb.5:
	s_waitcnt lgkmcnt(0)
	s_mul_i32 s3, s27, s7
	s_mul_hi_u32 s8, s26, s7
	s_mul_i32 s2, s26, s7
	s_add_i32 s3, s8, s3
	s_load_dword s26, s[4:5], 0x0
	s_lshl_b64 s[2:3], s[2:3], 4
	s_load_dword s27, s[0:1], 0x0
	s_add_u32 s8, s20, s2
	s_addc_u32 s9, s21, s3
	s_lshl_b64 s[2:3], s[22:23], 4
	s_add_u32 s2, s8, s2
	s_addc_u32 s3, s9, s3
	s_lshl_b32 s20, s6, 6
	v_add_nc_u32_e32 v134, s20, v0
	v_ashrrev_i32_e32 v135, 31, v134
	v_mul_lo_u32 v4, s25, v134
	v_mad_u64_u32 v[2:3], null, s24, v134, 0
	s_waitcnt lgkmcnt(0)
	s_ashr_i32 s28, s26, 31
	v_mul_lo_u32 v5, s24, v135
	s_lshr_b32 s0, s28, 26
	s_add_i32 s4, s27, -1
	s_add_i32 s1, s26, s0
	v_cmp_ne_u32_e64 s0, 0, v1
	s_andn2_b32 s1, s1, 63
	s_sub_i32 s5, s26, s1
	v_add3_u32 v3, v3, v5, v4
	v_cmp_eq_u32_e64 s1, 0, v1
	s_cmp_eq_u32 s6, s4
	s_cselect_b32 s22, s5, 0
	v_lshlrev_b64 v[2:3], 4, v[2:3]
	v_add_co_u32 v38, vcc_lo, s2, v2
	v_add_co_ci_u32_e64 v39, null, s3, v3, vcc_lo
	s_mov_b32 s2, -1
	s_and_saveexec_b32 s3, s1
	s_cbranch_execz .LBB24_10
; %bb.6:
	v_cmp_le_i32_e32 vcc_lo, s22, v0
	s_cmp_lg_u32 s22, 0
	v_lshl_add_u32 v2, v0, 4, 0x4700
	s_cselect_b32 s4, -1, 0
	s_and_b32 s4, s4, vcc_lo
	s_and_saveexec_b32 s5, s4
	s_xor_b32 s4, exec_lo, s5
	s_cbranch_execz .LBB24_8
; %bb.7:
	v_mov_b32_e32 v3, 0
	v_mov_b32_e32 v4, v3
	;; [unrolled: 1-line block ×4, first 2 shown]
	ds_write_b128 v2, v[3:6]
                                        ; implicit-def: $vgpr2
.LBB24_8:
	s_andn2_saveexec_b32 s4, s4
	s_cbranch_execz .LBB24_10
; %bb.9:
	global_load_dwordx4 v[3:6], v[38:39], off
	s_waitcnt vmcnt(0)
	ds_write2_b64 v2, v[3:4], v[5:6] offset1:1
.LBB24_10:
	s_or_b32 exec_lo, exec_lo, s3
	v_lshl_add_u32 v44, v1, 6, v0
	v_and_b32_e32 v10, 31, v0
	v_mov_b32_e32 v11, 0
	s_mul_i32 s3, s19, s7
	s_mul_hi_u32 s5, s18, s7
	v_lshrrev_b32_e32 v13, 5, v44
	s_mul_i32 s4, s18, s7
	s_add_i32 s5, s5, s3
	s_mul_hi_u32 s9, s16, s20
	s_lshl_b64 s[4:5], s[4:5], 4
	v_mad_u64_u32 v[2:3], null, s16, v13, v[10:11]
	s_add_u32 s3, s12, s4
	s_addc_u32 s8, s13, s5
	s_lshl_b64 s[4:5], s[14:15], 4
	s_mul_i32 s12, s17, s20
	s_add_u32 s3, s3, s4
	s_addc_u32 s8, s8, s5
	v_mad_u64_u32 v[3:4], null, s17, v13, v[3:4]
	s_ashr_i32 s21, s20, 31
	s_lshl_b64 s[4:5], s[20:21], 4
	s_mul_i32 s13, s16, s21
	s_add_u32 s3, s3, s4
	s_addc_u32 s8, s8, s5
	v_lshlrev_b64 v[40:41], 4, v[2:3]
	s_add_i32 s5, s9, s13
	s_mul_i32 s4, s16, s20
	s_add_i32 s5, s5, s12
	s_lshl_b64 s[12:13], s[4:5], 4
	v_add_co_u32 v2, vcc_lo, s3, v40
	v_add_co_ci_u32_e64 v3, null, s8, v41, vcc_lo
	s_cmp_lg_u32 s22, 0
	v_add_co_u32 v6, vcc_lo, v2, s12
	v_add_co_ci_u32_e64 v7, null, s13, v3, vcc_lo
	s_cselect_b32 s18, -1, 0
	s_cmp_eq_u32 s22, 0
	s_cselect_b32 s9, -1, 0
	s_and_b32 vcc_lo, exec_lo, s18
	s_cbranch_vccnz .LBB24_12
; %bb.11:
	s_lshl_b64 s[2:3], s[16:17], 7
	v_add_co_u32 v8, vcc_lo, v6, s2
	v_add_co_ci_u32_e64 v9, null, s3, v7, vcc_lo
	v_add_co_u32 v11, vcc_lo, v8, s2
	v_add_co_ci_u32_e64 v12, null, s3, v9, vcc_lo
	;; [unrolled: 2-line block ×3, first 2 shown]
	s_clause 0x3
	global_load_dwordx4 v[2:5], v[6:7], off
	global_load_dwordx4 v[14:17], v[8:9], off
	;; [unrolled: 1-line block ×4, first 2 shown]
	v_mul_u32_u24_e32 v8, 0x210, v13
	s_mov_b32 s2, 0
	v_lshl_add_u32 v8, v10, 4, v8
	v_add_nc_u32_e32 v12, 0x3180, v8
	v_add_nc_u32_e32 v9, 0x1080, v8
	;; [unrolled: 1-line block ×3, first 2 shown]
	s_waitcnt vmcnt(3)
	ds_write2_b64 v8, v[2:3], v[4:5] offset1:1
	s_waitcnt vmcnt(2)
	ds_write2_b64 v9, v[14:15], v[16:17] offset1:1
	;; [unrolled: 2-line block ×4, first 2 shown]
.LBB24_12:
	v_lshlrev_b32_e32 v14, 4, v10
	s_andn2_b32 vcc_lo, exec_lo, s2
	s_cbranch_vccnz .LBB24_30
; %bb.13:
	v_lshlrev_b32_e32 v4, 4, v10
	s_ashr_i32 s23, s22, 31
	v_cmp_le_i32_e64 s2, s22, v13
	s_lshl_b64 s[4:5], s[22:23], 4
	v_mad_u32_u24 v5, 0x210, v13, v14
	v_sub_co_u32 v2, vcc_lo, v6, v4
	v_subrev_co_ci_u32_e64 v3, null, 0, v7, vcc_lo
	v_add_co_u32 v2, vcc_lo, v2, s4
	v_add_co_ci_u32_e64 v3, null, s5, v3, vcc_lo
	v_add_co_u32 v2, vcc_lo, v2, -16
	v_add_co_ci_u32_e64 v3, null, -1, v3, vcc_lo
	v_cmp_gt_i32_e32 vcc_lo, s22, v10
	v_cndmask_b32_e32 v3, v3, v7, vcc_lo
	v_cndmask_b32_e32 v2, v2, v6, vcc_lo
	s_and_saveexec_b32 s3, s2
	s_xor_b32 s2, exec_lo, s3
	s_cbranch_execz .LBB24_15
; %bb.14:
	v_mov_b32_e32 v15, 0
	v_mov_b32_e32 v16, v15
	;; [unrolled: 1-line block ×4, first 2 shown]
	ds_write_b128 v5, v[15:18]
                                        ; implicit-def: $vgpr5
.LBB24_15:
	s_andn2_saveexec_b32 s2, s2
	s_cbranch_execz .LBB24_17
; %bb.16:
	global_load_dwordx4 v[15:18], v[2:3], off
	s_waitcnt vmcnt(0)
	ds_write2_b64 v5, v[15:16], v[17:18] offset1:1
.LBB24_17:
	s_or_b32 exec_lo, exec_lo, s2
	v_add_nc_u32_e32 v8, 8, v13
	v_mul_u32_u24_e32 v5, 0x210, v13
	v_cmp_le_i32_e64 s2, s22, v8
	s_and_saveexec_b32 s3, s2
	s_xor_b32 s2, exec_lo, s3
	s_cbranch_execz .LBB24_19
; %bb.18:
	v_mov_b32_e32 v15, 0
	v_add_nc_u32_e32 v8, v5, v14
	v_mov_b32_e32 v16, v15
	v_mov_b32_e32 v17, v15
	;; [unrolled: 1-line block ×3, first 2 shown]
	ds_write_b128 v8, v[15:18] offset:4224
.LBB24_19:
	s_andn2_saveexec_b32 s3, s2
	s_cbranch_execz .LBB24_21
; %bb.20:
	s_lshl_b64 s[14:15], s[16:17], 7
	v_add_co_u32 v8, s2, v2, s14
	v_add_co_ci_u32_e64 v9, null, s15, v3, s2
	global_load_dwordx4 v[15:18], v[8:9], off
	v_add3_u32 v8, v5, v14, 0x1080
	s_waitcnt vmcnt(0)
	ds_write2_b64 v8, v[15:16], v[17:18] offset1:1
.LBB24_21:
	s_or_b32 exec_lo, exec_lo, s3
	v_add_nc_u32_e32 v8, 16, v13
	v_cmp_le_i32_e64 s2, s22, v8
	s_and_saveexec_b32 s3, s2
	s_xor_b32 s2, exec_lo, s3
	s_cbranch_execz .LBB24_23
; %bb.22:
	v_mov_b32_e32 v15, 0
	v_add_nc_u32_e32 v8, v5, v14
	v_mov_b32_e32 v16, v15
	v_mov_b32_e32 v17, v15
	;; [unrolled: 1-line block ×3, first 2 shown]
	ds_write_b128 v8, v[15:18] offset:8448
.LBB24_23:
	s_andn2_saveexec_b32 s3, s2
	s_cbranch_execz .LBB24_25
; %bb.24:
	s_lshl_b64 s[14:15], s[16:17], 8
	v_add_co_u32 v8, s2, v2, s14
	v_add_co_ci_u32_e64 v9, null, s15, v3, s2
	global_load_dwordx4 v[15:18], v[8:9], off
	v_add3_u32 v8, v5, v14, 0x2100
	s_waitcnt vmcnt(0)
	ds_write2_b64 v8, v[15:16], v[17:18] offset1:1
.LBB24_25:
	s_or_b32 exec_lo, exec_lo, s3
	v_add_nc_u32_e32 v8, 24, v13
	v_cmp_le_i32_e64 s2, s22, v8
	s_and_saveexec_b32 s3, s2
	s_xor_b32 s2, exec_lo, s3
	s_cbranch_execz .LBB24_27
; %bb.26:
	v_mov_b32_e32 v15, 0
	v_add_nc_u32_e32 v5, v5, v14
	v_mov_b32_e32 v16, v15
	v_mov_b32_e32 v17, v15
	;; [unrolled: 1-line block ×3, first 2 shown]
	ds_write_b128 v5, v[15:18] offset:12672
                                        ; implicit-def: $vgpr5
.LBB24_27:
	s_andn2_saveexec_b32 s2, s2
	s_cbranch_execz .LBB24_29
; %bb.28:
	v_mad_u64_u32 v[8:9], null, 0x180, s16, v[2:3]
	v_add3_u32 v5, v5, v14, 0x3180
	v_mad_u64_u32 v[11:12], null, 0x180, s17, v[9:10]
	v_mov_b32_e32 v9, v11
	global_load_dwordx4 v[15:18], v[8:9], off
	s_waitcnt vmcnt(0)
	ds_write2_b64 v5, v[15:16], v[17:18] offset1:1
.LBB24_29:
	s_or_b32 exec_lo, exec_lo, s2
	v_add_co_u32 v2, s2, v2, v4
	v_add_co_ci_u32_e64 v3, null, 0, v3, s2
	v_sub_co_u32 v2, s2, v2, s4
	v_subrev_co_ci_u32_e64 v3, null, s5, v3, s2
	v_add_co_u32 v2, s2, v2, 16
	v_add_co_ci_u32_e64 v3, null, 0, v3, s2
	v_cndmask_b32_e32 v6, v2, v6, vcc_lo
	v_cndmask_b32_e32 v7, v3, v7, vcc_lo
.LBB24_30:
	v_lshlrev_b32_e32 v15, 2, v13
	v_mul_u32_u24_e32 v17, 0x210, v10
	s_mov_b32 s2, 0
	s_waitcnt lgkmcnt(0)
	s_barrier
	v_cmp_ge_u32_e64 s3, v15, v10
	buffer_gl0_inv
                                        ; implicit-def: $vgpr11
	s_and_saveexec_b32 s4, s3
	s_xor_b32 s4, exec_lo, s4
	s_cbranch_execz .LBB24_34
; %bb.31:
	s_mov_b32 s5, exec_lo
                                        ; implicit-def: $vgpr11
	v_cmpx_eq_u32_e64 v15, v10
	s_xor_b32 s5, exec_lo, s5
; %bb.32:
	v_add_nc_u32_e32 v11, v14, v17
	s_mov_b32 s2, exec_lo
; %bb.33:
	s_or_b32 exec_lo, exec_lo, s5
	s_and_b32 s2, s2, exec_lo
.LBB24_34:
	s_or_saveexec_b32 s4, s4
	v_mov_b32_e32 v4, 0
	v_lshl_or_b32 v8, v10, 9, v14
	v_mov_b32_e32 v5, 0
	v_mad_u32_u24 v9, 0x840, v13, v14
	s_xor_b32 exec_lo, exec_lo, s4
	s_cbranch_execz .LBB24_36
; %bb.35:
	ds_read_b128 v[2:5], v9
	v_lshl_add_u32 v11, v15, 4, v8
	s_or_b32 s2, s2, exec_lo
	s_waitcnt lgkmcnt(0)
	v_xor_b32_e32 v5, 0x80000000, v5
	ds_write_b64 v11, v[2:3]
.LBB24_36:
	s_or_b32 exec_lo, exec_lo, s4
	s_and_saveexec_b32 s4, s2
; %bb.37:
	ds_write_b64 v11, v[4:5] offset:8
; %bb.38:
	s_or_b32 exec_lo, exec_lo, s4
	v_or_b32_e32 v19, 1, v15
	s_mov_b32 s2, 0
                                        ; implicit-def: $vgpr12
	v_cmp_ge_u32_e64 s4, v19, v10
	s_and_saveexec_b32 s5, s4
	s_xor_b32 s5, exec_lo, s5
	s_cbranch_execz .LBB24_42
; %bb.39:
	s_mov_b32 s8, exec_lo
                                        ; implicit-def: $vgpr12
	v_cmpx_eq_u32_e64 v19, v10
; %bb.40:
	v_add_nc_u32_e32 v12, v14, v17
	s_mov_b32 s2, exec_lo
; %bb.41:
	s_or_b32 exec_lo, exec_lo, s8
	s_and_b32 s2, s2, exec_lo
.LBB24_42:
	s_or_saveexec_b32 s5, s5
	v_mov_b32_e32 v4, 0
	v_mov_b32_e32 v5, 0
	v_mad_u32_u24 v11, 0x210, v19, v14
	s_xor_b32 exec_lo, exec_lo, s5
	s_cbranch_execz .LBB24_44
; %bb.43:
	ds_read_b128 v[2:5], v11
	v_lshl_add_u32 v16, v15, 4, v8
	s_or_b32 s2, s2, exec_lo
	v_add_nc_u32_e32 v12, 16, v16
	s_waitcnt lgkmcnt(0)
	v_xor_b32_e32 v5, 0x80000000, v5
	ds_write_b64 v16, v[2:3] offset:16
.LBB24_44:
	s_or_b32 exec_lo, exec_lo, s5
	s_and_saveexec_b32 s5, s2
; %bb.45:
	ds_write_b64 v12, v[4:5] offset:8
; %bb.46:
	s_or_b32 exec_lo, exec_lo, s5
	v_or_b32_e32 v20, 2, v15
	s_mov_b32 s2, 0
                                        ; implicit-def: $vgpr12
	v_cmp_ge_u32_e64 s5, v20, v10
	s_and_saveexec_b32 s8, s5
	s_xor_b32 s8, exec_lo, s8
	s_cbranch_execz .LBB24_50
; %bb.47:
	s_mov_b32 s14, exec_lo
                                        ; implicit-def: $vgpr12
	v_cmpx_eq_u32_e64 v20, v10
; %bb.48:
	v_add_nc_u32_e32 v12, v14, v17
	s_mov_b32 s2, exec_lo
; %bb.49:
	s_or_b32 exec_lo, exec_lo, s14
	s_and_b32 s2, s2, exec_lo
.LBB24_50:
	s_or_saveexec_b32 s8, s8
	v_mov_b32_e32 v4, 0
	v_mov_b32_e32 v5, 0
	s_xor_b32 exec_lo, exec_lo, s8
	s_cbranch_execz .LBB24_52
; %bb.51:
	v_mad_u32_u24 v2, 0x210, v20, v14
	v_lshl_add_u32 v16, v15, 4, v8
	s_or_b32 s2, s2, exec_lo
	ds_read_b128 v[2:5], v2
	v_add_nc_u32_e32 v12, 32, v16
	s_waitcnt lgkmcnt(0)
	v_xor_b32_e32 v5, 0x80000000, v5
	ds_write_b64 v16, v[2:3] offset:32
.LBB24_52:
	s_or_b32 exec_lo, exec_lo, s8
	s_and_saveexec_b32 s8, s2
; %bb.53:
	ds_write_b64 v12, v[4:5] offset:8
; %bb.54:
	s_or_b32 exec_lo, exec_lo, s8
	v_or_b32_e32 v21, 3, v15
	s_mov_b32 s2, 0
                                        ; implicit-def: $vgpr12
	v_cmp_ge_u32_e64 s8, v21, v10
	s_and_saveexec_b32 s14, s8
	s_xor_b32 s14, exec_lo, s14
	s_cbranch_execz .LBB24_58
; %bb.55:
	s_mov_b32 s15, exec_lo
                                        ; implicit-def: $vgpr12
	v_cmpx_eq_u32_e64 v21, v10
; %bb.56:
	v_add_nc_u32_e32 v12, v14, v17
	s_mov_b32 s2, exec_lo
; %bb.57:
	s_or_b32 exec_lo, exec_lo, s15
	s_and_b32 s2, s2, exec_lo
                                        ; implicit-def: $vgpr8
.LBB24_58:
	s_or_saveexec_b32 s14, s14
	v_mov_b32_e32 v4, 0
	v_mov_b32_e32 v5, 0
	s_xor_b32 exec_lo, exec_lo, s14
	s_cbranch_execz .LBB24_60
; %bb.59:
	v_mad_u32_u24 v2, 0x210, v21, v14
	v_lshl_add_u32 v8, v15, 4, v8
	s_or_b32 s2, s2, exec_lo
	ds_read_b128 v[2:5], v2
	v_add_nc_u32_e32 v12, 48, v8
	s_waitcnt lgkmcnt(0)
	v_xor_b32_e32 v5, 0x80000000, v5
	ds_write_b64 v8, v[2:3] offset:48
.LBB24_60:
	s_or_b32 exec_lo, exec_lo, s14
	s_and_saveexec_b32 s14, s2
; %bb.61:
	ds_write_b64 v12, v[4:5] offset:8
; %bb.62:
	s_or_b32 exec_lo, exec_lo, s14
	v_lshlrev_b32_e32 v8, 4, v15
	s_waitcnt lgkmcnt(0)
	s_barrier
	buffer_gl0_inv
	ds_read_b128 v[2:5], v9
	ds_read_b128 v[22:25], v8 offset:18176
	ds_read_b128 v[26:29], v11
	ds_read_b128 v[30:33], v11 offset:1056
	ds_read_b128 v[34:37], v8 offset:18192
	;; [unrolled: 1-line block ×4, first 2 shown]
	v_cmp_gt_u32_e64 s2, 32, v44
	s_waitcnt lgkmcnt(5)
	v_mul_f64 v[42:43], v[24:25], v[4:5]
	v_mul_f64 v[4:5], v[22:23], v[4:5]
	s_waitcnt lgkmcnt(2)
	v_mul_f64 v[11:12], v[36:37], v[28:29]
	v_mul_f64 v[28:29], v[34:35], v[28:29]
	v_fma_f64 v[22:23], v[22:23], v[2:3], -v[42:43]
	v_fma_f64 v[24:25], v[24:25], v[2:3], v[4:5]
	s_waitcnt lgkmcnt(0)
	v_mul_f64 v[42:43], v[51:52], v[47:48]
	v_mul_f64 v[47:48], v[49:50], v[47:48]
	v_fma_f64 v[11:12], v[34:35], v[26:27], -v[11:12]
	v_fma_f64 v[26:27], v[36:37], v[26:27], v[28:29]
	ds_read_b128 v[2:5], v8 offset:18224
	s_waitcnt lgkmcnt(0)
	s_barrier
	buffer_gl0_inv
	v_add_f64 v[22:23], v[22:23], 0
	v_add_f64 v[24:25], v[24:25], 0
	v_fma_f64 v[34:35], v[49:50], v[45:46], -v[42:43]
	v_fma_f64 v[36:37], v[51:52], v[45:46], v[47:48]
	v_mul_f64 v[28:29], v[4:5], v[32:33]
	v_mul_f64 v[32:33], v[2:3], v[32:33]
	v_add_f64 v[11:12], v[22:23], v[11:12]
	v_add_f64 v[22:23], v[24:25], v[26:27]
	v_fma_f64 v[2:3], v[2:3], v[30:31], -v[28:29]
	v_fma_f64 v[4:5], v[4:5], v[30:31], v[32:33]
	v_add_f64 v[11:12], v[11:12], v[34:35]
	v_add_f64 v[24:25], v[22:23], v[36:37]
	;; [unrolled: 1-line block ×4, first 2 shown]
	v_mul_u32_u24_e32 v2, 33, v10
	v_mov_b32_e32 v4, 0
	v_mov_b32_e32 v5, 0
	v_lshlrev_b32_e32 v45, 4, v2
	v_mov_b32_e32 v2, 0
	v_mov_b32_e32 v3, 0
	v_lshl_add_u32 v46, v13, 4, v45
	ds_write_b128 v46, v[22:25]
	s_waitcnt lgkmcnt(0)
	s_barrier
	buffer_gl0_inv
	s_and_saveexec_b32 s14, s2
	s_cbranch_execz .LBB24_64
; %bb.63:
	ds_read_b128 v[2:5], v45
	ds_read_b128 v[22:25], v45 offset:16
	s_waitcnt lgkmcnt(0)
	v_add_f64 v[11:12], v[22:23], v[2:3]
	v_add_f64 v[26:27], v[24:25], v[4:5]
	ds_read_b128 v[2:5], v45 offset:32
	ds_read_b128 v[22:25], v45 offset:48
	s_waitcnt lgkmcnt(1)
	v_add_f64 v[2:3], v[11:12], v[2:3]
	v_add_f64 v[4:5], v[26:27], v[4:5]
	s_waitcnt lgkmcnt(0)
	v_add_f64 v[11:12], v[2:3], v[22:23]
	v_add_f64 v[26:27], v[4:5], v[24:25]
	ds_read_b128 v[2:5], v45 offset:64
	ds_read_b128 v[22:25], v45 offset:80
	s_waitcnt lgkmcnt(1)
	v_add_f64 v[2:3], v[11:12], v[2:3]
	v_add_f64 v[4:5], v[26:27], v[4:5]
	;; [unrolled: 8-line block ×3, first 2 shown]
	s_waitcnt lgkmcnt(0)
	v_add_f64 v[2:3], v[2:3], v[22:23]
	v_add_f64 v[4:5], v[4:5], v[24:25]
.LBB24_64:
	s_or_b32 exec_lo, exec_lo, s14
	s_lshl_b64 s[14:15], s[16:17], 9
	v_cndmask_b32_e64 v22, 0, 1, s9
	v_add_co_u32 v6, vcc_lo, v6, s14
	v_add_co_ci_u32_e64 v7, null, s15, v7, vcc_lo
	v_mad_u32_u24 v16, 0x210, v13, v14
	v_add_co_u32 v11, vcc_lo, 0x200, v6
	v_add_co_ci_u32_e64 v12, null, 0, v7, vcc_lo
	s_andn2_b32 vcc_lo, exec_lo, s9
	s_mov_b32 s9, -1
	s_barrier
	buffer_gl0_inv
	s_cbranch_vccnz .LBB24_66
; %bb.65:
	s_lshl_b64 s[14:15], s[16:17], 7
	v_add_nc_u32_e32 v9, 0x1080, v16
	v_add_co_u32 v27, vcc_lo, v6, s14
	v_add_co_ci_u32_e64 v28, null, s15, v7, vcc_lo
	v_add_nc_u32_e32 v18, 0x2100, v16
	v_add_co_u32 v31, vcc_lo, v27, s14
	v_add_co_ci_u32_e64 v32, null, s15, v28, vcc_lo
	s_mov_b32 s9, 0
	v_add_co_u32 v35, vcc_lo, v31, s14
	v_add_co_ci_u32_e64 v36, null, s15, v32, vcc_lo
	s_clause 0x3
	global_load_dwordx4 v[23:26], v[11:12], off
	global_load_dwordx4 v[27:30], v[27:28], off offset:512
	global_load_dwordx4 v[31:34], v[31:32], off offset:512
	;; [unrolled: 1-line block ×3, first 2 shown]
	v_add_nc_u32_e32 v35, 0x3180, v16
	s_waitcnt vmcnt(3)
	ds_write2_b64 v16, v[23:24], v[25:26] offset1:1
	s_waitcnt vmcnt(2)
	ds_write2_b64 v9, v[27:28], v[29:30] offset1:1
	;; [unrolled: 2-line block ×4, first 2 shown]
.LBB24_66:
	s_andn2_b32 vcc_lo, exec_lo, s9
	s_cbranch_vccnz .LBB24_84
; %bb.67:
	v_lshlrev_b32_e32 v9, 4, v10
	s_ashr_i32 s23, s22, 31
	v_or_b32_e32 v18, 32, v10
	s_lshl_b64 s[14:15], s[22:23], 4
	s_sub_i32 s19, s22, 32
	v_sub_co_u32 v6, vcc_lo, v6, v9
	v_subrev_co_ci_u32_e64 v7, null, 0, v7, vcc_lo
	v_cmp_le_i32_e64 s9, s19, v13
	v_add_co_u32 v6, vcc_lo, v6, s14
	v_add_co_ci_u32_e64 v7, null, s15, v7, vcc_lo
	v_add_co_u32 v6, vcc_lo, v6, -16
	v_add_co_ci_u32_e64 v7, null, -1, v7, vcc_lo
	v_cmp_gt_i32_e32 vcc_lo, s22, v18
	v_cndmask_b32_e32 v7, v7, v12, vcc_lo
	v_cndmask_b32_e32 v6, v6, v11, vcc_lo
	s_and_saveexec_b32 s23, s9
	s_xor_b32 s9, exec_lo, s23
	s_cbranch_execz .LBB24_69
; %bb.68:
	v_mov_b32_e32 v23, 0
	v_mov_b32_e32 v24, v23
	;; [unrolled: 1-line block ×4, first 2 shown]
	ds_write_b128 v16, v[23:26]
.LBB24_69:
	s_andn2_saveexec_b32 s9, s9
	s_cbranch_execz .LBB24_71
; %bb.70:
	global_load_dwordx4 v[23:26], v[6:7], off
	s_waitcnt vmcnt(0)
	ds_write2_b64 v16, v[23:24], v[25:26] offset1:1
.LBB24_71:
	s_or_b32 exec_lo, exec_lo, s9
	v_add_nc_u32_e32 v23, 8, v13
	v_mul_u32_u24_e32 v18, 0x210, v13
	v_cmp_le_i32_e64 s9, s19, v23
	s_and_saveexec_b32 s23, s9
	s_xor_b32 s9, exec_lo, s23
	s_cbranch_execz .LBB24_73
; %bb.72:
	v_mov_b32_e32 v23, 0
	v_add_nc_u32_e32 v27, v18, v14
	v_mov_b32_e32 v24, v23
	v_mov_b32_e32 v25, v23
	;; [unrolled: 1-line block ×3, first 2 shown]
	ds_write_b128 v27, v[23:26] offset:4224
.LBB24_73:
	s_andn2_saveexec_b32 s23, s9
	s_cbranch_execz .LBB24_75
; %bb.74:
	s_lshl_b64 s[30:31], s[16:17], 7
	v_add3_u32 v27, v18, v14, 0x1080
	v_add_co_u32 v23, s9, v6, s30
	v_add_co_ci_u32_e64 v24, null, s31, v7, s9
	global_load_dwordx4 v[23:26], v[23:24], off
	s_waitcnt vmcnt(0)
	ds_write2_b64 v27, v[23:24], v[25:26] offset1:1
.LBB24_75:
	s_or_b32 exec_lo, exec_lo, s23
	v_add_nc_u32_e32 v23, 16, v13
	v_cmp_le_i32_e64 s9, s19, v23
	s_and_saveexec_b32 s23, s9
	s_xor_b32 s9, exec_lo, s23
	s_cbranch_execz .LBB24_77
; %bb.76:
	v_mov_b32_e32 v23, 0
	v_add_nc_u32_e32 v27, v18, v14
	v_mov_b32_e32 v24, v23
	v_mov_b32_e32 v25, v23
	;; [unrolled: 1-line block ×3, first 2 shown]
	ds_write_b128 v27, v[23:26] offset:8448
.LBB24_77:
	s_andn2_saveexec_b32 s23, s9
	s_cbranch_execz .LBB24_79
; %bb.78:
	s_lshl_b64 s[30:31], s[16:17], 8
	v_add3_u32 v27, v18, v14, 0x2100
	v_add_co_u32 v23, s9, v6, s30
	v_add_co_ci_u32_e64 v24, null, s31, v7, s9
	global_load_dwordx4 v[23:26], v[23:24], off
	s_waitcnt vmcnt(0)
	ds_write2_b64 v27, v[23:24], v[25:26] offset1:1
.LBB24_79:
	s_or_b32 exec_lo, exec_lo, s23
	v_add_nc_u32_e32 v23, 24, v13
	v_cmp_le_i32_e64 s9, s19, v23
	s_and_saveexec_b32 s19, s9
	s_xor_b32 s9, exec_lo, s19
	s_cbranch_execz .LBB24_81
; %bb.80:
	v_mov_b32_e32 v23, 0
	v_add_nc_u32_e32 v18, v18, v14
	v_mov_b32_e32 v24, v23
	v_mov_b32_e32 v25, v23
	;; [unrolled: 1-line block ×3, first 2 shown]
	ds_write_b128 v18, v[23:26] offset:12672
                                        ; implicit-def: $vgpr18
.LBB24_81:
	s_andn2_saveexec_b32 s9, s9
	s_cbranch_execz .LBB24_83
; %bb.82:
	v_mad_u64_u32 v[23:24], null, 0x180, s16, v[6:7]
	v_add3_u32 v18, v18, v14, 0x3180
	v_mad_u64_u32 v[24:25], null, 0x180, s17, v[24:25]
	global_load_dwordx4 v[23:26], v[23:24], off
	s_waitcnt vmcnt(0)
	ds_write2_b64 v18, v[23:24], v[25:26] offset1:1
.LBB24_83:
	s_or_b32 exec_lo, exec_lo, s9
	v_add_co_u32 v6, s9, v6, v9
	v_add_co_ci_u32_e64 v7, null, 0, v7, s9
	v_sub_co_u32 v6, s9, v6, s14
	v_subrev_co_ci_u32_e64 v7, null, s15, v7, s9
	v_add_co_u32 v6, s9, 0x210, v6
	v_add_co_ci_u32_e64 v7, null, 0, v7, s9
	v_cndmask_b32_e32 v11, v6, v11, vcc_lo
	v_cndmask_b32_e32 v12, v7, v12, vcc_lo
.LBB24_84:
	v_mul_u32_u24_e32 v6, 0x840, v13
	v_add_nc_u32_e32 v18, 0x4700, v8
	v_mul_u32_u24_e32 v24, 0x210, v19
	s_lshl_b64 s[14:15], s[16:17], 5
	s_mov_b32 s9, 0
	s_waitcnt lgkmcnt(0)
	s_barrier
	buffer_gl0_inv
                                        ; implicit-def: $vgpr25
	s_and_saveexec_b32 s19, s3
	s_xor_b32 s3, exec_lo, s19
	s_cbranch_execz .LBB24_88
; %bb.85:
	s_mov_b32 s19, exec_lo
                                        ; implicit-def: $vgpr25
	v_cmpx_eq_u32_e64 v15, v10
	s_xor_b32 s19, exec_lo, s19
; %bb.86:
	s_mov_b32 s9, exec_lo
	v_add_nc_u32_e32 v25, v14, v17
; %bb.87:
	s_or_b32 exec_lo, exec_lo, s19
	s_and_b32 s9, s9, exec_lo
.LBB24_88:
	s_or_saveexec_b32 s3, s3
	v_mov_b32_e32 v8, 0
	v_mov_b32_e32 v9, 0
	v_add_nc_u32_e32 v23, v14, v6
	s_xor_b32 exec_lo, exec_lo, s3
	s_cbranch_execz .LBB24_90
; %bb.89:
	ds_read_b128 v[6:9], v23
	v_lshl_add_u32 v25, v15, 4, v45
	s_or_b32 s9, s9, exec_lo
	s_waitcnt lgkmcnt(0)
	v_xor_b32_e32 v9, 0x80000000, v9
	ds_write_b64 v25, v[6:7]
.LBB24_90:
	s_or_b32 exec_lo, exec_lo, s3
	s_and_saveexec_b32 s3, s9
; %bb.91:
	ds_write_b64 v25, v[8:9] offset:8
; %bb.92:
	s_or_b32 exec_lo, exec_lo, s3
	s_mov_b32 s3, 0
                                        ; implicit-def: $vgpr25
	s_and_saveexec_b32 s9, s4
	s_xor_b32 s4, exec_lo, s9
	s_cbranch_execz .LBB24_96
; %bb.93:
	s_mov_b32 s9, exec_lo
                                        ; implicit-def: $vgpr25
	v_cmpx_eq_u32_e64 v19, v10
; %bb.94:
	v_add_nc_u32_e32 v25, v14, v17
	s_mov_b32 s3, exec_lo
; %bb.95:
	s_or_b32 exec_lo, exec_lo, s9
	s_and_b32 s3, s3, exec_lo
.LBB24_96:
	s_or_saveexec_b32 s4, s4
	v_mov_b32_e32 v8, 0
	v_mov_b32_e32 v9, 0
	v_add_nc_u32_e32 v19, v14, v24
	s_xor_b32 exec_lo, exec_lo, s4
	s_cbranch_execz .LBB24_98
; %bb.97:
	ds_read_b128 v[6:9], v19
	v_lshl_add_u32 v24, v15, 4, v45
	s_or_b32 s3, s3, exec_lo
	v_add_nc_u32_e32 v25, 16, v24
	s_waitcnt lgkmcnt(0)
	v_xor_b32_e32 v9, 0x80000000, v9
	ds_write_b64 v24, v[6:7] offset:16
.LBB24_98:
	s_or_b32 exec_lo, exec_lo, s4
	s_and_saveexec_b32 s4, s3
; %bb.99:
	ds_write_b64 v25, v[8:9] offset:8
; %bb.100:
	s_or_b32 exec_lo, exec_lo, s4
	s_mov_b32 s3, 0
                                        ; implicit-def: $vgpr24
	s_and_saveexec_b32 s4, s5
	s_xor_b32 s4, exec_lo, s4
	s_cbranch_execz .LBB24_104
; %bb.101:
	s_mov_b32 s5, exec_lo
                                        ; implicit-def: $vgpr24
	v_cmpx_eq_u32_e64 v20, v10
; %bb.102:
	v_add_nc_u32_e32 v24, v14, v17
	s_mov_b32 s3, exec_lo
; %bb.103:
	s_or_b32 exec_lo, exec_lo, s5
	s_and_b32 s3, s3, exec_lo
.LBB24_104:
	s_or_saveexec_b32 s4, s4
	v_mov_b32_e32 v8, 0
	v_mov_b32_e32 v9, 0
	s_xor_b32 exec_lo, exec_lo, s4
	s_cbranch_execz .LBB24_106
; %bb.105:
	ds_read_b128 v[6:9], v19 offset:528
	v_lshl_add_u32 v20, v15, 4, v45
	s_or_b32 s3, s3, exec_lo
	v_add_nc_u32_e32 v24, 32, v20
	s_waitcnt lgkmcnt(0)
	v_xor_b32_e32 v9, 0x80000000, v9
	ds_write_b64 v20, v[6:7] offset:32
.LBB24_106:
	s_or_b32 exec_lo, exec_lo, s4
	s_and_saveexec_b32 s4, s3
; %bb.107:
	ds_write_b64 v24, v[8:9] offset:8
; %bb.108:
	s_or_b32 exec_lo, exec_lo, s4
	s_mov_b32 s3, 0
                                        ; implicit-def: $vgpr20
	s_and_saveexec_b32 s4, s8
	s_xor_b32 s4, exec_lo, s4
	s_cbranch_execz .LBB24_112
; %bb.109:
	s_mov_b32 s5, exec_lo
                                        ; implicit-def: $vgpr20
	v_cmpx_eq_u32_e64 v21, v10
; %bb.110:
	v_add_nc_u32_e32 v20, v14, v17
	s_mov_b32 s3, exec_lo
; %bb.111:
	s_or_b32 exec_lo, exec_lo, s5
	s_and_b32 s3, s3, exec_lo
.LBB24_112:
	s_or_saveexec_b32 s4, s4
	v_mov_b32_e32 v8, 0
	v_mov_b32_e32 v9, 0
	s_xor_b32 exec_lo, exec_lo, s4
	s_cbranch_execz .LBB24_114
; %bb.113:
	ds_read_b128 v[6:9], v19 offset:1056
	v_lshl_add_u32 v17, v15, 4, v45
	s_or_b32 s3, s3, exec_lo
	v_add_nc_u32_e32 v20, 48, v17
	s_waitcnt lgkmcnt(0)
	v_xor_b32_e32 v9, 0x80000000, v9
	ds_write_b64 v17, v[6:7] offset:48
.LBB24_114:
	s_or_b32 exec_lo, exec_lo, s4
	s_and_saveexec_b32 s4, s3
; %bb.115:
	ds_write_b64 v20, v[8:9] offset:8
; %bb.116:
	s_or_b32 exec_lo, exec_lo, s4
	s_waitcnt lgkmcnt(0)
	s_barrier
	buffer_gl0_inv
	ds_read_b128 v[6:9], v23
	ds_read_b128 v[23:26], v18 offset:512
	ds_read_b128 v[27:30], v18 offset:528
	ds_read_b128 v[31:34], v19
	ds_read_b128 v[47:50], v19 offset:1056
	ds_read_b128 v[51:54], v18 offset:544
	ds_read_b128 v[55:58], v19 offset:528
	v_cmp_eq_u32_e64 s3, 1, v13
	s_waitcnt lgkmcnt(5)
	v_mul_f64 v[20:21], v[25:26], v[8:9]
	v_mul_f64 v[8:9], v[23:24], v[8:9]
	s_waitcnt lgkmcnt(3)
	v_mul_f64 v[35:36], v[29:30], v[33:34]
	v_mul_f64 v[33:34], v[27:28], v[33:34]
	s_waitcnt lgkmcnt(0)
	v_mul_f64 v[42:43], v[51:52], v[57:58]
	v_fma_f64 v[19:20], v[23:24], v[6:7], -v[20:21]
	v_fma_f64 v[23:24], v[25:26], v[6:7], v[8:9]
	v_mul_f64 v[25:26], v[53:54], v[57:58]
	v_fma_f64 v[27:28], v[27:28], v[31:32], -v[35:36]
	v_fma_f64 v[29:30], v[29:30], v[31:32], v[33:34]
	ds_read_b128 v[6:9], v18 offset:560
	v_fma_f64 v[35:36], v[53:54], v[55:56], v[42:43]
	s_waitcnt lgkmcnt(0)
	s_barrier
	buffer_gl0_inv
	v_add_f64 v[19:20], v[19:20], 0
	v_add_f64 v[23:24], v[23:24], 0
	v_fma_f64 v[25:26], v[51:52], v[55:56], -v[25:26]
	v_mul_f64 v[31:32], v[8:9], v[49:50]
	v_mul_f64 v[33:34], v[6:7], v[49:50]
	v_add_f64 v[19:20], v[19:20], v[27:28]
	v_add_f64 v[23:24], v[23:24], v[29:30]
	v_fma_f64 v[6:7], v[6:7], v[47:48], -v[31:32]
	v_fma_f64 v[8:9], v[8:9], v[47:48], v[33:34]
	v_add_f64 v[19:20], v[19:20], v[25:26]
	v_add_f64 v[23:24], v[23:24], v[35:36]
	;; [unrolled: 1-line block ×4, first 2 shown]
	ds_write_b128 v46, v[6:9]
	s_waitcnt lgkmcnt(0)
	s_barrier
	buffer_gl0_inv
	s_and_saveexec_b32 s4, s3
	s_cbranch_execz .LBB24_118
; %bb.117:
	ds_read_b128 v[2:5], v45
	ds_read_b128 v[6:9], v45 offset:16
	s_waitcnt lgkmcnt(0)
	v_add_f64 v[19:20], v[6:7], v[2:3]
	v_add_f64 v[23:24], v[8:9], v[4:5]
	ds_read_b128 v[2:5], v45 offset:32
	ds_read_b128 v[6:9], v45 offset:48
	s_waitcnt lgkmcnt(1)
	v_add_f64 v[2:3], v[19:20], v[2:3]
	v_add_f64 v[4:5], v[23:24], v[4:5]
	s_waitcnt lgkmcnt(0)
	v_add_f64 v[19:20], v[2:3], v[6:7]
	v_add_f64 v[23:24], v[4:5], v[8:9]
	ds_read_b128 v[2:5], v45 offset:64
	ds_read_b128 v[6:9], v45 offset:80
	s_waitcnt lgkmcnt(1)
	v_add_f64 v[2:3], v[19:20], v[2:3]
	v_add_f64 v[4:5], v[23:24], v[4:5]
	;; [unrolled: 8-line block ×3, first 2 shown]
	s_waitcnt lgkmcnt(0)
	v_add_f64 v[2:3], v[2:3], v[6:7]
	v_add_f64 v[4:5], v[4:5], v[8:9]
.LBB24_118:
	s_or_b32 exec_lo, exec_lo, s4
	s_lshl_b64 s[4:5], s[14:15], 4
	v_cmp_ne_u32_e32 vcc_lo, 1, v22
	v_sub_co_u32 v42, s4, v11, s4
	v_subrev_co_ci_u32_e64 v43, null, s5, v12, s4
	s_barrier
	buffer_gl0_inv
	s_cbranch_vccnz .LBB24_120
; %bb.119:
	s_lshl_b64 s[4:5], s[16:17], 7
	global_load_dwordx4 v[19:22], v[42:43], off
	v_add_co_u32 v6, vcc_lo, v42, s4
	v_add_co_ci_u32_e64 v7, null, s5, v43, vcc_lo
	v_add_co_u32 v8, vcc_lo, v6, s4
	v_add_co_ci_u32_e64 v9, null, s5, v7, vcc_lo
	;; [unrolled: 2-line block ×3, first 2 shown]
	s_movk_i32 s4, 0x1080
	s_clause 0x2
	global_load_dwordx4 v[23:26], v[6:7], off
	global_load_dwordx4 v[27:30], v[8:9], off
	;; [unrolled: 1-line block ×3, first 2 shown]
	v_add_nc_u32_e32 v9, 8, v13
	v_add_nc_u32_e32 v8, 16, v13
	;; [unrolled: 1-line block ×3, first 2 shown]
	v_mad_u32_u24 v6, 0x210, v9, s4
	s_movk_i32 s4, 0x2100
	v_mul_u32_u24_e32 v7, 0x210, v9
	v_mad_u32_u24 v12, 0x210, v9, s4
	v_mad_u32_u24 v17, 0x210, v9, v14
	s_waitcnt vmcnt(3)
	ds_write2_b64 v16, v[19:20], v[21:22] offset1:1
	v_add_nc_u32_e32 v20, v14, v12
	v_add_nc_u32_e32 v19, v14, v6
	s_waitcnt vmcnt(2)
	ds_write2_b64 v17, v[23:24], v[25:26] offset1:1
	s_waitcnt vmcnt(1)
	ds_write2_b64 v19, v[27:28], v[29:30] offset1:1
	;; [unrolled: 2-line block ×3, first 2 shown]
	s_cbranch_execz .LBB24_121
	s_branch .LBB24_138
.LBB24_120:
                                        ; implicit-def: $vgpr9
                                        ; implicit-def: $vgpr7
                                        ; implicit-def: $vgpr8
                                        ; implicit-def: $vgpr6
                                        ; implicit-def: $vgpr11
                                        ; implicit-def: $vgpr12
.LBB24_121:
	v_lshlrev_b32_e32 v17, 4, v10
	s_ashr_i32 s23, s22, 31
	v_or_b32_e32 v8, 32, v10
	s_lshl_b64 s[8:9], s[22:23], 4
	v_cmp_le_i32_e64 s4, s22, v13
	v_sub_co_u32 v6, vcc_lo, v42, v17
	v_subrev_co_ci_u32_e64 v7, null, 0, v43, vcc_lo
	v_add_co_u32 v6, vcc_lo, v6, s8
	v_add_co_ci_u32_e64 v7, null, s9, v7, vcc_lo
	v_add_co_u32 v6, vcc_lo, 0xfffffdf0, v6
	v_add_co_ci_u32_e64 v7, null, -1, v7, vcc_lo
	v_cmp_gt_i32_e32 vcc_lo, s22, v8
	v_cndmask_b32_e32 v7, v7, v43, vcc_lo
	v_cndmask_b32_e32 v6, v6, v42, vcc_lo
	s_and_saveexec_b32 s5, s4
	s_xor_b32 s4, exec_lo, s5
	s_cbranch_execz .LBB24_123
; %bb.122:
	v_mov_b32_e32 v8, 0
	v_mov_b32_e32 v9, v8
	;; [unrolled: 1-line block ×4, first 2 shown]
	ds_write_b128 v16, v[8:11]
.LBB24_123:
	s_andn2_saveexec_b32 s4, s4
	s_cbranch_execz .LBB24_125
; %bb.124:
	global_load_dwordx4 v[8:11], v[6:7], off
	s_waitcnt vmcnt(0)
	ds_write2_b64 v16, v[8:9], v[10:11] offset1:1
.LBB24_125:
	s_or_b32 exec_lo, exec_lo, s4
	v_add_nc_u32_e32 v9, 8, v13
	v_cmp_le_i32_e64 s4, s22, v9
	s_and_saveexec_b32 s5, s4
	s_xor_b32 s4, exec_lo, s5
	s_cbranch_execz .LBB24_127
; %bb.126:
	v_mov_b32_e32 v19, 0
	v_mad_u32_u24 v8, 0x210, v9, v14
	v_mov_b32_e32 v20, v19
	v_mov_b32_e32 v21, v19
	;; [unrolled: 1-line block ×3, first 2 shown]
	ds_write_b128 v8, v[19:22]
.LBB24_127:
	s_andn2_saveexec_b32 s5, s4
	s_cbranch_execz .LBB24_129
; %bb.128:
	s_lshl_b64 s[14:15], s[16:17], 7
	v_mad_u32_u24 v8, 0x210, v9, v14
	v_add_co_u32 v10, s4, v6, s14
	v_add_co_ci_u32_e64 v11, null, s15, v7, s4
	global_load_dwordx4 v[19:22], v[10:11], off
	s_waitcnt vmcnt(0)
	ds_write2_b64 v8, v[19:20], v[21:22] offset1:1
.LBB24_129:
	s_or_b32 exec_lo, exec_lo, s5
	v_add_nc_u32_e32 v8, 16, v13
	v_cmp_le_i32_e64 s4, s22, v8
	s_and_saveexec_b32 s5, s4
	s_xor_b32 s4, exec_lo, s5
	s_cbranch_execz .LBB24_131
; %bb.130:
	v_mov_b32_e32 v19, 0
	v_mad_u32_u24 v10, 0x210, v8, v14
	v_mov_b32_e32 v20, v19
	v_mov_b32_e32 v21, v19
	;; [unrolled: 1-line block ×3, first 2 shown]
	ds_write_b128 v10, v[19:22]
.LBB24_131:
	s_andn2_saveexec_b32 s5, s4
	s_cbranch_execz .LBB24_133
; %bb.132:
	s_lshl_b64 s[14:15], s[16:17], 8
	v_add_co_u32 v10, s4, v6, s14
	v_add_co_ci_u32_e64 v11, null, s15, v7, s4
	global_load_dwordx4 v[19:22], v[10:11], off
	v_mad_u32_u24 v10, 0x210, v8, v14
	s_waitcnt vmcnt(0)
	ds_write2_b64 v10, v[19:20], v[21:22] offset1:1
.LBB24_133:
	s_or_b32 exec_lo, exec_lo, s5
	v_add_nc_u32_e32 v11, 24, v13
                                        ; implicit-def: $vgpr12
	v_cmp_le_i32_e64 s4, s22, v11
	s_and_saveexec_b32 s5, s4
	s_xor_b32 s4, exec_lo, s5
	s_cbranch_execz .LBB24_135
; %bb.134:
	v_mov_b32_e32 v19, 0
	v_mad_u32_u24 v10, 0x210, v11, v14
	v_mul_u32_u24_e32 v12, 0x210, v11
	v_mov_b32_e32 v20, v19
	v_mov_b32_e32 v21, v19
	;; [unrolled: 1-line block ×3, first 2 shown]
	ds_write_b128 v10, v[19:22]
.LBB24_135:
	s_andn2_saveexec_b32 s4, s4
	s_cbranch_execz .LBB24_137
; %bb.136:
	v_mad_u64_u32 v[19:20], null, 0x180, s16, v[6:7]
	v_mul_u32_u24_e32 v12, 0x210, v11
	v_mov_b32_e32 v10, v20
	v_mad_u64_u32 v[20:21], null, 0x180, s17, v[10:11]
	v_mad_u32_u24 v10, 0x210, v11, v14
	global_load_dwordx4 v[19:22], v[19:20], off
	s_waitcnt vmcnt(0)
	ds_write2_b64 v10, v[19:20], v[21:22] offset1:1
.LBB24_137:
	s_or_b32 exec_lo, exec_lo, s4
	v_add_co_u32 v6, s4, v6, v17
	v_add_co_ci_u32_e64 v7, null, 0, v7, s4
	v_sub_co_u32 v6, s4, v6, s8
	v_subrev_co_ci_u32_e64 v7, null, s9, v7, s4
	v_add_co_u32 v6, s4, 0x210, v6
	v_add_co_ci_u32_e64 v10, null, 0, v7, s4
	s_movk_i32 s4, 0x1080
	v_mul_u32_u24_e32 v7, 0x210, v9
	v_cndmask_b32_e32 v42, v6, v42, vcc_lo
	v_cndmask_b32_e32 v43, v10, v43, vcc_lo
	v_mad_u32_u24 v6, 0x210, v9, s4
.LBB24_138:
	v_lshlrev_b32_e32 v10, 4, v13
	s_waitcnt lgkmcnt(0)
	s_barrier
	buffer_gl0_inv
	v_lshlrev_b32_e32 v9, 4, v9
	ds_read_b128 v[19:22], v10 offset:18176
	ds_read_b128 v[23:26], v16
	v_add_nc_u32_e32 v7, v14, v7
	ds_read_b128 v[27:30], v9 offset:18176
	ds_read_b128 v[31:34], v7
	v_lshlrev_b32_e32 v7, 4, v8
	v_add_nc_u32_e32 v10, v14, v6
	ds_read_b128 v[6:9], v7 offset:18176
	ds_read_b128 v[47:50], v10
	v_lshlrev_b32_e32 v10, 4, v11
	v_add_nc_u32_e32 v14, v14, v12
	s_waitcnt lgkmcnt(4)
	v_mul_f64 v[16:17], v[21:22], v[25:26]
	v_mul_f64 v[25:26], v[19:20], v[25:26]
	s_waitcnt lgkmcnt(2)
	v_mul_f64 v[35:36], v[29:30], v[33:34]
	v_mul_f64 v[33:34], v[27:28], v[33:34]
	v_fma_f64 v[16:17], v[19:20], v[23:24], -v[16:17]
	v_fma_f64 v[23:24], v[21:22], v[23:24], v[25:26]
	s_waitcnt lgkmcnt(0)
	v_mul_f64 v[25:26], v[8:9], v[49:50]
	v_mul_f64 v[49:50], v[6:7], v[49:50]
	ds_read_b128 v[10:13], v10 offset:18176
	ds_read2_b64 v[19:22], v14 offset1:1
	v_fma_f64 v[27:28], v[27:28], v[31:32], -v[35:36]
	v_fma_f64 v[29:30], v[29:30], v[31:32], v[33:34]
	v_lshl_add_u32 v14, v15, 4, v45
	v_add_f64 v[16:17], v[16:17], 0
	v_add_f64 v[23:24], v[23:24], 0
	s_waitcnt lgkmcnt(0)
	v_mul_f64 v[31:32], v[12:13], v[21:22]
	v_mul_f64 v[21:22], v[10:11], v[21:22]
	v_fma_f64 v[6:7], v[6:7], v[47:48], -v[25:26]
	v_fma_f64 v[8:9], v[8:9], v[47:48], v[49:50]
	v_add_f64 v[16:17], v[16:17], v[27:28]
	v_add_f64 v[23:24], v[23:24], v[29:30]
	v_fma_f64 v[10:11], v[10:11], v[19:20], -v[31:32]
	v_fma_f64 v[12:13], v[12:13], v[19:20], v[21:22]
	v_add_f64 v[6:7], v[16:17], v[6:7]
	v_add_f64 v[8:9], v[23:24], v[8:9]
	ds_read_b128 v[30:33], v18 offset:512
	ds_read_b128 v[22:25], v18 offset:528
	v_add_f64 v[47:48], v[6:7], v[10:11]
	v_add_f64 v[49:50], v[8:9], v[12:13]
	ds_read_b128 v[10:13], v18 offset:544
	ds_read_b128 v[6:9], v18 offset:560
	ds_read_b128 v[34:37], v14
	ds_read_b128 v[26:29], v14 offset:16
	ds_read_b128 v[18:21], v14 offset:32
	;; [unrolled: 1-line block ×3, first 2 shown]
	s_waitcnt lgkmcnt(0)
	s_barrier
	buffer_gl0_inv
	ds_write_b128 v46, v[47:50]
	s_waitcnt lgkmcnt(0)
	s_barrier
	buffer_gl0_inv
	s_and_saveexec_b32 s4, s3
	s_cbranch_execz .LBB24_140
; %bb.139:
	ds_read_b128 v[47:50], v45
	ds_read_b128 v[51:54], v45 offset:16
	s_waitcnt lgkmcnt(1)
	v_add_f64 v[2:3], v[2:3], v[47:48]
	v_add_f64 v[4:5], v[4:5], v[49:50]
	s_waitcnt lgkmcnt(0)
	v_add_f64 v[51:52], v[2:3], v[51:52]
	v_add_f64 v[53:54], v[4:5], v[53:54]
	ds_read_b128 v[2:5], v45 offset:32
	ds_read_b128 v[47:50], v45 offset:48
	s_waitcnt lgkmcnt(1)
	v_add_f64 v[2:3], v[51:52], v[2:3]
	v_add_f64 v[4:5], v[53:54], v[4:5]
	s_waitcnt lgkmcnt(0)
	v_add_f64 v[51:52], v[2:3], v[47:48]
	v_add_f64 v[53:54], v[4:5], v[49:50]
	ds_read_b128 v[2:5], v45 offset:64
	;; [unrolled: 8-line block ×3, first 2 shown]
	ds_read_b128 v[47:50], v45 offset:112
	s_waitcnt lgkmcnt(1)
	v_add_f64 v[2:3], v[51:52], v[2:3]
	v_add_f64 v[4:5], v[53:54], v[4:5]
	s_waitcnt lgkmcnt(0)
	v_add_f64 v[2:3], v[2:3], v[47:48]
	v_add_f64 v[4:5], v[4:5], v[49:50]
.LBB24_140:
	s_or_b32 exec_lo, exec_lo, s4
	v_mul_f64 v[47:48], v[36:37], v[32:33]
	v_mul_f64 v[36:37], v[36:37], v[30:31]
	;; [unrolled: 1-line block ×4, first 2 shown]
	s_barrier
	buffer_gl0_inv
	v_fma_f64 v[30:31], v[34:35], v[30:31], v[47:48]
	v_fma_f64 v[32:33], v[34:35], v[32:33], -v[36:37]
	v_mul_f64 v[34:35], v[20:21], v[12:13]
	v_mul_f64 v[20:21], v[20:21], v[10:11]
	v_fma_f64 v[22:23], v[26:27], v[22:23], v[49:50]
	v_fma_f64 v[24:25], v[26:27], v[24:25], -v[28:29]
	v_add_f64 v[26:27], v[30:31], 0
	v_add_f64 v[28:29], v[32:33], 0
	v_mul_f64 v[30:31], v[16:17], v[8:9]
	v_mul_f64 v[16:17], v[16:17], v[6:7]
	v_fma_f64 v[10:11], v[18:19], v[10:11], v[34:35]
	v_fma_f64 v[12:13], v[18:19], v[12:13], -v[20:21]
	v_add_f64 v[18:19], v[26:27], v[22:23]
	v_add_f64 v[20:21], v[28:29], v[24:25]
	v_fma_f64 v[6:7], v[14:15], v[6:7], v[30:31]
	v_fma_f64 v[8:9], v[14:15], v[8:9], -v[16:17]
	v_add_f64 v[10:11], v[18:19], v[10:11]
	v_add_f64 v[12:13], v[20:21], v[12:13]
	;; [unrolled: 1-line block ×4, first 2 shown]
	ds_write_b128 v46, v[6:9]
	s_waitcnt lgkmcnt(0)
	s_barrier
	buffer_gl0_inv
	s_and_saveexec_b32 s3, s2
	s_cbranch_execz .LBB24_142
; %bb.141:
	ds_read_b128 v[6:9], v45
	ds_read_b128 v[10:13], v45 offset:16
	s_waitcnt lgkmcnt(1)
	v_add_f64 v[2:3], v[2:3], v[6:7]
	v_add_f64 v[4:5], v[4:5], v[8:9]
	s_waitcnt lgkmcnt(0)
	v_add_f64 v[10:11], v[2:3], v[10:11]
	v_add_f64 v[12:13], v[4:5], v[12:13]
	ds_read_b128 v[2:5], v45 offset:32
	ds_read_b128 v[6:9], v45 offset:48
	s_waitcnt lgkmcnt(1)
	v_add_f64 v[2:3], v[10:11], v[2:3]
	v_add_f64 v[4:5], v[12:13], v[4:5]
	s_waitcnt lgkmcnt(0)
	v_add_f64 v[10:11], v[2:3], v[6:7]
	v_add_f64 v[12:13], v[4:5], v[8:9]
	ds_read_b128 v[2:5], v45 offset:64
	;; [unrolled: 8-line block ×3, first 2 shown]
	ds_read_b128 v[6:9], v45 offset:112
	s_waitcnt lgkmcnt(1)
	v_add_f64 v[2:3], v[10:11], v[2:3]
	v_add_f64 v[4:5], v[12:13], v[4:5]
	s_waitcnt lgkmcnt(0)
	v_add_f64 v[2:3], v[2:3], v[6:7]
	v_add_f64 v[4:5], v[4:5], v[8:9]
.LBB24_142:
	s_or_b32 exec_lo, exec_lo, s3
	s_mul_hi_u32 s2, s26, s7
	s_mul_i32 s28, s28, s7
	s_mul_i32 s3, s26, s7
	s_add_i32 s2, s2, s28
	s_mul_hi_u32 s5, s3, s27
	s_mul_i32 s4, s2, s27
	s_mul_i32 s2, s3, s27
	s_add_i32 s3, s5, s4
	s_mul_i32 s4, s26, s6
	s_lshl_b64 s[2:3], s[2:3], 4
	v_cmp_le_i32_e32 vcc_lo, s22, v0
	s_add_u32 s7, s10, s2
	s_addc_u32 s8, s11, s3
	s_ashr_i32 s5, s4, 31
	v_lshlrev_b32_e32 v140, 4, v0
	s_lshl_b64 s[2:3], s[4:5], 4
	s_add_u32 s7, s7, s2
	s_addc_u32 s8, s8, s3
	s_and_b32 vcc_lo, s18, vcc_lo
	s_cmp_lt_i32 s6, 1
	s_barrier
	buffer_gl0_inv
	s_cbranch_scc1 .LBB24_149
; %bb.143:
	v_lshlrev_b32_e32 v8, 2, v1
	v_sub_co_u32 v10, s2, v42, s12
	v_subrev_co_ci_u32_e64 v11, null, s13, v43, s2
	v_mad_u64_u32 v[6:7], null, s16, v8, 0
	v_sub_co_u32 v10, s2, v10, v40
	v_sub_co_ci_u32_e64 v11, null, v11, v41, s2
	s_ashr_i32 s23, s22, 31
	s_mul_i32 s3, s24, s21
	v_mad_u64_u32 v[7:8], null, s17, v8, v[7:8]
	s_lshl_b64 s[10:11], s[22:23], 4
	v_lshrrev_b32_e32 v8, 4, v44
	s_mul_hi_u32 s5, s24, s20
	v_and_b32_e32 v9, 15, v0
	s_mul_i32 s9, s25, s20
	s_add_i32 s3, s5, s3
	v_lshlrev_b64 v[6:7], 4, v[6:7]
	s_mul_i32 s4, s24, s20
	s_add_i32 s5, s3, s9
	v_or_b32_e32 v12, 0xf0, v140
	s_lshl_b64 s[4:5], s[4:5], 4
	v_mov_b32_e32 v137, 0
	v_add_co_u32 v6, s2, v10, v6
	v_add_co_ci_u32_e64 v7, null, v11, v7, s2
	v_add_nc_u32_e32 v143, 0x4300, v140
	v_add_co_u32 v10, s2, v6, s10
	v_add_co_ci_u32_e64 v11, null, s11, v7, s2
	v_add_co_u32 v6, s2, v6, v140
	v_add_co_ci_u32_e64 v7, null, 0, v7, s2
	v_add_co_u32 v10, s2, 0xfffffdf0, v10
	v_add_co_ci_u32_e64 v11, null, -1, v11, s2
	v_add_co_u32 v6, s2, 0xfffffe00, v6
	v_add_co_ci_u32_e64 v7, null, -1, v7, s2
	v_sub_co_u32 v141, s2, v38, s4
	v_cndmask_b32_e32 v6, v6, v10, vcc_lo
	v_cndmask_b32_e32 v7, v7, v11, vcc_lo
	v_and_b32_e32 v10, 48, v0
	v_lshlrev_b32_e32 v11, 6, v8
	v_mul_i32_i24_e32 v8, 0xffffffd0, v8
	v_subrev_co_ci_u32_e64 v142, null, s5, v39, s2
	v_lshlrev_b32_e32 v10, 4, v10
	v_mad_u32_u24 v147, 0x430, v9, v11
	v_lshl_add_u32 v144, v1, 6, 0x4300
	v_add_nc_u32_e32 v145, 0x4700, v140
	v_mad_u32_u24 v146, 0x10c0, v1, v140
	v_cmp_gt_u32_e64 s2, 64, v44
	v_mad_u32_u24 v148, 0x430, v9, v10
	v_mad_u32_u24 v149, 0x430, v9, v12
	v_add_nc_u32_e32 v150, v147, v8
	s_mul_i32 s3, s17, 0xd0
	s_mul_hi_u32 s9, s16, 0xd0
	s_lshl_b64 s[4:5], s[16:17], 4
	s_add_i32 s9, s9, s3
	s_mul_i32 s10, s16, 0xd0
	s_mov_b32 s11, 0
	s_branch .LBB24_145
.LBB24_144:                             ;   in Loop: Header=BB24_145 Depth=1
	s_or_b32 exec_lo, exec_lo, s12
	v_mul_f64 v[151:152], v[16:17], v[24:25]
	v_mul_f64 v[24:25], v[14:15], v[24:25]
	;; [unrolled: 1-line block ×4, first 2 shown]
	s_add_i32 s6, s6, -1
	s_add_i32 s11, s11, 64
	s_cmp_eq_u32 s6, 0
	s_waitcnt_vscnt null, 0x0
	s_barrier
	buffer_gl0_inv
	v_fma_f64 v[14:15], v[14:15], v[22:23], -v[151:152]
	v_fma_f64 v[16:17], v[16:17], v[22:23], v[24:25]
	v_mul_f64 v[22:23], v[12:13], v[32:33]
	v_mul_f64 v[24:25], v[10:11], v[32:33]
	v_fma_f64 v[18:19], v[18:19], v[26:27], -v[153:154]
	v_fma_f64 v[20:21], v[20:21], v[26:27], v[28:29]
	v_add_f64 v[2:3], v[2:3], v[14:15]
	v_add_f64 v[4:5], v[4:5], v[16:17]
	v_mul_f64 v[14:15], v[8:9], v[48:49]
	v_mul_f64 v[16:17], v[6:7], v[48:49]
	v_fma_f64 v[10:11], v[10:11], v[30:31], -v[22:23]
	v_fma_f64 v[12:13], v[12:13], v[30:31], v[24:25]
	v_add_f64 v[2:3], v[2:3], v[18:19]
	v_add_f64 v[4:5], v[4:5], v[20:21]
	;; [unrolled: 6-line block ×14, first 2 shown]
	v_fma_f64 v[6:7], v[114:115], v[118:119], -v[6:7]
	v_fma_f64 v[8:9], v[116:117], v[118:119], v[8:9]
	v_add_f64 v[2:3], v[2:3], v[10:11]
	v_add_f64 v[4:5], v[4:5], v[12:13]
	;; [unrolled: 1-line block ×4, first 2 shown]
	v_add_co_u32 v6, s3, v138, s10
	v_add_co_ci_u32_e64 v7, null, s9, v139, s3
	s_cbranch_scc1 .LBB24_149
.LBB24_145:                             ; =>This Inner Loop Header: Depth=1
	s_and_saveexec_b32 s12, s1
	s_cbranch_execz .LBB24_147
; %bb.146:                              ;   in Loop: Header=BB24_145 Depth=1
	s_mul_i32 s3, s25, s11
	s_mul_hi_u32 s13, s24, s11
	s_mul_i32 s14, s24, s11
	s_add_i32 s15, s13, s3
	s_lshl_b64 s[14:15], s[14:15], 4
	v_add_co_u32 v8, s3, v141, s14
	v_add_co_ci_u32_e64 v9, null, s15, v142, s3
	global_load_dwordx4 v[8:11], v[8:9], off
	s_waitcnt vmcnt(0)
	ds_write2_b64 v143, v[8:9], v[10:11] offset1:1
.LBB24_147:                             ;   in Loop: Header=BB24_145 Depth=1
	s_or_b32 exec_lo, exec_lo, s12
	v_add_co_u32 v8, s3, v6, s4
	v_add_co_ci_u32_e64 v9, null, s5, v7, s3
	s_waitcnt lgkmcnt(0)
	v_add_co_u32 v10, s3, v8, s4
	v_add_co_ci_u32_e64 v11, null, s5, v9, s3
	s_barrier
	v_add_co_u32 v29, s3, v10, s4
	buffer_gl0_inv
	global_load_dwordx4 v[14:17], v[6:7], off
	v_add_co_ci_u32_e64 v30, null, s5, v11, s3
	s_clause 0x2
	global_load_dwordx4 v[18:21], v[8:9], off
	global_load_dwordx4 v[10:13], v[10:11], off
	global_load_dwordx4 v[6:9], v[29:30], off
	ds_read_b128 v[22:25], v145
	v_add_co_u32 v54, s3, v29, s10
	v_add_co_ci_u32_e64 v55, null, s9, v30, s3
	v_add_co_u32 v56, s3, v54, s4
	v_add_co_ci_u32_e64 v57, null, s5, v55, s3
	;; [unrolled: 2-line block ×8, first 2 shown]
	s_waitcnt vmcnt(3) lgkmcnt(0)
	v_mul_f64 v[26:27], v[16:17], v[24:25]
	v_mul_f64 v[31:32], v[16:17], v[22:23]
	s_waitcnt vmcnt(2)
	v_mul_f64 v[38:39], v[20:21], v[24:25]
	v_mul_f64 v[40:41], v[20:21], v[22:23]
	s_waitcnt vmcnt(1)
	;; [unrolled: 3-line block ×3, first 2 shown]
	v_mul_f64 v[46:47], v[8:9], v[24:25]
	v_mul_f64 v[48:49], v[8:9], v[22:23]
	v_fma_f64 v[34:35], v[14:15], v[22:23], v[26:27]
	v_fma_f64 v[36:37], v[14:15], v[24:25], -v[31:32]
	v_fma_f64 v[38:39], v[18:19], v[22:23], v[38:39]
	v_fma_f64 v[40:41], v[18:19], v[24:25], -v[40:41]
	;; [unrolled: 2-line block ×4, first 2 shown]
	ds_read_b128 v[22:25], v144
	ds_read_b128 v[26:29], v144 offset:16
	ds_read_b128 v[30:33], v144 offset:32
	;; [unrolled: 1-line block ×3, first 2 shown]
	ds_write_b128 v146, v[34:37]
	ds_write_b128 v146, v[38:41] offset:1072
	ds_write_b128 v146, v[42:45] offset:2144
	;; [unrolled: 1-line block ×3, first 2 shown]
	s_waitcnt lgkmcnt(0)
	s_barrier
	buffer_gl0_inv
	ds_read_b128 v[86:89], v147
	ds_read_b128 v[90:93], v147 offset:16
	ds_read_b128 v[94:97], v147 offset:32
	;; [unrolled: 1-line block ×3, first 2 shown]
	s_waitcnt lgkmcnt(0)
	s_barrier
	buffer_gl0_inv
	s_clause 0x3
	global_load_dwordx4 v[50:53], v[54:55], off
	global_load_dwordx4 v[42:45], v[56:57], off
	;; [unrolled: 1-line block ×4, first 2 shown]
	ds_read_b128 v[54:57], v145
	v_add_f64 v[86:87], v[86:87], 0
	v_add_f64 v[88:89], v[88:89], 0
	;; [unrolled: 1-line block ×6, first 2 shown]
	s_waitcnt vmcnt(2) lgkmcnt(0)
	v_mul_f64 v[62:63], v[44:45], v[56:57]
	v_mul_f64 v[58:59], v[52:53], v[56:57]
	;; [unrolled: 1-line block ×4, first 2 shown]
	s_waitcnt vmcnt(1)
	v_mul_f64 v[66:67], v[40:41], v[56:57]
	v_mul_f64 v[71:72], v[40:41], v[54:55]
	s_waitcnt vmcnt(0)
	v_mul_f64 v[73:74], v[36:37], v[56:57]
	v_mul_f64 v[75:76], v[36:37], v[54:55]
	v_fma_f64 v[62:63], v[42:43], v[54:55], v[62:63]
	v_fma_f64 v[58:59], v[50:51], v[54:55], v[58:59]
	v_fma_f64 v[60:61], v[50:51], v[56:57], -v[60:61]
	v_fma_f64 v[64:65], v[42:43], v[56:57], -v[64:65]
	v_fma_f64 v[66:67], v[38:39], v[54:55], v[66:67]
	v_fma_f64 v[68:69], v[38:39], v[56:57], -v[71:72]
	v_fma_f64 v[54:55], v[34:35], v[54:55], v[73:74]
	v_fma_f64 v[56:57], v[34:35], v[56:57], -v[75:76]
	ds_read_b128 v[82:85], v144 offset:256
	ds_read_b128 v[78:81], v144 offset:272
	;; [unrolled: 1-line block ×4, first 2 shown]
	ds_write_b128 v146, v[58:61]
	ds_write_b128 v146, v[62:65] offset:1072
	ds_write_b128 v146, v[66:69] offset:2144
	;; [unrolled: 1-line block ×3, first 2 shown]
	s_waitcnt lgkmcnt(0)
	s_barrier
	buffer_gl0_inv
	ds_read_b128 v[98:101], v147
	ds_read_b128 v[114:117], v147 offset:16
	ds_read_b128 v[118:121], v147 offset:32
	;; [unrolled: 1-line block ×3, first 2 shown]
	s_waitcnt lgkmcnt(0)
	s_barrier
	buffer_gl0_inv
	s_clause 0x2
	global_load_dwordx4 v[66:69], v[102:103], off
	global_load_dwordx4 v[62:65], v[104:105], off
	;; [unrolled: 1-line block ×4, first 2 shown]
	ds_read_b128 v[102:105], v145
	v_add_f64 v[159:160], v[98:99], 0
	v_add_f64 v[163:164], v[100:101], 0
	;; [unrolled: 1-line block ×10, first 2 shown]
	s_waitcnt vmcnt(2) lgkmcnt(0)
	v_mul_f64 v[128:129], v[64:65], v[104:105]
	v_mul_f64 v[106:107], v[68:69], v[104:105]
	;; [unrolled: 1-line block ×4, first 2 shown]
	s_waitcnt vmcnt(1)
	v_mul_f64 v[132:133], v[60:61], v[104:105]
	v_mul_f64 v[138:139], v[60:61], v[102:103]
	s_waitcnt vmcnt(0)
	v_mul_f64 v[151:152], v[56:57], v[104:105]
	v_mul_f64 v[153:154], v[56:57], v[102:103]
	v_fma_f64 v[90:91], v[62:63], v[102:103], v[128:129]
	v_fma_f64 v[86:87], v[66:67], v[102:103], v[106:107]
	v_fma_f64 v[88:89], v[66:67], v[104:105], -v[126:127]
	v_fma_f64 v[92:93], v[62:63], v[104:105], -v[130:131]
	v_fma_f64 v[126:127], v[58:59], v[102:103], v[132:133]
	v_fma_f64 v[128:129], v[58:59], v[104:105], -v[138:139]
	v_fma_f64 v[130:131], v[54:55], v[102:103], v[151:152]
	v_fma_f64 v[132:133], v[54:55], v[104:105], -v[153:154]
	v_add_co_u32 v138, s3, v108, s10
	v_add_co_ci_u32_e64 v139, null, s9, v109, s3
	ds_read_b128 v[106:109], v144 offset:512
	ds_read_b128 v[102:105], v144 offset:528
	;; [unrolled: 1-line block ×4, first 2 shown]
	ds_write_b128 v146, v[86:89]
	ds_write_b128 v146, v[90:93] offset:1072
	ds_write_b128 v146, v[126:129] offset:2144
	;; [unrolled: 1-line block ×3, first 2 shown]
	s_waitcnt lgkmcnt(0)
	s_barrier
	buffer_gl0_inv
	ds_read_b128 v[126:129], v147
	ds_read_b128 v[130:133], v147 offset:16
	ds_read_b128 v[151:154], v147 offset:32
	ds_read_b128 v[155:158], v147 offset:48
	s_waitcnt lgkmcnt(0)
	s_barrier
	buffer_gl0_inv
	global_load_dwordx4 v[90:93], v[138:139], off
	ds_read_b128 v[118:121], v145
	v_add_co_u32 v167, s3, v138, s4
	v_add_co_ci_u32_e64 v168, null, s5, v139, s3
	v_add_co_u32 v171, s3, v167, s4
	global_load_dwordx4 v[86:89], v[167:168], off
	v_add_co_ci_u32_e64 v172, null, s5, v168, s3
	v_add_co_u32 v138, s3, v171, s4
	v_add_f64 v[126:127], v[126:127], 0
	v_add_co_ci_u32_e64 v139, null, s5, v172, s3
	v_add_f64 v[128:129], v[128:129], 0
	v_add_f64 v[126:127], v[126:127], v[130:131]
	;; [unrolled: 1-line block ×3, first 2 shown]
	ds_read_b128 v[130:133], v144 offset:768
	v_add_f64 v[126:127], v[126:127], v[151:152]
	v_add_f64 v[128:129], v[128:129], v[153:154]
	;; [unrolled: 1-line block ×4, first 2 shown]
	ds_read_b128 v[126:129], v144 offset:784
	s_waitcnt vmcnt(1) lgkmcnt(2)
	v_mul_f64 v[110:111], v[92:93], v[120:121]
	v_mul_f64 v[112:113], v[92:93], v[118:119]
	s_waitcnt vmcnt(0)
	v_mul_f64 v[114:115], v[88:89], v[120:121]
	v_mul_f64 v[116:117], v[88:89], v[118:119]
	v_fma_f64 v[122:123], v[90:91], v[118:119], v[110:111]
	v_fma_f64 v[124:125], v[90:91], v[120:121], -v[112:113]
	global_load_dwordx4 v[110:113], v[171:172], off
	v_fma_f64 v[167:168], v[86:87], v[118:119], v[114:115]
	v_fma_f64 v[169:170], v[86:87], v[120:121], -v[116:117]
	ds_write_b128 v146, v[122:125]
	ds_read_b128 v[122:125], v144 offset:800
	ds_write_b128 v146, v[167:170] offset:1072
	s_waitcnt vmcnt(0)
	v_mul_f64 v[114:115], v[112:113], v[120:121]
	v_mul_f64 v[116:117], v[112:113], v[118:119]
	v_fma_f64 v[171:172], v[110:111], v[118:119], v[114:115]
	v_fma_f64 v[173:174], v[110:111], v[120:121], -v[116:117]
	global_load_dwordx4 v[114:117], v[138:139], off
	ds_write_b128 v146, v[171:174] offset:2144
	s_waitcnt vmcnt(0)
	v_mul_f64 v[175:176], v[116:117], v[120:121]
	v_mul_f64 v[177:178], v[116:117], v[118:119]
	v_fma_f64 v[118:119], v[114:115], v[118:119], v[175:176]
	v_fma_f64 v[120:121], v[114:115], v[120:121], -v[177:178]
	ds_write_b128 v146, v[118:121] offset:3216
	ds_read_b128 v[118:121], v144 offset:816
	s_waitcnt lgkmcnt(0)
	s_barrier
	buffer_gl0_inv
	ds_read_b128 v[155:158], v147
	s_waitcnt lgkmcnt(0)
	v_add_f64 v[167:168], v[155:156], 0
	v_add_f64 v[169:170], v[157:158], 0
	ds_read_b128 v[155:158], v147 offset:16
	s_waitcnt lgkmcnt(0)
	v_add_f64 v[167:168], v[167:168], v[155:156]
	v_add_f64 v[169:170], v[169:170], v[157:158]
	ds_read_b128 v[155:158], v147 offset:32
	;; [unrolled: 4-line block ×3, first 2 shown]
	s_waitcnt lgkmcnt(0)
	s_barrier
	buffer_gl0_inv
	v_add_f64 v[155:156], v[167:168], v[155:156]
	v_add_f64 v[157:158], v[169:170], v[157:158]
	ds_write_b128 v150, v[159:162]
	ds_write_b128 v150, v[163:166] offset:256
	ds_write_b128 v150, v[151:154] offset:512
	;; [unrolled: 1-line block ×3, first 2 shown]
	s_waitcnt lgkmcnt(0)
	s_barrier
	buffer_gl0_inv
	s_and_saveexec_b32 s12, s2
	s_cbranch_execz .LBB24_144
; %bb.148:                              ;   in Loop: Header=BB24_145 Depth=1
	ds_read_b128 v[151:154], v148
	ds_read_b128 v[155:158], v148 offset:16
	v_add_nc_u32_e32 v136, s11, v0
	s_waitcnt lgkmcnt(0)
	v_add_f64 v[159:160], v[155:156], v[151:152]
	v_add_f64 v[161:162], v[157:158], v[153:154]
	ds_read_b128 v[151:154], v148 offset:32
	ds_read_b128 v[155:158], v148 offset:48
	s_waitcnt lgkmcnt(1)
	v_add_f64 v[151:152], v[159:160], v[151:152]
	v_add_f64 v[153:154], v[161:162], v[153:154]
	s_waitcnt lgkmcnt(0)
	v_add_f64 v[159:160], v[151:152], v[155:156]
	v_add_f64 v[161:162], v[153:154], v[157:158]
	ds_read_b128 v[151:154], v148 offset:64
	ds_read_b128 v[155:158], v148 offset:80
	s_waitcnt lgkmcnt(1)
	v_add_f64 v[151:152], v[159:160], v[151:152]
	v_add_f64 v[153:154], v[161:162], v[153:154]
	;; [unrolled: 8-line block ×6, first 2 shown]
	s_waitcnt lgkmcnt(0)
	v_add_f64 v[159:160], v[151:152], v[155:156]
	v_add_f64 v[161:162], v[153:154], v[157:158]
	ds_read_b128 v[151:154], v148 offset:224
	ds_read_b128 v[155:158], v149
	s_waitcnt lgkmcnt(1)
	v_add_f64 v[151:152], v[159:160], v[151:152]
	v_add_f64 v[153:154], v[161:162], v[153:154]
	s_waitcnt lgkmcnt(0)
	v_add_f64 v[151:152], v[151:152], v[155:156]
	v_add_f64 v[153:154], v[153:154], v[157:158]
	v_lshlrev_b64 v[155:156], 4, v[136:137]
	v_add_co_u32 v155, s3, s7, v155
	v_add_co_ci_u32_e64 v156, null, s8, v156, s3
	global_store_dwordx4 v[155:156], v[151:154], off
	s_branch .LBB24_144
.LBB24_149:
	v_mad_u32_u24 v0, 0x430, v1, v140
	s_nor_b32 s0, s0, vcc_lo
	ds_write_b128 v0, v[2:5]
	s_waitcnt lgkmcnt(0)
	s_barrier
	buffer_gl0_inv
	s_and_saveexec_b32 s1, s0
	s_cbranch_execz .LBB24_151
; %bb.150:
	ds_read_b128 v[0:3], v140 offset:1072
	ds_read_b128 v[4:7], v140
	s_waitcnt lgkmcnt(0)
	v_add_f64 v[8:9], v[0:1], v[4:5]
	v_add_f64 v[10:11], v[2:3], v[6:7]
	ds_read_b128 v[0:3], v140 offset:2144
	ds_read_b128 v[4:7], v140 offset:3216
	s_waitcnt lgkmcnt(1)
	v_add_f64 v[0:1], v[8:9], v[0:1]
	v_add_f64 v[2:3], v[10:11], v[2:3]
	s_waitcnt lgkmcnt(0)
	v_add_f64 v[0:1], v[0:1], v[4:5]
	v_add_f64 v[2:3], v[2:3], v[6:7]
	v_lshlrev_b64 v[4:5], 4, v[134:135]
	v_add_co_u32 v4, vcc_lo, s7, v4
	v_add_co_ci_u32_e64 v5, null, s8, v5, vcc_lo
	global_store_dwordx4 v[4:5], v[0:3], off
.LBB24_151:
	s_endpgm
	.section	.rodata,"a",@progbits
	.p2align	6, 0x0
	.amdhsa_kernel _ZL26rocblas_hemvn_kernel_lowerILb1ELi64ELi4ELi33ELi32ELi16ElPK19rocblas_complex_numIdES3_PS1_EviT6_lT7_lT5_lS6_lS7_lS5_lT8_i
		.amdhsa_group_segment_fixed_size 19200
		.amdhsa_private_segment_fixed_size 0
		.amdhsa_kernarg_size 376
		.amdhsa_user_sgpr_count 6
		.amdhsa_user_sgpr_private_segment_buffer 1
		.amdhsa_user_sgpr_dispatch_ptr 0
		.amdhsa_user_sgpr_queue_ptr 0
		.amdhsa_user_sgpr_kernarg_segment_ptr 1
		.amdhsa_user_sgpr_dispatch_id 0
		.amdhsa_user_sgpr_flat_scratch_init 0
		.amdhsa_user_sgpr_private_segment_size 0
		.amdhsa_wavefront_size32 1
		.amdhsa_uses_dynamic_stack 0
		.amdhsa_system_sgpr_private_segment_wavefront_offset 0
		.amdhsa_system_sgpr_workgroup_id_x 1
		.amdhsa_system_sgpr_workgroup_id_y 0
		.amdhsa_system_sgpr_workgroup_id_z 1
		.amdhsa_system_sgpr_workgroup_info 0
		.amdhsa_system_vgpr_workitem_id 1
		.amdhsa_next_free_vgpr 179
		.amdhsa_next_free_sgpr 32
		.amdhsa_reserve_vcc 1
		.amdhsa_reserve_flat_scratch 0
		.amdhsa_float_round_mode_32 0
		.amdhsa_float_round_mode_16_64 0
		.amdhsa_float_denorm_mode_32 3
		.amdhsa_float_denorm_mode_16_64 3
		.amdhsa_dx10_clamp 1
		.amdhsa_ieee_mode 1
		.amdhsa_fp16_overflow 0
		.amdhsa_workgroup_processor_mode 1
		.amdhsa_memory_ordered 1
		.amdhsa_forward_progress 1
		.amdhsa_shared_vgpr_count 0
		.amdhsa_exception_fp_ieee_invalid_op 0
		.amdhsa_exception_fp_denorm_src 0
		.amdhsa_exception_fp_ieee_div_zero 0
		.amdhsa_exception_fp_ieee_overflow 0
		.amdhsa_exception_fp_ieee_underflow 0
		.amdhsa_exception_fp_ieee_inexact 0
		.amdhsa_exception_int_div_zero 0
	.end_amdhsa_kernel
	.section	.text._ZL26rocblas_hemvn_kernel_lowerILb1ELi64ELi4ELi33ELi32ELi16ElPK19rocblas_complex_numIdES3_PS1_EviT6_lT7_lT5_lS6_lS7_lS5_lT8_i,"axG",@progbits,_ZL26rocblas_hemvn_kernel_lowerILb1ELi64ELi4ELi33ELi32ELi16ElPK19rocblas_complex_numIdES3_PS1_EviT6_lT7_lT5_lS6_lS7_lS5_lT8_i,comdat
.Lfunc_end24:
	.size	_ZL26rocblas_hemvn_kernel_lowerILb1ELi64ELi4ELi33ELi32ELi16ElPK19rocblas_complex_numIdES3_PS1_EviT6_lT7_lT5_lS6_lS7_lS5_lT8_i, .Lfunc_end24-_ZL26rocblas_hemvn_kernel_lowerILb1ELi64ELi4ELi33ELi32ELi16ElPK19rocblas_complex_numIdES3_PS1_EviT6_lT7_lT5_lS6_lS7_lS5_lT8_i
                                        ; -- End function
	.set _ZL26rocblas_hemvn_kernel_lowerILb1ELi64ELi4ELi33ELi32ELi16ElPK19rocblas_complex_numIdES3_PS1_EviT6_lT7_lT5_lS6_lS7_lS5_lT8_i.num_vgpr, 179
	.set _ZL26rocblas_hemvn_kernel_lowerILb1ELi64ELi4ELi33ELi32ELi16ElPK19rocblas_complex_numIdES3_PS1_EviT6_lT7_lT5_lS6_lS7_lS5_lT8_i.num_agpr, 0
	.set _ZL26rocblas_hemvn_kernel_lowerILb1ELi64ELi4ELi33ELi32ELi16ElPK19rocblas_complex_numIdES3_PS1_EviT6_lT7_lT5_lS6_lS7_lS5_lT8_i.numbered_sgpr, 32
	.set _ZL26rocblas_hemvn_kernel_lowerILb1ELi64ELi4ELi33ELi32ELi16ElPK19rocblas_complex_numIdES3_PS1_EviT6_lT7_lT5_lS6_lS7_lS5_lT8_i.num_named_barrier, 0
	.set _ZL26rocblas_hemvn_kernel_lowerILb1ELi64ELi4ELi33ELi32ELi16ElPK19rocblas_complex_numIdES3_PS1_EviT6_lT7_lT5_lS6_lS7_lS5_lT8_i.private_seg_size, 0
	.set _ZL26rocblas_hemvn_kernel_lowerILb1ELi64ELi4ELi33ELi32ELi16ElPK19rocblas_complex_numIdES3_PS1_EviT6_lT7_lT5_lS6_lS7_lS5_lT8_i.uses_vcc, 1
	.set _ZL26rocblas_hemvn_kernel_lowerILb1ELi64ELi4ELi33ELi32ELi16ElPK19rocblas_complex_numIdES3_PS1_EviT6_lT7_lT5_lS6_lS7_lS5_lT8_i.uses_flat_scratch, 0
	.set _ZL26rocblas_hemvn_kernel_lowerILb1ELi64ELi4ELi33ELi32ELi16ElPK19rocblas_complex_numIdES3_PS1_EviT6_lT7_lT5_lS6_lS7_lS5_lT8_i.has_dyn_sized_stack, 0
	.set _ZL26rocblas_hemvn_kernel_lowerILb1ELi64ELi4ELi33ELi32ELi16ElPK19rocblas_complex_numIdES3_PS1_EviT6_lT7_lT5_lS6_lS7_lS5_lT8_i.has_recursion, 0
	.set _ZL26rocblas_hemvn_kernel_lowerILb1ELi64ELi4ELi33ELi32ELi16ElPK19rocblas_complex_numIdES3_PS1_EviT6_lT7_lT5_lS6_lS7_lS5_lT8_i.has_indirect_call, 0
	.section	.AMDGPU.csdata,"",@progbits
; Kernel info:
; codeLenInByte = 10512
; TotalNumSgprs: 34
; NumVgprs: 179
; ScratchSize: 0
; MemoryBound: 0
; FloatMode: 240
; IeeeMode: 1
; LDSByteSize: 19200 bytes/workgroup (compile time only)
; SGPRBlocks: 0
; VGPRBlocks: 22
; NumSGPRsForWavesPerEU: 34
; NumVGPRsForWavesPerEU: 179
; Occupancy: 5
; WaveLimiterHint : 0
; COMPUTE_PGM_RSRC2:SCRATCH_EN: 0
; COMPUTE_PGM_RSRC2:USER_SGPR: 6
; COMPUTE_PGM_RSRC2:TRAP_HANDLER: 0
; COMPUTE_PGM_RSRC2:TGID_X_EN: 1
; COMPUTE_PGM_RSRC2:TGID_Y_EN: 0
; COMPUTE_PGM_RSRC2:TGID_Z_EN: 1
; COMPUTE_PGM_RSRC2:TIDIG_COMP_CNT: 1
	.section	.text._ZL36rocblas_hemvn_kernel_lower_block_sumILi64ElPK19rocblas_complex_numIdEPS1_S1_EviT1_lS5_lT2_lT0_lPT3_i,"axG",@progbits,_ZL36rocblas_hemvn_kernel_lower_block_sumILi64ElPK19rocblas_complex_numIdEPS1_S1_EviT1_lS5_lT2_lT0_lPT3_i,comdat
	.globl	_ZL36rocblas_hemvn_kernel_lower_block_sumILi64ElPK19rocblas_complex_numIdEPS1_S1_EviT1_lS5_lT2_lT0_lPT3_i ; -- Begin function _ZL36rocblas_hemvn_kernel_lower_block_sumILi64ElPK19rocblas_complex_numIdEPS1_S1_EviT1_lS5_lT2_lT0_lPT3_i
	.p2align	8
	.type	_ZL36rocblas_hemvn_kernel_lower_block_sumILi64ElPK19rocblas_complex_numIdEPS1_S1_EviT1_lS5_lT2_lT0_lPT3_i,@function
_ZL36rocblas_hemvn_kernel_lower_block_sumILi64ElPK19rocblas_complex_numIdEPS1_S1_EviT1_lS5_lT2_lT0_lPT3_i: ; @_ZL36rocblas_hemvn_kernel_lower_block_sumILi64ElPK19rocblas_complex_numIdEPS1_S1_EviT1_lS5_lT2_lT0_lPT3_i
; %bb.0:
	s_load_dwordx8 s[12:19], s[4:5], 0x8
	s_waitcnt lgkmcnt(0)
	s_mul_i32 s1, s15, s7
	s_mul_hi_u32 s2, s14, s7
	s_mul_i32 s0, s14, s7
	s_add_i32 s1, s2, s1
	s_lshl_b64 s[0:1], s[0:1], 4
	s_add_u32 s0, s12, s0
	s_addc_u32 s1, s13, s1
	s_load_dwordx4 s[12:15], s[0:1], 0x0
	s_mul_i32 s0, s19, s7
	s_mul_hi_u32 s1, s18, s7
	s_add_i32 s1, s1, s0
	s_mul_i32 s0, s18, s7
	s_lshl_b64 s[0:1], s[0:1], 4
	s_add_u32 s0, s16, s0
	s_addc_u32 s1, s17, s1
	s_load_dwordx4 s[8:11], s[0:1], 0x0
	s_mov_b32 s0, -1
	s_waitcnt lgkmcnt(0)
	v_cmp_neq_f64_e64 s2, s[12:13], 0
	v_cmp_neq_f64_e64 s3, s[14:15], 0
	s_or_b32 s17, s2, s3
	s_and_b32 vcc_lo, exec_lo, s17
	s_cbranch_vccnz .LBB25_2
; %bb.1:
	v_cmp_neq_f64_e64 s0, s[8:9], 1.0
	v_cmp_neq_f64_e64 s1, s[10:11], 0
	s_or_b32 s0, s0, s1
.LBB25_2:
	s_andn2_b32 vcc_lo, exec_lo, s0
	s_cbranch_vccnz .LBB25_22
; %bb.3:
	s_clause 0x3
	s_load_dwordx2 s[18:19], s[4:5], 0x40
	s_load_dwordx2 s[20:21], s[4:5], 0x28
	s_load_dwordx4 s[0:3], s[4:5], 0x30
	s_load_dword s16, s[4:5], 0x0
	v_lshl_or_b32 v4, s6, 6, v0
	s_xor_b32 s17, s17, -1
	s_waitcnt lgkmcnt(0)
	s_mul_i32 s19, s19, s7
	s_mul_hi_u32 s22, s18, s7
	s_mul_i32 s18, s18, s7
	s_add_i32 s19, s22, s19
	s_lshl_b64 s[18:19], s[18:19], 4
	s_add_u32 s20, s20, s18
	s_addc_u32 s21, s21, s19
	s_lshl_b64 s[18:19], s[0:1], 4
	v_cmp_gt_i32_e64 s0, s16, v4
	s_add_u32 s18, s20, s18
	s_addc_u32 s19, s21, s19
	s_andn2_b32 vcc_lo, exec_lo, s17
	s_mov_b32 s20, 0
	s_cbranch_vccnz .LBB25_8
; %bb.4:
	s_mov_b32 s1, 0
                                        ; implicit-def: $vgpr2_vgpr3
                                        ; implicit-def: $vgpr5_vgpr6
	s_and_saveexec_b32 s17, s0
	s_cbranch_execz .LBB25_9
; %bb.5:
	v_cmp_neq_f64_e64 s0, s[8:9], 0
	v_cmp_neq_f64_e64 s20, s[10:11], 0
	v_ashrrev_i32_e32 v0, 31, v4
	v_mul_lo_u32 v7, s3, v4
	v_mad_u64_u32 v[5:6], null, s2, v4, 0
	v_mov_b32_e32 v2, 0
	v_mul_lo_u32 v8, s2, v0
	v_mov_b32_e32 v0, 0
	v_mov_b32_e32 v3, 0
	;; [unrolled: 1-line block ×3, first 2 shown]
	v_add3_u32 v6, v6, v8, v7
	s_or_b32 s0, s0, s20
	s_andn2_b32 vcc_lo, exec_lo, s0
	s_cbranch_vccnz .LBB25_7
; %bb.6:
	v_lshlrev_b64 v[0:1], 4, v[5:6]
	v_add_co_u32 v0, vcc_lo, s18, v0
	v_add_co_ci_u32_e64 v1, null, s19, v1, vcc_lo
	global_load_dwordx4 v[7:10], v[0:1], off
	s_waitcnt vmcnt(0)
	v_mul_f64 v[0:1], s[10:11], v[9:10]
	v_mul_f64 v[2:3], s[8:9], v[9:10]
	v_fma_f64 v[0:1], s[8:9], v[7:8], -v[0:1]
	v_fma_f64 v[2:3], s[10:11], v[7:8], v[2:3]
.LBB25_7:
	s_mov_b32 s20, exec_lo
	s_or_b32 exec_lo, exec_lo, s17
	s_and_b32 vcc_lo, exec_lo, s1
	s_cbranch_vccnz .LBB25_10
	s_branch .LBB25_20
.LBB25_8:
                                        ; implicit-def: $vgpr2_vgpr3
                                        ; implicit-def: $vgpr5_vgpr6
	s_cbranch_execnz .LBB25_10
	s_branch .LBB25_20
.LBB25_9:
	s_or_b32 exec_lo, exec_lo, s17
	s_and_b32 vcc_lo, exec_lo, s1
	s_cbranch_vccz .LBB25_20
.LBB25_10:
	s_mov_b32 s21, exec_lo
                                        ; implicit-def: $vgpr2_vgpr3
                                        ; implicit-def: $vgpr5_vgpr6
	v_cmpx_gt_i32_e64 s16, v4
	s_cbranch_execz .LBB25_19
; %bb.11:
	s_load_dword s22, s[4:5], 0x58
	v_mov_b32_e32 v0, 0
	v_mov_b32_e32 v2, 0
	;; [unrolled: 1-line block ×4, first 2 shown]
	s_waitcnt lgkmcnt(0)
	s_cmp_ge_i32 s6, s22
	s_cbranch_scc1 .LBB25_14
; %bb.12:
	s_load_dwordx2 s[0:1], s[4:5], 0x48
	v_mad_u64_u32 v[0:1], null, s16, s6, v[4:5]
	s_ashr_i32 s17, s16, 31
	s_mul_hi_u32 s4, s16, s7
	s_mul_i32 s5, s17, s7
	s_mul_i32 s7, s16, s7
	s_add_i32 s4, s4, s5
	s_mul_hi_u32 s5, s7, s22
	v_ashrrev_i32_e32 v1, 31, v0
	s_mul_i32 s23, s4, s22
	s_mul_i32 s4, s7, s22
	s_add_i32 s5, s5, s23
	v_lshlrev_b64 v[2:3], 4, v[0:1]
	s_lshl_b64 s[4:5], s[4:5], 4
	v_mov_b32_e32 v0, 0
	v_mov_b32_e32 v1, 0
	s_waitcnt lgkmcnt(0)
	s_add_u32 s0, s0, s4
	s_addc_u32 s1, s1, s5
	v_add_co_u32 v5, vcc_lo, s0, v2
	v_add_co_ci_u32_e64 v6, null, s1, v3, vcc_lo
	v_mov_b32_e32 v2, 0
	v_add_co_u32 v5, vcc_lo, v5, 8
	v_mov_b32_e32 v3, 0
	v_add_co_ci_u32_e64 v6, null, 0, v6, vcc_lo
	s_lshl_b64 s[0:1], s[16:17], 4
.LBB25_13:                              ; =>This Inner Loop Header: Depth=1
	global_load_dwordx4 v[7:10], v[5:6], off offset:-8
	v_add_co_u32 v5, vcc_lo, v5, s0
	v_add_co_ci_u32_e64 v6, null, s1, v6, vcc_lo
	s_add_i32 s6, s6, 1
	s_cmp_ge_i32 s6, s22
	s_waitcnt vmcnt(0)
	v_add_f64 v[2:3], v[2:3], v[7:8]
	v_add_f64 v[0:1], v[0:1], v[9:10]
	s_cbranch_scc0 .LBB25_13
.LBB25_14:
	v_mul_f64 v[5:6], s[14:15], v[0:1]
	v_mul_f64 v[7:8], s[12:13], v[0:1]
	v_cmp_neq_f64_e64 s0, s[8:9], 0
	v_cmp_neq_f64_e64 s1, s[10:11], 0
	v_fma_f64 v[0:1], s[12:13], v[2:3], -v[5:6]
	v_fma_f64 v[2:3], s[14:15], v[2:3], v[7:8]
	v_ashrrev_i32_e32 v5, 31, v4
	v_mul_lo_u32 v7, s3, v4
	s_or_b32 s0, s0, s1
	s_andn2_b32 vcc_lo, exec_lo, s0
	v_mul_lo_u32 v8, s2, v5
	s_cbranch_vccz .LBB25_16
; %bb.15:
	v_mad_u64_u32 v[5:6], null, s2, v4, 0
	v_add3_u32 v6, v6, v8, v7
	s_cbranch_execz .LBB25_17
	s_branch .LBB25_18
.LBB25_16:
                                        ; implicit-def: $vgpr5_vgpr6
.LBB25_17:
	v_mad_u64_u32 v[5:6], null, s2, v4, 0
	v_add3_u32 v6, v6, v8, v7
	v_lshlrev_b64 v[7:8], 4, v[5:6]
	v_add_co_u32 v7, vcc_lo, s18, v7
	v_add_co_ci_u32_e64 v8, null, s19, v8, vcc_lo
	global_load_dwordx4 v[7:10], v[7:8], off
	s_waitcnt vmcnt(0)
	v_mul_f64 v[11:12], s[10:11], v[9:10]
	v_mul_f64 v[9:10], s[8:9], v[9:10]
	v_fma_f64 v[11:12], s[8:9], v[7:8], -v[11:12]
	v_fma_f64 v[7:8], s[10:11], v[7:8], v[9:10]
	v_add_f64 v[0:1], v[0:1], v[11:12]
	v_add_f64 v[2:3], v[2:3], v[7:8]
.LBB25_18:
	s_or_b32 s20, s20, exec_lo
.LBB25_19:
	s_or_b32 exec_lo, exec_lo, s21
.LBB25_20:
	s_and_saveexec_b32 s0, s20
	s_cbranch_execz .LBB25_22
; %bb.21:
	v_lshlrev_b64 v[4:5], 4, v[5:6]
	v_add_co_u32 v4, vcc_lo, s18, v4
	v_add_co_ci_u32_e64 v5, null, s19, v5, vcc_lo
	global_store_dwordx4 v[4:5], v[0:3], off
.LBB25_22:
	s_endpgm
	.section	.rodata,"a",@progbits
	.p2align	6, 0x0
	.amdhsa_kernel _ZL36rocblas_hemvn_kernel_lower_block_sumILi64ElPK19rocblas_complex_numIdEPS1_S1_EviT1_lS5_lT2_lT0_lPT3_i
		.amdhsa_group_segment_fixed_size 0
		.amdhsa_private_segment_fixed_size 0
		.amdhsa_kernarg_size 344
		.amdhsa_user_sgpr_count 6
		.amdhsa_user_sgpr_private_segment_buffer 1
		.amdhsa_user_sgpr_dispatch_ptr 0
		.amdhsa_user_sgpr_queue_ptr 0
		.amdhsa_user_sgpr_kernarg_segment_ptr 1
		.amdhsa_user_sgpr_dispatch_id 0
		.amdhsa_user_sgpr_flat_scratch_init 0
		.amdhsa_user_sgpr_private_segment_size 0
		.amdhsa_wavefront_size32 1
		.amdhsa_uses_dynamic_stack 0
		.amdhsa_system_sgpr_private_segment_wavefront_offset 0
		.amdhsa_system_sgpr_workgroup_id_x 1
		.amdhsa_system_sgpr_workgroup_id_y 0
		.amdhsa_system_sgpr_workgroup_id_z 1
		.amdhsa_system_sgpr_workgroup_info 0
		.amdhsa_system_vgpr_workitem_id 0
		.amdhsa_next_free_vgpr 13
		.amdhsa_next_free_sgpr 24
		.amdhsa_reserve_vcc 1
		.amdhsa_reserve_flat_scratch 0
		.amdhsa_float_round_mode_32 0
		.amdhsa_float_round_mode_16_64 0
		.amdhsa_float_denorm_mode_32 3
		.amdhsa_float_denorm_mode_16_64 3
		.amdhsa_dx10_clamp 1
		.amdhsa_ieee_mode 1
		.amdhsa_fp16_overflow 0
		.amdhsa_workgroup_processor_mode 1
		.amdhsa_memory_ordered 1
		.amdhsa_forward_progress 1
		.amdhsa_shared_vgpr_count 0
		.amdhsa_exception_fp_ieee_invalid_op 0
		.amdhsa_exception_fp_denorm_src 0
		.amdhsa_exception_fp_ieee_div_zero 0
		.amdhsa_exception_fp_ieee_overflow 0
		.amdhsa_exception_fp_ieee_underflow 0
		.amdhsa_exception_fp_ieee_inexact 0
		.amdhsa_exception_int_div_zero 0
	.end_amdhsa_kernel
	.section	.text._ZL36rocblas_hemvn_kernel_lower_block_sumILi64ElPK19rocblas_complex_numIdEPS1_S1_EviT1_lS5_lT2_lT0_lPT3_i,"axG",@progbits,_ZL36rocblas_hemvn_kernel_lower_block_sumILi64ElPK19rocblas_complex_numIdEPS1_S1_EviT1_lS5_lT2_lT0_lPT3_i,comdat
.Lfunc_end25:
	.size	_ZL36rocblas_hemvn_kernel_lower_block_sumILi64ElPK19rocblas_complex_numIdEPS1_S1_EviT1_lS5_lT2_lT0_lPT3_i, .Lfunc_end25-_ZL36rocblas_hemvn_kernel_lower_block_sumILi64ElPK19rocblas_complex_numIdEPS1_S1_EviT1_lS5_lT2_lT0_lPT3_i
                                        ; -- End function
	.set _ZL36rocblas_hemvn_kernel_lower_block_sumILi64ElPK19rocblas_complex_numIdEPS1_S1_EviT1_lS5_lT2_lT0_lPT3_i.num_vgpr, 13
	.set _ZL36rocblas_hemvn_kernel_lower_block_sumILi64ElPK19rocblas_complex_numIdEPS1_S1_EviT1_lS5_lT2_lT0_lPT3_i.num_agpr, 0
	.set _ZL36rocblas_hemvn_kernel_lower_block_sumILi64ElPK19rocblas_complex_numIdEPS1_S1_EviT1_lS5_lT2_lT0_lPT3_i.numbered_sgpr, 24
	.set _ZL36rocblas_hemvn_kernel_lower_block_sumILi64ElPK19rocblas_complex_numIdEPS1_S1_EviT1_lS5_lT2_lT0_lPT3_i.num_named_barrier, 0
	.set _ZL36rocblas_hemvn_kernel_lower_block_sumILi64ElPK19rocblas_complex_numIdEPS1_S1_EviT1_lS5_lT2_lT0_lPT3_i.private_seg_size, 0
	.set _ZL36rocblas_hemvn_kernel_lower_block_sumILi64ElPK19rocblas_complex_numIdEPS1_S1_EviT1_lS5_lT2_lT0_lPT3_i.uses_vcc, 1
	.set _ZL36rocblas_hemvn_kernel_lower_block_sumILi64ElPK19rocblas_complex_numIdEPS1_S1_EviT1_lS5_lT2_lT0_lPT3_i.uses_flat_scratch, 0
	.set _ZL36rocblas_hemvn_kernel_lower_block_sumILi64ElPK19rocblas_complex_numIdEPS1_S1_EviT1_lS5_lT2_lT0_lPT3_i.has_dyn_sized_stack, 0
	.set _ZL36rocblas_hemvn_kernel_lower_block_sumILi64ElPK19rocblas_complex_numIdEPS1_S1_EviT1_lS5_lT2_lT0_lPT3_i.has_recursion, 0
	.set _ZL36rocblas_hemvn_kernel_lower_block_sumILi64ElPK19rocblas_complex_numIdEPS1_S1_EviT1_lS5_lT2_lT0_lPT3_i.has_indirect_call, 0
	.section	.AMDGPU.csdata,"",@progbits
; Kernel info:
; codeLenInByte = 956
; TotalNumSgprs: 26
; NumVgprs: 13
; ScratchSize: 0
; MemoryBound: 0
; FloatMode: 240
; IeeeMode: 1
; LDSByteSize: 0 bytes/workgroup (compile time only)
; SGPRBlocks: 0
; VGPRBlocks: 1
; NumSGPRsForWavesPerEU: 26
; NumVGPRsForWavesPerEU: 13
; Occupancy: 16
; WaveLimiterHint : 0
; COMPUTE_PGM_RSRC2:SCRATCH_EN: 0
; COMPUTE_PGM_RSRC2:USER_SGPR: 6
; COMPUTE_PGM_RSRC2:TRAP_HANDLER: 0
; COMPUTE_PGM_RSRC2:TGID_X_EN: 1
; COMPUTE_PGM_RSRC2:TGID_Y_EN: 0
; COMPUTE_PGM_RSRC2:TGID_Z_EN: 1
; COMPUTE_PGM_RSRC2:TIDIG_COMP_CNT: 0
	.section	.text._ZL26rocblas_hemvn_kernel_lowerILb1ELi64ELi4ELi33ELi32ELi16EiPK19rocblas_complex_numIdES3_PS1_EviT6_lT7_lT5_lS6_lS7_lS5_lT8_i,"axG",@progbits,_ZL26rocblas_hemvn_kernel_lowerILb1ELi64ELi4ELi33ELi32ELi16EiPK19rocblas_complex_numIdES3_PS1_EviT6_lT7_lT5_lS6_lS7_lS5_lT8_i,comdat
	.globl	_ZL26rocblas_hemvn_kernel_lowerILb1ELi64ELi4ELi33ELi32ELi16EiPK19rocblas_complex_numIdES3_PS1_EviT6_lT7_lT5_lS6_lS7_lS5_lT8_i ; -- Begin function _ZL26rocblas_hemvn_kernel_lowerILb1ELi64ELi4ELi33ELi32ELi16EiPK19rocblas_complex_numIdES3_PS1_EviT6_lT7_lT5_lS6_lS7_lS5_lT8_i
	.p2align	8
	.type	_ZL26rocblas_hemvn_kernel_lowerILb1ELi64ELi4ELi33ELi32ELi16EiPK19rocblas_complex_numIdES3_PS1_EviT6_lT7_lT5_lS6_lS7_lS5_lT8_i,@function
_ZL26rocblas_hemvn_kernel_lowerILb1ELi64ELi4ELi33ELi32ELi16EiPK19rocblas_complex_numIdES3_PS1_EviT6_lT7_lT5_lS6_lS7_lS5_lT8_i: ; @_ZL26rocblas_hemvn_kernel_lowerILb1ELi64ELi4ELi33ELi32ELi16EiPK19rocblas_complex_numIdES3_PS1_EviT6_lT7_lT5_lS6_lS7_lS5_lT8_i
; %bb.0:
	s_load_dwordx2 s[2:3], s[4:5], 0x84
	s_add_u32 s0, s4, 0x78
	s_addc_u32 s1, s5, 0
	s_waitcnt lgkmcnt(0)
	s_lshr_b32 s8, s2, 16
	s_and_b32 s2, s2, 0xffff
	s_and_b32 s3, s3, 0xffff
	s_mul_i32 s2, s8, s2
	s_mul_i32 s2, s2, s3
	s_cmpk_lg_i32 s2, 0x100
	s_cbranch_scc1 .LBB26_151
; %bb.1:
	s_load_dwordx8 s[12:19], s[4:5], 0x8
	v_mov_b32_e32 v2, v1
	s_waitcnt lgkmcnt(0)
	s_mul_i32 s3, s15, s7
	s_mul_hi_u32 s8, s14, s7
	s_mul_i32 s2, s14, s7
	s_add_i32 s3, s8, s3
	s_lshl_b64 s[2:3], s[2:3], 4
	s_add_u32 s2, s12, s2
	s_addc_u32 s3, s13, s3
	s_load_dwordx4 s[8:11], s[2:3], 0x0
	s_waitcnt lgkmcnt(0)
	v_cmp_neq_f64_e64 s2, s[8:9], 0
	v_cmp_neq_f64_e64 s3, s[10:11], 0
	s_load_dwordx8 s[8:15], s[4:5], 0x50
	s_or_b32 s2, s2, s3
	s_mov_b32 s3, -1
	s_and_b32 vcc_lo, exec_lo, s2
	s_cbranch_vccnz .LBB26_3
; %bb.2:
	s_waitcnt lgkmcnt(0)
	s_mul_i32 s3, s13, s7
	s_mul_hi_u32 s13, s12, s7
	s_mul_i32 s12, s12, s7
	s_add_i32 s13, s13, s3
	s_lshl_b64 s[12:13], s[12:13], 4
	s_add_u32 s10, s10, s12
	s_addc_u32 s11, s11, s13
	s_load_dwordx4 s[20:23], s[10:11], 0x0
	s_waitcnt lgkmcnt(0)
	v_cmp_neq_f64_e64 s3, s[20:21], 1.0
	v_cmp_neq_f64_e64 s10, s[22:23], 0
	s_or_b32 s3, s3, s10
.LBB26_3:
	s_andn2_b32 vcc_lo, exec_lo, s3
	s_cbranch_vccnz .LBB26_151
; %bb.4:
	s_andn2_b32 vcc_lo, exec_lo, s2
	s_cbranch_vccnz .LBB26_151
; %bb.5:
	s_clause 0x2
	s_load_dwordx4 s[20:23], s[4:5], 0x30
	s_load_dwordx2 s[2:3], s[4:5], 0x40
	s_load_dword s24, s[4:5], 0x48
	s_waitcnt lgkmcnt(0)
	s_mul_i32 s9, s9, s7
	s_mul_hi_u32 s10, s8, s7
	s_mul_i32 s8, s8, s7
	s_add_i32 s9, s10, s9
	s_load_dword s25, s[4:5], 0x0
	s_lshl_b64 s[8:9], s[8:9], 4
	s_load_dword s26, s[0:1], 0x0
	s_add_u32 s8, s22, s8
	s_addc_u32 s9, s23, s9
	s_lshl_b64 s[2:3], s[2:3], 4
	s_add_u32 s2, s8, s2
	s_addc_u32 s3, s9, s3
	s_lshl_b32 s10, s6, 6
	s_waitcnt lgkmcnt(0)
	s_ashr_i32 s27, s25, 31
	v_add_nc_u32_e32 v139, s10, v0
	s_lshr_b32 s0, s27, 26
	s_add_i32 s8, s26, -1
	s_add_i32 s1, s25, s0
	v_cmp_ne_u32_e64 s0, 0, v2
	v_mul_lo_u32 v3, s24, v139
	s_andn2_b32 s1, s1, 63
	s_sub_i32 s9, s25, s1
	v_cmp_eq_u32_e64 s1, 0, v2
	s_cmp_eq_u32 s6, s8
	s_cselect_b32 s12, s9, 0
	v_ashrrev_i32_e32 v4, 31, v3
	v_lshlrev_b64 v[3:4], 4, v[3:4]
	v_add_co_u32 v39, vcc_lo, s2, v3
	v_add_co_ci_u32_e64 v40, null, s3, v4, vcc_lo
	s_mov_b32 s2, -1
	s_and_saveexec_b32 s3, s1
	s_cbranch_execz .LBB26_10
; %bb.6:
	v_cmp_le_i32_e32 vcc_lo, s12, v0
	s_cmp_lg_u32 s12, 0
	v_lshl_add_u32 v1, v0, 4, 0x4700
	s_cselect_b32 s8, -1, 0
	s_and_b32 s8, s8, vcc_lo
	s_and_saveexec_b32 s9, s8
	s_xor_b32 s8, exec_lo, s9
	s_cbranch_execz .LBB26_8
; %bb.7:
	v_mov_b32_e32 v3, 0
	v_mov_b32_e32 v4, v3
	;; [unrolled: 1-line block ×4, first 2 shown]
	ds_write_b128 v1, v[3:6]
                                        ; implicit-def: $vgpr1
.LBB26_8:
	s_andn2_saveexec_b32 s8, s8
	s_cbranch_execz .LBB26_10
; %bb.9:
	global_load_dwordx4 v[3:6], v[39:40], off
	s_waitcnt vmcnt(0)
	ds_write2_b64 v1, v[3:4], v[5:6] offset1:1
.LBB26_10:
	s_or_b32 exec_lo, exec_lo, s3
	s_load_dword s22, s[4:5], 0x28
	v_lshl_add_u32 v45, v2, 6, v0
	v_and_b32_e32 v1, 31, v0
	s_mul_i32 s3, s21, s7
	s_mul_hi_u32 s5, s20, s7
	s_mul_i32 s4, s20, s7
	v_lshrrev_b32_e32 v13, 5, v45
	s_add_i32 s5, s5, s3
	s_lshl_b64 s[4:5], s[4:5], 4
	s_add_u32 s3, s16, s4
	s_addc_u32 s8, s17, s5
	s_lshl_b64 s[4:5], s[18:19], 4
	s_add_u32 s3, s3, s4
	s_addc_u32 s8, s8, s5
	s_ashr_i32 s11, s10, 31
	s_lshl_b64 s[4:5], s[10:11], 4
	s_waitcnt lgkmcnt(0)
	v_mad_u64_u32 v[3:4], null, s22, v13, v[1:2]
	s_add_u32 s3, s3, s4
	s_mul_i32 s4, s22, s10
	s_addc_u32 s8, s8, s5
	s_ashr_i32 s5, s4, 31
	s_lshl_b64 s[16:17], s[4:5], 4
	v_ashrrev_i32_e32 v4, 31, v3
	s_cmp_lg_u32 s12, 0
	s_cselect_b32 s11, -1, 0
	s_cmp_eq_u32 s12, 0
	v_lshlrev_b64 v[41:42], 4, v[3:4]
	s_cselect_b32 s9, -1, 0
	v_add_co_u32 v3, vcc_lo, s3, v41
	v_add_co_ci_u32_e64 v4, null, s8, v42, vcc_lo
	v_add_co_u32 v7, vcc_lo, v3, s16
	v_add_co_ci_u32_e64 v8, null, s17, v4, vcc_lo
	s_and_b32 vcc_lo, exec_lo, s11
	s_cbranch_vccnz .LBB26_12
; %bb.11:
	s_lshl_b32 s2, s22, 3
	s_ashr_i32 s23, s22, 31
	s_ashr_i32 s3, s2, 31
	v_mul_u32_u24_e32 v22, 0x210, v13
	s_lshl_b64 s[2:3], s[2:3], 4
	v_add_co_u32 v9, vcc_lo, v7, s2
	v_add_co_ci_u32_e64 v10, null, s3, v8, vcc_lo
	s_lshl_b64 s[2:3], s[22:23], 7
	v_lshl_add_u32 v22, v1, 4, v22
	v_add_co_u32 v14, vcc_lo, v9, s2
	v_add_co_ci_u32_e64 v15, null, s3, v10, vcc_lo
	v_add_nc_u32_e32 v25, 0x3180, v22
	v_add_co_u32 v18, vcc_lo, v14, s2
	v_add_co_ci_u32_e64 v19, null, s3, v15, vcc_lo
	s_clause 0x3
	global_load_dwordx4 v[3:6], v[7:8], off
	global_load_dwordx4 v[9:12], v[9:10], off
	;; [unrolled: 1-line block ×4, first 2 shown]
	v_add_nc_u32_e32 v23, 0x1080, v22
	v_add_nc_u32_e32 v24, 0x2100, v22
	s_mov_b32 s2, 0
	s_waitcnt vmcnt(3)
	ds_write2_b64 v22, v[3:4], v[5:6] offset1:1
	s_waitcnt vmcnt(2)
	ds_write2_b64 v23, v[9:10], v[11:12] offset1:1
	s_waitcnt vmcnt(1)
	ds_write2_b64 v24, v[14:15], v[16:17] offset1:1
	s_waitcnt vmcnt(0)
	ds_write2_b64 v25, v[18:19], v[20:21] offset1:1
.LBB26_12:
	v_lshlrev_b32_e32 v14, 4, v1
	s_andn2_b32 vcc_lo, exec_lo, s2
	s_cbranch_vccnz .LBB26_30
; %bb.13:
	v_sub_co_u32 v3, vcc_lo, v7, v14
	s_ashr_i32 s13, s12, 31
	v_subrev_co_ci_u32_e64 v4, null, 0, v8, vcc_lo
	s_lshl_b64 s[4:5], s[12:13], 4
	v_cmp_le_i32_e64 s2, s12, v13
	v_add_co_u32 v3, vcc_lo, v3, s4
	v_add_co_ci_u32_e64 v4, null, s5, v4, vcc_lo
	v_mad_u32_u24 v5, 0x210, v13, v14
	v_add_co_u32 v3, vcc_lo, v3, -16
	v_add_co_ci_u32_e64 v4, null, -1, v4, vcc_lo
	v_cmp_gt_i32_e32 vcc_lo, s12, v1
	v_cndmask_b32_e32 v4, v4, v8, vcc_lo
	v_cndmask_b32_e32 v3, v3, v7, vcc_lo
	s_and_saveexec_b32 s3, s2
	s_xor_b32 s2, exec_lo, s3
	s_cbranch_execz .LBB26_15
; %bb.14:
	v_mov_b32_e32 v9, 0
	v_mov_b32_e32 v10, v9
	;; [unrolled: 1-line block ×4, first 2 shown]
	ds_write_b128 v5, v[9:12]
                                        ; implicit-def: $vgpr5
.LBB26_15:
	s_andn2_saveexec_b32 s2, s2
	s_cbranch_execz .LBB26_17
; %bb.16:
	global_load_dwordx4 v[9:12], v[3:4], off
	s_waitcnt vmcnt(0)
	ds_write2_b64 v5, v[9:10], v[11:12] offset1:1
.LBB26_17:
	s_or_b32 exec_lo, exec_lo, s2
	v_add_nc_u32_e32 v6, 8, v13
	v_mul_u32_u24_e32 v5, 0x210, v13
	v_cmp_le_i32_e64 s2, s12, v6
	s_and_saveexec_b32 s3, s2
	s_xor_b32 s2, exec_lo, s3
	s_cbranch_execz .LBB26_19
; %bb.18:
	v_mov_b32_e32 v9, 0
	v_add_nc_u32_e32 v6, v5, v14
	v_mov_b32_e32 v10, v9
	v_mov_b32_e32 v11, v9
	;; [unrolled: 1-line block ×3, first 2 shown]
	ds_write_b128 v6, v[9:12] offset:4224
.LBB26_19:
	s_andn2_saveexec_b32 s3, s2
	s_cbranch_execz .LBB26_21
; %bb.20:
	s_lshl_b32 s18, s22, 3
	v_add3_u32 v6, v5, v14, 0x1080
	s_ashr_i32 s19, s18, 31
	s_lshl_b64 s[18:19], s[18:19], 4
	v_add_co_u32 v9, s2, v3, s18
	v_add_co_ci_u32_e64 v10, null, s19, v4, s2
	global_load_dwordx4 v[9:12], v[9:10], off
	s_waitcnt vmcnt(0)
	ds_write2_b64 v6, v[9:10], v[11:12] offset1:1
.LBB26_21:
	s_or_b32 exec_lo, exec_lo, s3
	v_add_nc_u32_e32 v6, 16, v13
	v_cmp_le_i32_e64 s2, s12, v6
	s_and_saveexec_b32 s3, s2
	s_xor_b32 s2, exec_lo, s3
	s_cbranch_execz .LBB26_23
; %bb.22:
	v_mov_b32_e32 v9, 0
	v_add_nc_u32_e32 v6, v5, v14
	v_mov_b32_e32 v10, v9
	v_mov_b32_e32 v11, v9
	;; [unrolled: 1-line block ×3, first 2 shown]
	ds_write_b128 v6, v[9:12] offset:8448
.LBB26_23:
	s_andn2_saveexec_b32 s3, s2
	s_cbranch_execz .LBB26_25
; %bb.24:
	s_lshl_b32 s18, s22, 4
	v_add3_u32 v6, v5, v14, 0x2100
	s_ashr_i32 s19, s18, 31
	s_lshl_b64 s[18:19], s[18:19], 4
	v_add_co_u32 v9, s2, v3, s18
	v_add_co_ci_u32_e64 v10, null, s19, v4, s2
	global_load_dwordx4 v[9:12], v[9:10], off
	s_waitcnt vmcnt(0)
	ds_write2_b64 v6, v[9:10], v[11:12] offset1:1
.LBB26_25:
	s_or_b32 exec_lo, exec_lo, s3
	v_add_nc_u32_e32 v6, 24, v13
	v_cmp_le_i32_e64 s2, s12, v6
	s_and_saveexec_b32 s3, s2
	s_xor_b32 s2, exec_lo, s3
	s_cbranch_execz .LBB26_27
; %bb.26:
	v_mov_b32_e32 v9, 0
	v_add_nc_u32_e32 v5, v5, v14
	v_mov_b32_e32 v10, v9
	v_mov_b32_e32 v11, v9
	;; [unrolled: 1-line block ×3, first 2 shown]
	ds_write_b128 v5, v[9:12] offset:12672
                                        ; implicit-def: $vgpr5
.LBB26_27:
	s_andn2_saveexec_b32 s3, s2
	s_cbranch_execz .LBB26_29
; %bb.28:
	s_mul_i32 s18, s22, 24
	v_add3_u32 v5, v5, v14, 0x3180
	s_ashr_i32 s19, s18, 31
	s_lshl_b64 s[18:19], s[18:19], 4
	v_add_co_u32 v9, s2, v3, s18
	v_add_co_ci_u32_e64 v10, null, s19, v4, s2
	global_load_dwordx4 v[9:12], v[9:10], off
	s_waitcnt vmcnt(0)
	ds_write2_b64 v5, v[9:10], v[11:12] offset1:1
.LBB26_29:
	s_or_b32 exec_lo, exec_lo, s3
	v_add_co_u32 v3, s2, v3, v14
	v_add_co_ci_u32_e64 v4, null, 0, v4, s2
	v_sub_co_u32 v3, s2, v3, s4
	v_subrev_co_ci_u32_e64 v4, null, s5, v4, s2
	v_add_co_u32 v3, s2, v3, 16
	v_add_co_ci_u32_e64 v4, null, 0, v4, s2
	v_cndmask_b32_e32 v7, v3, v7, vcc_lo
	v_cndmask_b32_e32 v8, v4, v8, vcc_lo
.LBB26_30:
	v_lshlrev_b32_e32 v15, 2, v13
	v_mul_u32_u24_e32 v16, 0x210, v1
	s_mov_b32 s2, 0
	s_waitcnt lgkmcnt(0)
	s_barrier
	v_cmp_ge_u32_e64 s3, v15, v1
	buffer_gl0_inv
                                        ; implicit-def: $vgpr11
	s_and_saveexec_b32 s4, s3
	s_xor_b32 s4, exec_lo, s4
	s_cbranch_execz .LBB26_34
; %bb.31:
	s_mov_b32 s5, exec_lo
                                        ; implicit-def: $vgpr11
	v_cmpx_eq_u32_e64 v15, v1
	s_xor_b32 s5, exec_lo, s5
; %bb.32:
	v_add_nc_u32_e32 v11, v14, v16
	s_mov_b32 s2, exec_lo
; %bb.33:
	s_or_b32 exec_lo, exec_lo, s5
	s_and_b32 s2, s2, exec_lo
.LBB26_34:
	s_or_saveexec_b32 s4, s4
	v_mov_b32_e32 v5, 0
	v_lshl_or_b32 v9, v1, 9, v14
	v_mov_b32_e32 v6, 0
	v_mad_u32_u24 v10, 0x840, v13, v14
	s_xor_b32 exec_lo, exec_lo, s4
	s_cbranch_execz .LBB26_36
; %bb.35:
	ds_read_b128 v[3:6], v10
	v_lshl_add_u32 v11, v15, 4, v9
	s_or_b32 s2, s2, exec_lo
	s_waitcnt lgkmcnt(0)
	v_xor_b32_e32 v6, 0x80000000, v6
	ds_write_b64 v11, v[3:4]
.LBB26_36:
	s_or_b32 exec_lo, exec_lo, s4
	s_and_saveexec_b32 s4, s2
; %bb.37:
	ds_write_b64 v11, v[5:6] offset:8
; %bb.38:
	s_or_b32 exec_lo, exec_lo, s4
	v_or_b32_e32 v18, 1, v15
	s_mov_b32 s2, 0
                                        ; implicit-def: $vgpr12
	v_cmp_ge_u32_e64 s4, v18, v1
	s_and_saveexec_b32 s5, s4
	s_xor_b32 s5, exec_lo, s5
	s_cbranch_execz .LBB26_42
; %bb.39:
	s_mov_b32 s8, exec_lo
                                        ; implicit-def: $vgpr12
	v_cmpx_eq_u32_e64 v18, v1
; %bb.40:
	v_add_nc_u32_e32 v12, v14, v16
	s_mov_b32 s2, exec_lo
; %bb.41:
	s_or_b32 exec_lo, exec_lo, s8
	s_and_b32 s2, s2, exec_lo
.LBB26_42:
	s_or_saveexec_b32 s5, s5
	v_mov_b32_e32 v5, 0
	v_mov_b32_e32 v6, 0
	v_mad_u32_u24 v11, 0x210, v18, v14
	s_xor_b32 exec_lo, exec_lo, s5
	s_cbranch_execz .LBB26_44
; %bb.43:
	ds_read_b128 v[3:6], v11
	v_lshl_add_u32 v17, v15, 4, v9
	s_or_b32 s2, s2, exec_lo
	v_add_nc_u32_e32 v12, 16, v17
	s_waitcnt lgkmcnt(0)
	v_xor_b32_e32 v6, 0x80000000, v6
	ds_write_b64 v17, v[3:4] offset:16
.LBB26_44:
	s_or_b32 exec_lo, exec_lo, s5
	s_and_saveexec_b32 s5, s2
; %bb.45:
	ds_write_b64 v12, v[5:6] offset:8
; %bb.46:
	s_or_b32 exec_lo, exec_lo, s5
	v_or_b32_e32 v19, 2, v15
	s_mov_b32 s2, 0
                                        ; implicit-def: $vgpr12
	v_cmp_ge_u32_e64 s5, v19, v1
	s_and_saveexec_b32 s8, s5
	s_xor_b32 s8, exec_lo, s8
	s_cbranch_execz .LBB26_50
; %bb.47:
	s_mov_b32 s13, exec_lo
                                        ; implicit-def: $vgpr12
	v_cmpx_eq_u32_e64 v19, v1
; %bb.48:
	v_add_nc_u32_e32 v12, v14, v16
	s_mov_b32 s2, exec_lo
; %bb.49:
	s_or_b32 exec_lo, exec_lo, s13
	s_and_b32 s2, s2, exec_lo
.LBB26_50:
	s_or_saveexec_b32 s8, s8
	v_mov_b32_e32 v5, 0
	v_mov_b32_e32 v6, 0
	s_xor_b32 exec_lo, exec_lo, s8
	s_cbranch_execz .LBB26_52
; %bb.51:
	v_mad_u32_u24 v3, 0x210, v19, v14
	v_lshl_add_u32 v17, v15, 4, v9
	s_or_b32 s2, s2, exec_lo
	ds_read_b128 v[3:6], v3
	v_add_nc_u32_e32 v12, 32, v17
	s_waitcnt lgkmcnt(0)
	v_xor_b32_e32 v6, 0x80000000, v6
	ds_write_b64 v17, v[3:4] offset:32
.LBB26_52:
	s_or_b32 exec_lo, exec_lo, s8
	s_and_saveexec_b32 s8, s2
; %bb.53:
	ds_write_b64 v12, v[5:6] offset:8
; %bb.54:
	s_or_b32 exec_lo, exec_lo, s8
	v_or_b32_e32 v20, 3, v15
	s_mov_b32 s2, 0
                                        ; implicit-def: $vgpr12
	v_cmp_ge_u32_e64 s8, v20, v1
	s_and_saveexec_b32 s13, s8
	s_xor_b32 s13, exec_lo, s13
	s_cbranch_execz .LBB26_58
; %bb.55:
	s_mov_b32 s18, exec_lo
                                        ; implicit-def: $vgpr12
	v_cmpx_eq_u32_e64 v20, v1
; %bb.56:
	v_add_nc_u32_e32 v12, v14, v16
	s_mov_b32 s2, exec_lo
; %bb.57:
	s_or_b32 exec_lo, exec_lo, s18
	s_and_b32 s2, s2, exec_lo
                                        ; implicit-def: $vgpr9
.LBB26_58:
	s_or_saveexec_b32 s13, s13
	v_mov_b32_e32 v5, 0
	v_mov_b32_e32 v6, 0
	s_xor_b32 exec_lo, exec_lo, s13
	s_cbranch_execz .LBB26_60
; %bb.59:
	v_mad_u32_u24 v3, 0x210, v20, v14
	v_lshl_add_u32 v9, v15, 4, v9
	s_or_b32 s2, s2, exec_lo
	ds_read_b128 v[3:6], v3
	v_add_nc_u32_e32 v12, 48, v9
	s_waitcnt lgkmcnt(0)
	v_xor_b32_e32 v6, 0x80000000, v6
	ds_write_b64 v9, v[3:4] offset:48
.LBB26_60:
	s_or_b32 exec_lo, exec_lo, s13
	s_and_saveexec_b32 s13, s2
; %bb.61:
	ds_write_b64 v12, v[5:6] offset:8
; %bb.62:
	s_or_b32 exec_lo, exec_lo, s13
	v_lshlrev_b32_e32 v9, 4, v15
	s_waitcnt lgkmcnt(0)
	s_barrier
	buffer_gl0_inv
	ds_read_b128 v[3:6], v10
	ds_read_b128 v[21:24], v9 offset:18176
	ds_read_b128 v[25:28], v11
	ds_read_b128 v[29:32], v11 offset:1056
	ds_read_b128 v[33:36], v9 offset:18192
	;; [unrolled: 1-line block ×4, first 2 shown]
	v_cmp_gt_u32_e64 s2, 32, v45
	s_waitcnt lgkmcnt(5)
	v_mul_f64 v[37:38], v[23:24], v[5:6]
	v_mul_f64 v[5:6], v[21:22], v[5:6]
	s_waitcnt lgkmcnt(2)
	v_mul_f64 v[10:11], v[35:36], v[27:28]
	v_mul_f64 v[27:28], v[33:34], v[27:28]
	s_waitcnt lgkmcnt(0)
	v_mul_f64 v[43:44], v[50:51], v[48:49]
	v_fma_f64 v[21:22], v[21:22], v[3:4], -v[37:38]
	v_fma_f64 v[23:24], v[23:24], v[3:4], v[5:6]
	v_mul_f64 v[37:38], v[52:53], v[48:49]
	v_fma_f64 v[10:11], v[33:34], v[25:26], -v[10:11]
	v_fma_f64 v[25:26], v[35:36], v[25:26], v[27:28]
	ds_read_b128 v[3:6], v9 offset:18224
	v_fma_f64 v[35:36], v[52:53], v[46:47], v[43:44]
	s_waitcnt lgkmcnt(0)
	s_barrier
	buffer_gl0_inv
	v_add_f64 v[21:22], v[21:22], 0
	v_add_f64 v[23:24], v[23:24], 0
	v_fma_f64 v[33:34], v[50:51], v[46:47], -v[37:38]
	v_mul_f64 v[27:28], v[5:6], v[31:32]
	v_mul_f64 v[31:32], v[3:4], v[31:32]
	v_add_f64 v[10:11], v[21:22], v[10:11]
	v_add_f64 v[21:22], v[23:24], v[25:26]
	v_fma_f64 v[3:4], v[3:4], v[29:30], -v[27:28]
	v_fma_f64 v[5:6], v[5:6], v[29:30], v[31:32]
	v_add_f64 v[10:11], v[10:11], v[33:34]
	v_add_f64 v[23:24], v[21:22], v[35:36]
	v_add_f64 v[21:22], v[10:11], v[3:4]
	v_add_f64 v[23:24], v[23:24], v[5:6]
	v_mul_u32_u24_e32 v3, 33, v1
	v_mov_b32_e32 v5, 0
	v_mov_b32_e32 v6, 0
	v_lshlrev_b32_e32 v46, 4, v3
	v_mov_b32_e32 v3, 0
	v_mov_b32_e32 v4, 0
	v_lshl_add_u32 v47, v13, 4, v46
	ds_write_b128 v47, v[21:24]
	s_waitcnt lgkmcnt(0)
	s_barrier
	buffer_gl0_inv
	s_and_saveexec_b32 s13, s2
	s_cbranch_execz .LBB26_64
; %bb.63:
	ds_read_b128 v[3:6], v46
	ds_read_b128 v[21:24], v46 offset:16
	s_waitcnt lgkmcnt(0)
	v_add_f64 v[10:11], v[21:22], v[3:4]
	v_add_f64 v[25:26], v[23:24], v[5:6]
	ds_read_b128 v[3:6], v46 offset:32
	ds_read_b128 v[21:24], v46 offset:48
	s_waitcnt lgkmcnt(1)
	v_add_f64 v[3:4], v[10:11], v[3:4]
	v_add_f64 v[5:6], v[25:26], v[5:6]
	s_waitcnt lgkmcnt(0)
	v_add_f64 v[10:11], v[3:4], v[21:22]
	v_add_f64 v[25:26], v[5:6], v[23:24]
	ds_read_b128 v[3:6], v46 offset:64
	ds_read_b128 v[21:24], v46 offset:80
	s_waitcnt lgkmcnt(1)
	v_add_f64 v[3:4], v[10:11], v[3:4]
	v_add_f64 v[5:6], v[25:26], v[5:6]
	;; [unrolled: 8-line block ×3, first 2 shown]
	s_waitcnt lgkmcnt(0)
	v_add_f64 v[3:4], v[3:4], v[21:22]
	v_add_f64 v[5:6], v[5:6], v[23:24]
.LBB26_64:
	s_or_b32 exec_lo, exec_lo, s13
	s_lshl_b32 s18, s22, 5
	v_cndmask_b32_e64 v21, 0, 1, s9
	s_ashr_i32 s19, s18, 31
	s_lshl_b64 s[18:19], s[18:19], 4
	s_barrier
	v_add_co_u32 v7, vcc_lo, v7, s18
	v_add_co_ci_u32_e64 v8, null, s19, v8, vcc_lo
	buffer_gl0_inv
	v_add_co_u32 v11, vcc_lo, 0x200, v7
	v_add_co_ci_u32_e64 v12, null, 0, v8, vcc_lo
	s_andn2_b32 vcc_lo, exec_lo, s9
	s_mov_b32 s9, -1
	s_cbranch_vccnz .LBB26_66
; %bb.65:
	s_lshl_b32 s20, s22, 3
	s_ashr_i32 s23, s22, 31
	s_ashr_i32 s21, s20, 31
	v_mad_u32_u24 v10, 0x210, v13, v14
	s_lshl_b64 s[20:21], s[20:21], 4
	s_mov_b32 s9, 0
	v_add_co_u32 v26, vcc_lo, v7, s20
	v_add_co_ci_u32_e64 v27, null, s21, v8, vcc_lo
	s_lshl_b64 s[20:21], s[22:23], 7
	v_add_nc_u32_e32 v43, 0x3180, v10
	v_add_co_u32 v30, vcc_lo, v26, s20
	v_add_co_ci_u32_e64 v31, null, s21, v27, vcc_lo
	v_add_nc_u32_e32 v17, 0x1080, v10
	v_add_co_u32 v34, vcc_lo, v30, s20
	v_add_co_ci_u32_e64 v35, null, s21, v31, vcc_lo
	s_clause 0x3
	global_load_dwordx4 v[22:25], v[11:12], off
	global_load_dwordx4 v[26:29], v[26:27], off offset:512
	global_load_dwordx4 v[30:33], v[30:31], off offset:512
	;; [unrolled: 1-line block ×3, first 2 shown]
	v_add_nc_u32_e32 v38, 0x2100, v10
	s_waitcnt vmcnt(3)
	ds_write2_b64 v10, v[22:23], v[24:25] offset1:1
	s_waitcnt vmcnt(2)
	ds_write2_b64 v17, v[26:27], v[28:29] offset1:1
	;; [unrolled: 2-line block ×4, first 2 shown]
.LBB26_66:
	s_andn2_b32 vcc_lo, exec_lo, s9
	s_cbranch_vccnz .LBB26_84
; %bb.67:
	v_sub_co_u32 v7, vcc_lo, v7, v14
	s_ashr_i32 s13, s12, 31
	v_subrev_co_ci_u32_e64 v8, null, 0, v8, vcc_lo
	s_lshl_b64 s[20:21], s[12:13], 4
	v_or_b32_e32 v10, 32, v1
	v_add_co_u32 v7, vcc_lo, v7, s20
	v_add_co_ci_u32_e64 v8, null, s21, v8, vcc_lo
	s_sub_i32 s13, s12, 32
	v_add_co_u32 v7, vcc_lo, v7, -16
	v_add_co_ci_u32_e64 v8, null, -1, v8, vcc_lo
	v_cmp_gt_i32_e32 vcc_lo, s12, v10
	v_cmp_le_i32_e64 s9, s13, v13
	v_mad_u32_u24 v10, 0x210, v13, v14
	v_cndmask_b32_e32 v8, v8, v12, vcc_lo
	v_cndmask_b32_e32 v7, v7, v11, vcc_lo
	s_and_saveexec_b32 s23, s9
	s_xor_b32 s9, exec_lo, s23
	s_cbranch_execz .LBB26_69
; %bb.68:
	v_mov_b32_e32 v22, 0
	v_mov_b32_e32 v23, v22
	;; [unrolled: 1-line block ×4, first 2 shown]
	ds_write_b128 v10, v[22:25]
                                        ; implicit-def: $vgpr10
.LBB26_69:
	s_andn2_saveexec_b32 s9, s9
	s_cbranch_execz .LBB26_71
; %bb.70:
	global_load_dwordx4 v[22:25], v[7:8], off
	s_waitcnt vmcnt(0)
	ds_write2_b64 v10, v[22:23], v[24:25] offset1:1
.LBB26_71:
	s_or_b32 exec_lo, exec_lo, s9
	v_add_nc_u32_e32 v17, 8, v13
	v_mul_u32_u24_e32 v10, 0x210, v13
	v_cmp_le_i32_e64 s9, s13, v17
	s_and_saveexec_b32 s23, s9
	s_xor_b32 s9, exec_lo, s23
	s_cbranch_execz .LBB26_73
; %bb.72:
	v_mov_b32_e32 v22, 0
	v_add_nc_u32_e32 v17, v10, v14
	v_mov_b32_e32 v23, v22
	v_mov_b32_e32 v24, v22
	;; [unrolled: 1-line block ×3, first 2 shown]
	ds_write_b128 v17, v[22:25] offset:4224
.LBB26_73:
	s_andn2_saveexec_b32 s23, s9
	s_cbranch_execz .LBB26_75
; %bb.74:
	s_lshl_b32 s28, s22, 3
	v_add3_u32 v17, v10, v14, 0x1080
	s_ashr_i32 s29, s28, 31
	s_lshl_b64 s[28:29], s[28:29], 4
	v_add_co_u32 v22, s9, v7, s28
	v_add_co_ci_u32_e64 v23, null, s29, v8, s9
	global_load_dwordx4 v[22:25], v[22:23], off
	s_waitcnt vmcnt(0)
	ds_write2_b64 v17, v[22:23], v[24:25] offset1:1
.LBB26_75:
	s_or_b32 exec_lo, exec_lo, s23
	v_add_nc_u32_e32 v17, 16, v13
	v_cmp_le_i32_e64 s9, s13, v17
	s_and_saveexec_b32 s23, s9
	s_xor_b32 s9, exec_lo, s23
	s_cbranch_execz .LBB26_77
; %bb.76:
	v_mov_b32_e32 v22, 0
	v_add_nc_u32_e32 v17, v10, v14
	v_mov_b32_e32 v23, v22
	v_mov_b32_e32 v24, v22
	;; [unrolled: 1-line block ×3, first 2 shown]
	ds_write_b128 v17, v[22:25] offset:8448
.LBB26_77:
	s_andn2_saveexec_b32 s23, s9
	s_cbranch_execz .LBB26_79
; %bb.78:
	s_lshl_b32 s28, s22, 4
	v_add3_u32 v17, v10, v14, 0x2100
	s_ashr_i32 s29, s28, 31
	s_lshl_b64 s[28:29], s[28:29], 4
	v_add_co_u32 v22, s9, v7, s28
	v_add_co_ci_u32_e64 v23, null, s29, v8, s9
	global_load_dwordx4 v[22:25], v[22:23], off
	s_waitcnt vmcnt(0)
	ds_write2_b64 v17, v[22:23], v[24:25] offset1:1
.LBB26_79:
	s_or_b32 exec_lo, exec_lo, s23
	v_add_nc_u32_e32 v17, 24, v13
	v_cmp_le_i32_e64 s9, s13, v17
	s_and_saveexec_b32 s13, s9
	s_xor_b32 s9, exec_lo, s13
	s_cbranch_execz .LBB26_81
; %bb.80:
	v_mov_b32_e32 v22, 0
	v_add_nc_u32_e32 v10, v10, v14
	v_mov_b32_e32 v23, v22
	v_mov_b32_e32 v24, v22
	;; [unrolled: 1-line block ×3, first 2 shown]
	ds_write_b128 v10, v[22:25] offset:12672
                                        ; implicit-def: $vgpr10
.LBB26_81:
	s_andn2_saveexec_b32 s13, s9
	s_cbranch_execz .LBB26_83
; %bb.82:
	s_mul_i32 s28, s22, 24
	v_add3_u32 v10, v10, v14, 0x3180
	s_ashr_i32 s29, s28, 31
	s_lshl_b64 s[28:29], s[28:29], 4
	v_add_co_u32 v22, s9, v7, s28
	v_add_co_ci_u32_e64 v23, null, s29, v8, s9
	global_load_dwordx4 v[22:25], v[22:23], off
	s_waitcnt vmcnt(0)
	ds_write2_b64 v10, v[22:23], v[24:25] offset1:1
.LBB26_83:
	s_or_b32 exec_lo, exec_lo, s13
	v_add_co_u32 v7, s9, v7, v14
	v_add_co_ci_u32_e64 v8, null, 0, v8, s9
	v_sub_co_u32 v7, s9, v7, s20
	v_subrev_co_ci_u32_e64 v8, null, s21, v8, s9
	v_add_co_u32 v7, s9, 0x210, v7
	v_add_co_ci_u32_e64 v8, null, 0, v8, s9
	v_cndmask_b32_e32 v11, v7, v11, vcc_lo
	v_cndmask_b32_e32 v12, v8, v12, vcc_lo
.LBB26_84:
	v_mul_u32_u24_e32 v7, 0x840, v13
	v_add_nc_u32_e32 v17, 0x4700, v9
	v_mul_u32_u24_e32 v23, 0x210, v18
	s_mov_b32 s9, 0
	s_waitcnt lgkmcnt(0)
	s_barrier
	buffer_gl0_inv
                                        ; implicit-def: $vgpr24
	s_and_saveexec_b32 s13, s3
	s_xor_b32 s3, exec_lo, s13
	s_cbranch_execz .LBB26_88
; %bb.85:
	s_mov_b32 s13, exec_lo
                                        ; implicit-def: $vgpr24
	v_cmpx_eq_u32_e64 v15, v1
	s_xor_b32 s13, exec_lo, s13
; %bb.86:
	s_mov_b32 s9, exec_lo
	v_add_nc_u32_e32 v24, v14, v16
; %bb.87:
	s_or_b32 exec_lo, exec_lo, s13
	s_and_b32 s9, s9, exec_lo
.LBB26_88:
	s_or_saveexec_b32 s3, s3
	v_mov_b32_e32 v9, 0
	v_mov_b32_e32 v10, 0
	v_add_nc_u32_e32 v22, v14, v7
	s_xor_b32 exec_lo, exec_lo, s3
	s_cbranch_execz .LBB26_90
; %bb.89:
	ds_read_b128 v[7:10], v22
	v_lshl_add_u32 v24, v15, 4, v46
	s_or_b32 s9, s9, exec_lo
	s_waitcnt lgkmcnt(0)
	v_xor_b32_e32 v10, 0x80000000, v10
	ds_write_b64 v24, v[7:8]
.LBB26_90:
	s_or_b32 exec_lo, exec_lo, s3
	s_and_saveexec_b32 s3, s9
; %bb.91:
	ds_write_b64 v24, v[9:10] offset:8
; %bb.92:
	s_or_b32 exec_lo, exec_lo, s3
	s_mov_b32 s3, 0
                                        ; implicit-def: $vgpr24
	s_and_saveexec_b32 s9, s4
	s_xor_b32 s4, exec_lo, s9
	s_cbranch_execz .LBB26_96
; %bb.93:
	s_mov_b32 s9, exec_lo
                                        ; implicit-def: $vgpr24
	v_cmpx_eq_u32_e64 v18, v1
; %bb.94:
	v_add_nc_u32_e32 v24, v14, v16
	s_mov_b32 s3, exec_lo
; %bb.95:
	s_or_b32 exec_lo, exec_lo, s9
	s_and_b32 s3, s3, exec_lo
.LBB26_96:
	s_or_saveexec_b32 s4, s4
	v_mov_b32_e32 v9, 0
	v_mov_b32_e32 v10, 0
	v_add_nc_u32_e32 v18, v14, v23
	s_xor_b32 exec_lo, exec_lo, s4
	s_cbranch_execz .LBB26_98
; %bb.97:
	ds_read_b128 v[7:10], v18
	v_lshl_add_u32 v23, v15, 4, v46
	s_or_b32 s3, s3, exec_lo
	v_add_nc_u32_e32 v24, 16, v23
	s_waitcnt lgkmcnt(0)
	v_xor_b32_e32 v10, 0x80000000, v10
	ds_write_b64 v23, v[7:8] offset:16
.LBB26_98:
	s_or_b32 exec_lo, exec_lo, s4
	s_and_saveexec_b32 s4, s3
; %bb.99:
	ds_write_b64 v24, v[9:10] offset:8
; %bb.100:
	s_or_b32 exec_lo, exec_lo, s4
	s_mov_b32 s3, 0
                                        ; implicit-def: $vgpr23
	s_and_saveexec_b32 s4, s5
	s_xor_b32 s4, exec_lo, s4
	s_cbranch_execz .LBB26_104
; %bb.101:
	s_mov_b32 s5, exec_lo
                                        ; implicit-def: $vgpr23
	v_cmpx_eq_u32_e64 v19, v1
; %bb.102:
	v_add_nc_u32_e32 v23, v14, v16
	s_mov_b32 s3, exec_lo
; %bb.103:
	s_or_b32 exec_lo, exec_lo, s5
	s_and_b32 s3, s3, exec_lo
.LBB26_104:
	s_or_saveexec_b32 s4, s4
	v_mov_b32_e32 v9, 0
	v_mov_b32_e32 v10, 0
	s_xor_b32 exec_lo, exec_lo, s4
	s_cbranch_execz .LBB26_106
; %bb.105:
	ds_read_b128 v[7:10], v18 offset:528
	v_lshl_add_u32 v19, v15, 4, v46
	s_or_b32 s3, s3, exec_lo
	v_add_nc_u32_e32 v23, 32, v19
	s_waitcnt lgkmcnt(0)
	v_xor_b32_e32 v10, 0x80000000, v10
	ds_write_b64 v19, v[7:8] offset:32
.LBB26_106:
	s_or_b32 exec_lo, exec_lo, s4
	s_and_saveexec_b32 s4, s3
; %bb.107:
	ds_write_b64 v23, v[9:10] offset:8
; %bb.108:
	s_or_b32 exec_lo, exec_lo, s4
	s_mov_b32 s3, 0
                                        ; implicit-def: $vgpr19
	s_and_saveexec_b32 s4, s8
	s_xor_b32 s4, exec_lo, s4
	s_cbranch_execz .LBB26_112
; %bb.109:
	s_mov_b32 s5, exec_lo
                                        ; implicit-def: $vgpr19
	v_cmpx_eq_u32_e64 v20, v1
; %bb.110:
	v_add_nc_u32_e32 v19, v14, v16
	s_mov_b32 s3, exec_lo
; %bb.111:
	s_or_b32 exec_lo, exec_lo, s5
	s_and_b32 s3, s3, exec_lo
.LBB26_112:
	s_or_saveexec_b32 s4, s4
	v_mov_b32_e32 v9, 0
	v_mov_b32_e32 v10, 0
	s_xor_b32 exec_lo, exec_lo, s4
	s_cbranch_execz .LBB26_114
; %bb.113:
	ds_read_b128 v[7:10], v18 offset:1056
	v_lshl_add_u32 v16, v15, 4, v46
	s_or_b32 s3, s3, exec_lo
	v_add_nc_u32_e32 v19, 48, v16
	s_waitcnt lgkmcnt(0)
	v_xor_b32_e32 v10, 0x80000000, v10
	ds_write_b64 v16, v[7:8] offset:48
.LBB26_114:
	s_or_b32 exec_lo, exec_lo, s4
	s_and_saveexec_b32 s4, s3
; %bb.115:
	ds_write_b64 v19, v[9:10] offset:8
; %bb.116:
	s_or_b32 exec_lo, exec_lo, s4
	s_waitcnt lgkmcnt(0)
	s_barrier
	buffer_gl0_inv
	ds_read_b128 v[7:10], v22
	ds_read_b128 v[22:25], v17 offset:512
	ds_read_b128 v[26:29], v17 offset:528
	ds_read_b128 v[30:33], v18
	ds_read_b128 v[34:37], v18 offset:1056
	ds_read_b128 v[48:51], v17 offset:544
	ds_read_b128 v[52:55], v18 offset:528
	v_cmp_eq_u32_e64 s3, 1, v13
	s_waitcnt lgkmcnt(5)
	v_mul_f64 v[19:20], v[24:25], v[9:10]
	v_mul_f64 v[9:10], v[22:23], v[9:10]
	s_waitcnt lgkmcnt(3)
	v_mul_f64 v[43:44], v[28:29], v[32:33]
	v_mul_f64 v[32:33], v[26:27], v[32:33]
	v_fma_f64 v[18:19], v[22:23], v[7:8], -v[19:20]
	v_fma_f64 v[22:23], v[24:25], v[7:8], v[9:10]
	s_waitcnt lgkmcnt(0)
	v_mul_f64 v[24:25], v[50:51], v[54:55]
	v_mul_f64 v[54:55], v[48:49], v[54:55]
	v_fma_f64 v[26:27], v[26:27], v[30:31], -v[43:44]
	v_fma_f64 v[28:29], v[28:29], v[30:31], v[32:33]
	ds_read_b128 v[7:10], v17 offset:560
	s_waitcnt lgkmcnt(0)
	s_barrier
	buffer_gl0_inv
	v_add_f64 v[18:19], v[18:19], 0
	v_add_f64 v[22:23], v[22:23], 0
	v_fma_f64 v[24:25], v[48:49], v[52:53], -v[24:25]
	v_mul_f64 v[30:31], v[9:10], v[36:37]
	v_mul_f64 v[32:33], v[7:8], v[36:37]
	v_fma_f64 v[36:37], v[50:51], v[52:53], v[54:55]
	v_add_f64 v[18:19], v[18:19], v[26:27]
	v_add_f64 v[22:23], v[22:23], v[28:29]
	v_fma_f64 v[7:8], v[7:8], v[34:35], -v[30:31]
	v_fma_f64 v[9:10], v[9:10], v[34:35], v[32:33]
	v_add_f64 v[18:19], v[18:19], v[24:25]
	v_add_f64 v[22:23], v[22:23], v[36:37]
	v_add_f64 v[7:8], v[18:19], v[7:8]
	v_add_f64 v[9:10], v[22:23], v[9:10]
	ds_write_b128 v47, v[7:10]
	s_waitcnt lgkmcnt(0)
	s_barrier
	buffer_gl0_inv
	s_and_saveexec_b32 s4, s3
	s_cbranch_execz .LBB26_118
; %bb.117:
	ds_read_b128 v[3:6], v46
	ds_read_b128 v[7:10], v46 offset:16
	s_waitcnt lgkmcnt(0)
	v_add_f64 v[18:19], v[7:8], v[3:4]
	v_add_f64 v[22:23], v[9:10], v[5:6]
	ds_read_b128 v[3:6], v46 offset:32
	ds_read_b128 v[7:10], v46 offset:48
	s_waitcnt lgkmcnt(1)
	v_add_f64 v[3:4], v[18:19], v[3:4]
	v_add_f64 v[5:6], v[22:23], v[5:6]
	s_waitcnt lgkmcnt(0)
	v_add_f64 v[18:19], v[3:4], v[7:8]
	v_add_f64 v[22:23], v[5:6], v[9:10]
	ds_read_b128 v[3:6], v46 offset:64
	ds_read_b128 v[7:10], v46 offset:80
	s_waitcnt lgkmcnt(1)
	v_add_f64 v[3:4], v[18:19], v[3:4]
	v_add_f64 v[5:6], v[22:23], v[5:6]
	;; [unrolled: 8-line block ×3, first 2 shown]
	s_waitcnt lgkmcnt(0)
	v_add_f64 v[3:4], v[3:4], v[7:8]
	v_add_f64 v[5:6], v[5:6], v[9:10]
.LBB26_118:
	s_or_b32 exec_lo, exec_lo, s4
	v_cmp_ne_u32_e32 vcc_lo, 1, v21
	v_sub_co_u32 v43, s4, v11, s18
	v_subrev_co_ci_u32_e64 v44, null, s19, v12, s4
	s_barrier
	buffer_gl0_inv
	s_cbranch_vccnz .LBB26_120
; %bb.119:
	s_lshl_b32 s4, s22, 3
	s_ashr_i32 s23, s22, 31
	s_ashr_i32 s5, s4, 31
	global_load_dwordx4 v[18:21], v[43:44], off
	s_lshl_b64 s[4:5], s[4:5], 4
	v_add_co_u32 v7, vcc_lo, v43, s4
	v_add_co_ci_u32_e64 v8, null, s5, v44, vcc_lo
	s_lshl_b64 s[4:5], s[22:23], 7
	v_add_co_u32 v9, vcc_lo, v7, s4
	v_add_co_ci_u32_e64 v10, null, s5, v8, vcc_lo
	v_add_co_u32 v11, vcc_lo, v9, s4
	v_add_co_ci_u32_e64 v12, null, s5, v10, vcc_lo
	s_clause 0x2
	global_load_dwordx4 v[22:25], v[7:8], off
	global_load_dwordx4 v[26:29], v[9:10], off
	;; [unrolled: 1-line block ×3, first 2 shown]
	s_movk_i32 s4, 0x1080
	s_movk_i32 s5, 0x2100
	v_mad_u32_u24 v8, 0x210, v13, s4
	s_movk_i32 s4, 0x3180
	v_mad_u32_u24 v9, 0x210, v13, v14
	v_mad_u32_u24 v16, 0x210, v13, s4
	;; [unrolled: 1-line block ×3, first 2 shown]
	v_mul_u32_u24_e32 v11, 0x210, v13
	v_add_nc_u32_e32 v10, 8, v13
	v_add_nc_u32_e32 v12, 24, v13
	s_waitcnt vmcnt(3)
	ds_write2_b64 v9, v[18:19], v[20:21] offset1:1
	v_add_nc_u32_e32 v18, v14, v8
	v_add_nc_u32_e32 v9, 16, v13
	;; [unrolled: 1-line block ×4, first 2 shown]
	s_waitcnt vmcnt(2)
	ds_write2_b64 v18, v[22:23], v[24:25] offset1:1
	s_waitcnt vmcnt(1)
	ds_write2_b64 v19, v[26:27], v[28:29] offset1:1
	;; [unrolled: 2-line block ×3, first 2 shown]
	s_cbranch_execz .LBB26_121
	s_branch .LBB26_138
.LBB26_120:
                                        ; implicit-def: $vgpr11
                                        ; implicit-def: $vgpr10
                                        ; implicit-def: $vgpr8
                                        ; implicit-def: $vgpr9
                                        ; implicit-def: $vgpr7
                                        ; implicit-def: $vgpr12
                                        ; implicit-def: $vgpr16
.LBB26_121:
	v_sub_co_u32 v7, vcc_lo, v43, v14
	s_ashr_i32 s13, s12, 31
	v_subrev_co_ci_u32_e64 v8, null, 0, v44, vcc_lo
	s_lshl_b64 s[8:9], s[12:13], 4
	v_or_b32_e32 v1, 32, v1
	v_add_co_u32 v7, vcc_lo, v7, s8
	v_add_co_ci_u32_e64 v8, null, s9, v8, vcc_lo
	v_cmp_le_i32_e64 s4, s12, v13
	v_add_co_u32 v7, vcc_lo, 0xfffffdf0, v7
	v_add_co_ci_u32_e64 v8, null, -1, v8, vcc_lo
	v_cmp_gt_i32_e32 vcc_lo, s12, v1
	v_mad_u32_u24 v1, 0x210, v13, v14
	v_cndmask_b32_e32 v8, v8, v44, vcc_lo
	v_cndmask_b32_e32 v7, v7, v43, vcc_lo
	s_and_saveexec_b32 s5, s4
	s_xor_b32 s4, exec_lo, s5
	s_cbranch_execz .LBB26_123
; %bb.122:
	v_mov_b32_e32 v9, 0
	v_mov_b32_e32 v10, v9
	;; [unrolled: 1-line block ×4, first 2 shown]
	ds_write_b128 v1, v[9:12]
                                        ; implicit-def: $vgpr1
.LBB26_123:
	s_andn2_saveexec_b32 s4, s4
	s_cbranch_execz .LBB26_125
; %bb.124:
	global_load_dwordx4 v[9:12], v[7:8], off
	s_waitcnt vmcnt(0)
	ds_write2_b64 v1, v[9:10], v[11:12] offset1:1
.LBB26_125:
	s_or_b32 exec_lo, exec_lo, s4
	v_add_nc_u32_e32 v10, 8, v13
	v_mul_u32_u24_e32 v11, 0x210, v13
	v_cmp_le_i32_e64 s4, s12, v10
	s_and_saveexec_b32 s5, s4
	s_xor_b32 s4, exec_lo, s5
	s_cbranch_execz .LBB26_127
; %bb.126:
	v_mov_b32_e32 v18, 0
	v_add_nc_u32_e32 v1, v11, v14
	v_mov_b32_e32 v19, v18
	v_mov_b32_e32 v20, v18
	;; [unrolled: 1-line block ×3, first 2 shown]
	ds_write_b128 v1, v[18:21] offset:4224
.LBB26_127:
	s_andn2_saveexec_b32 s5, s4
	s_cbranch_execz .LBB26_129
; %bb.128:
	s_lshl_b32 s18, s22, 3
	v_add3_u32 v1, v11, v14, 0x1080
	s_ashr_i32 s19, s18, 31
	s_lshl_b64 s[18:19], s[18:19], 4
	v_add_co_u32 v18, s4, v7, s18
	v_add_co_ci_u32_e64 v19, null, s19, v8, s4
	global_load_dwordx4 v[18:21], v[18:19], off
	s_waitcnt vmcnt(0)
	ds_write2_b64 v1, v[18:19], v[20:21] offset1:1
.LBB26_129:
	s_or_b32 exec_lo, exec_lo, s5
	v_add_nc_u32_e32 v9, 16, v13
	v_cmp_le_i32_e64 s4, s12, v9
	s_and_saveexec_b32 s5, s4
	s_xor_b32 s4, exec_lo, s5
	s_cbranch_execz .LBB26_131
; %bb.130:
	v_mov_b32_e32 v18, 0
	v_add_nc_u32_e32 v1, v11, v14
	v_mov_b32_e32 v19, v18
	v_mov_b32_e32 v20, v18
	;; [unrolled: 1-line block ×3, first 2 shown]
	ds_write_b128 v1, v[18:21] offset:8448
.LBB26_131:
	s_andn2_saveexec_b32 s5, s4
	s_cbranch_execz .LBB26_133
; %bb.132:
	s_lshl_b32 s18, s22, 4
	v_add3_u32 v1, v11, v14, 0x2100
	s_ashr_i32 s19, s18, 31
	s_lshl_b64 s[18:19], s[18:19], 4
	v_add_co_u32 v18, s4, v7, s18
	v_add_co_ci_u32_e64 v19, null, s19, v8, s4
	global_load_dwordx4 v[18:21], v[18:19], off
	s_waitcnt vmcnt(0)
	ds_write2_b64 v1, v[18:19], v[20:21] offset1:1
.LBB26_133:
	s_or_b32 exec_lo, exec_lo, s5
	v_add_nc_u32_e32 v12, 24, v13
                                        ; implicit-def: $vgpr16
	v_cmp_le_i32_e64 s4, s12, v12
	s_and_saveexec_b32 s5, s4
	s_xor_b32 s4, exec_lo, s5
	s_cbranch_execz .LBB26_135
; %bb.134:
	v_add_nc_u32_e32 v16, 0x3180, v11
	v_mov_b32_e32 v18, 0
	v_add_nc_u32_e32 v1, v14, v16
	v_mov_b32_e32 v19, v18
	v_mov_b32_e32 v20, v18
	;; [unrolled: 1-line block ×3, first 2 shown]
	ds_write_b128 v1, v[18:21]
.LBB26_135:
	s_andn2_saveexec_b32 s5, s4
	s_cbranch_execz .LBB26_137
; %bb.136:
	s_mul_i32 s18, s22, 24
	v_add_nc_u32_e32 v16, 0x3180, v11
	s_ashr_i32 s19, s18, 31
	s_lshl_b64 s[18:19], s[18:19], 4
	v_add_nc_u32_e32 v1, v14, v16
	v_add_co_u32 v18, s4, v7, s18
	v_add_co_ci_u32_e64 v19, null, s19, v8, s4
	global_load_dwordx4 v[18:21], v[18:19], off
	s_waitcnt vmcnt(0)
	ds_write2_b64 v1, v[18:19], v[20:21] offset1:1
.LBB26_137:
	s_or_b32 exec_lo, exec_lo, s5
	v_add_co_u32 v1, s4, v7, v14
	v_add_co_ci_u32_e64 v7, null, 0, v8, s4
	v_add_nc_u32_e32 v8, 0x1080, v11
	v_sub_co_u32 v1, s4, v1, s8
	v_subrev_co_ci_u32_e64 v7, null, s9, v7, s4
	v_add_co_u32 v1, s4, 0x210, v1
	v_add_co_ci_u32_e64 v7, null, 0, v7, s4
	v_cndmask_b32_e32 v43, v1, v43, vcc_lo
	v_cndmask_b32_e32 v44, v7, v44, vcc_lo
	v_add_nc_u32_e32 v7, 0x2100, v11
.LBB26_138:
	v_lshlrev_b32_e32 v1, 4, v13
	v_add_nc_u32_e32 v11, v14, v11
	s_waitcnt lgkmcnt(0)
	s_barrier
	buffer_gl0_inv
	ds_read_b128 v[18:21], v1 offset:18176
	ds_read_b128 v[22:25], v11
	v_lshlrev_b32_e32 v1, 4, v10
	v_add_nc_u32_e32 v8, v14, v8
	v_add_nc_u32_e32 v11, v14, v7
	;; [unrolled: 1-line block ×3, first 2 shown]
	ds_read_b128 v[26:29], v1 offset:18176
	ds_read_b128 v[30:33], v8
	v_lshlrev_b32_e32 v1, 4, v9
	ds_read_b128 v[7:10], v1 offset:18176
	ds_read_b128 v[34:37], v11
	v_lshlrev_b32_e32 v1, 4, v12
	s_waitcnt lgkmcnt(4)
	v_mul_f64 v[48:49], v[20:21], v[24:25]
	v_mul_f64 v[24:25], v[18:19], v[24:25]
	s_waitcnt lgkmcnt(2)
	v_mul_f64 v[50:51], v[28:29], v[32:33]
	v_mul_f64 v[32:33], v[26:27], v[32:33]
	v_fma_f64 v[48:49], v[18:19], v[22:23], -v[48:49]
	v_fma_f64 v[22:23], v[20:21], v[22:23], v[24:25]
	s_waitcnt lgkmcnt(0)
	v_mul_f64 v[24:25], v[9:10], v[36:37]
	v_mul_f64 v[36:37], v[7:8], v[36:37]
	ds_read_b128 v[11:14], v1 offset:18176
	ds_read2_b64 v[18:21], v16 offset1:1
	v_lshl_add_u32 v1, v15, 4, v46
	v_fma_f64 v[26:27], v[26:27], v[30:31], -v[50:51]
	v_fma_f64 v[28:29], v[28:29], v[30:31], v[32:33]
	v_add_f64 v[30:31], v[48:49], 0
	v_add_f64 v[22:23], v[22:23], 0
	s_waitcnt lgkmcnt(0)
	v_mul_f64 v[32:33], v[13:14], v[20:21]
	v_mul_f64 v[20:21], v[11:12], v[20:21]
	v_fma_f64 v[7:8], v[7:8], v[34:35], -v[24:25]
	v_fma_f64 v[9:10], v[9:10], v[34:35], v[36:37]
	v_add_f64 v[24:25], v[30:31], v[26:27]
	v_add_f64 v[22:23], v[22:23], v[28:29]
	v_fma_f64 v[11:12], v[11:12], v[18:19], -v[32:33]
	v_fma_f64 v[13:14], v[13:14], v[18:19], v[20:21]
	v_add_f64 v[7:8], v[24:25], v[7:8]
	v_add_f64 v[9:10], v[22:23], v[9:10]
	ds_read_b128 v[31:34], v17 offset:512
	ds_read_b128 v[23:26], v17 offset:528
	v_add_f64 v[48:49], v[7:8], v[11:12]
	v_add_f64 v[50:51], v[9:10], v[13:14]
	ds_read_b128 v[11:14], v17 offset:544
	ds_read_b128 v[7:10], v17 offset:560
	ds_read_b128 v[35:38], v1
	ds_read_b128 v[27:30], v1 offset:16
	ds_read_b128 v[19:22], v1 offset:32
	;; [unrolled: 1-line block ×3, first 2 shown]
	s_waitcnt lgkmcnt(0)
	s_barrier
	buffer_gl0_inv
	ds_write_b128 v47, v[48:51]
	s_waitcnt lgkmcnt(0)
	s_barrier
	buffer_gl0_inv
	s_and_saveexec_b32 s4, s3
	s_cbranch_execz .LBB26_140
; %bb.139:
	ds_read_b128 v[48:51], v46
	ds_read_b128 v[52:55], v46 offset:16
	s_waitcnt lgkmcnt(1)
	v_add_f64 v[3:4], v[3:4], v[48:49]
	v_add_f64 v[5:6], v[5:6], v[50:51]
	s_waitcnt lgkmcnt(0)
	v_add_f64 v[52:53], v[3:4], v[52:53]
	v_add_f64 v[54:55], v[5:6], v[54:55]
	ds_read_b128 v[3:6], v46 offset:32
	ds_read_b128 v[48:51], v46 offset:48
	s_waitcnt lgkmcnt(1)
	v_add_f64 v[3:4], v[52:53], v[3:4]
	v_add_f64 v[5:6], v[54:55], v[5:6]
	s_waitcnt lgkmcnt(0)
	v_add_f64 v[52:53], v[3:4], v[48:49]
	v_add_f64 v[54:55], v[5:6], v[50:51]
	ds_read_b128 v[3:6], v46 offset:64
	;; [unrolled: 8-line block ×3, first 2 shown]
	ds_read_b128 v[48:51], v46 offset:112
	s_waitcnt lgkmcnt(1)
	v_add_f64 v[3:4], v[52:53], v[3:4]
	v_add_f64 v[5:6], v[54:55], v[5:6]
	s_waitcnt lgkmcnt(0)
	v_add_f64 v[3:4], v[3:4], v[48:49]
	v_add_f64 v[5:6], v[5:6], v[50:51]
.LBB26_140:
	s_or_b32 exec_lo, exec_lo, s4
	v_mul_f64 v[48:49], v[37:38], v[33:34]
	v_mul_f64 v[37:38], v[37:38], v[31:32]
	;; [unrolled: 1-line block ×4, first 2 shown]
	s_barrier
	buffer_gl0_inv
	v_fma_f64 v[31:32], v[35:36], v[31:32], v[48:49]
	v_fma_f64 v[33:34], v[35:36], v[33:34], -v[37:38]
	v_mul_f64 v[35:36], v[21:22], v[13:14]
	v_mul_f64 v[21:22], v[21:22], v[11:12]
	v_fma_f64 v[23:24], v[27:28], v[23:24], v[50:51]
	v_fma_f64 v[25:26], v[27:28], v[25:26], -v[29:30]
	v_add_f64 v[27:28], v[31:32], 0
	v_add_f64 v[29:30], v[33:34], 0
	v_mul_f64 v[31:32], v[17:18], v[9:10]
	v_mul_f64 v[17:18], v[17:18], v[7:8]
	v_fma_f64 v[11:12], v[19:20], v[11:12], v[35:36]
	v_fma_f64 v[13:14], v[19:20], v[13:14], -v[21:22]
	v_add_f64 v[19:20], v[27:28], v[23:24]
	v_add_f64 v[21:22], v[29:30], v[25:26]
	v_fma_f64 v[7:8], v[15:16], v[7:8], v[31:32]
	v_fma_f64 v[9:10], v[15:16], v[9:10], -v[17:18]
	v_add_f64 v[11:12], v[19:20], v[11:12]
	v_add_f64 v[13:14], v[21:22], v[13:14]
	;; [unrolled: 1-line block ×4, first 2 shown]
	ds_write_b128 v47, v[7:10]
	s_waitcnt lgkmcnt(0)
	s_barrier
	buffer_gl0_inv
	s_and_saveexec_b32 s3, s2
	s_cbranch_execz .LBB26_142
; %bb.141:
	ds_read_b128 v[7:10], v46
	ds_read_b128 v[11:14], v46 offset:16
	s_waitcnt lgkmcnt(1)
	v_add_f64 v[3:4], v[3:4], v[7:8]
	v_add_f64 v[5:6], v[5:6], v[9:10]
	s_waitcnt lgkmcnt(0)
	v_add_f64 v[11:12], v[3:4], v[11:12]
	v_add_f64 v[13:14], v[5:6], v[13:14]
	ds_read_b128 v[3:6], v46 offset:32
	ds_read_b128 v[7:10], v46 offset:48
	s_waitcnt lgkmcnt(1)
	v_add_f64 v[3:4], v[11:12], v[3:4]
	v_add_f64 v[5:6], v[13:14], v[5:6]
	s_waitcnt lgkmcnt(0)
	v_add_f64 v[11:12], v[3:4], v[7:8]
	v_add_f64 v[13:14], v[5:6], v[9:10]
	ds_read_b128 v[3:6], v46 offset:64
	;; [unrolled: 8-line block ×3, first 2 shown]
	ds_read_b128 v[7:10], v46 offset:112
	s_waitcnt lgkmcnt(1)
	v_add_f64 v[3:4], v[11:12], v[3:4]
	v_add_f64 v[5:6], v[13:14], v[5:6]
	s_waitcnt lgkmcnt(0)
	v_add_f64 v[3:4], v[3:4], v[7:8]
	v_add_f64 v[5:6], v[5:6], v[9:10]
.LBB26_142:
	s_or_b32 exec_lo, exec_lo, s3
	s_mul_hi_u32 s2, s25, s7
	s_mul_i32 s27, s27, s7
	s_mul_i32 s3, s25, s7
	s_add_i32 s2, s2, s27
	s_mul_hi_u32 s5, s3, s26
	s_mul_i32 s4, s2, s26
	s_mul_i32 s2, s3, s26
	s_add_i32 s3, s5, s4
	s_mul_i32 s4, s25, s6
	s_lshl_b64 s[2:3], s[2:3], 4
	v_cmp_le_i32_e32 vcc_lo, s12, v0
	s_add_u32 s7, s14, s2
	s_addc_u32 s8, s15, s3
	s_ashr_i32 s5, s4, 31
	v_lshlrev_b32_e32 v142, 4, v0
	s_lshl_b64 s[2:3], s[4:5], 4
	s_add_u32 s7, s7, s2
	s_addc_u32 s14, s8, s3
	s_and_b32 vcc_lo, s11, vcc_lo
	s_cmp_lt_i32 s6, 1
	s_barrier
	buffer_gl0_inv
	s_cbranch_scc1 .LBB26_149
; %bb.143:
	v_mul_lo_u32 v1, v2, s22
	v_sub_co_u32 v11, s2, v43, s16
	v_subrev_co_ci_u32_e64 v12, null, s17, v44, s2
	s_ashr_i32 s13, s12, 31
	v_sub_co_u32 v11, s2, v11, v41
	v_lshl_add_u32 v7, v1, 2, v0
	v_sub_co_ci_u32_e64 v12, null, v12, v42, s2
	s_lshl_b64 s[8:9], s[12:13], 4
	v_lshrrev_b32_e32 v9, 4, v45
	v_ashrrev_i32_e32 v8, 31, v7
	v_and_b32_e32 v10, 15, v0
	s_mul_i32 s4, s24, s10
	v_mov_b32_e32 v1, 0
	s_ashr_i32 s5, s4, 31
	v_lshlrev_b64 v[7:8], 4, v[7:8]
	s_lshl_b64 s[4:5], s[4:5], 4
	v_add_nc_u32_e32 v145, 0x4300, v142
	v_lshl_add_u32 v146, v2, 6, 0x4300
	v_add_nc_u32_e32 v147, 0x4700, v142
	v_mad_u32_u24 v148, 0x10c0, v2, v142
	v_add_co_u32 v7, s2, v11, v7
	v_add_co_ci_u32_e64 v8, null, v12, v8, s2
	s_ashr_i32 s23, s22, 31
	v_sub_co_u32 v11, s2, v7, v142
	v_subrev_co_ci_u32_e64 v12, null, 0, v8, s2
	s_lshl_b32 s10, s24, 6
	v_add_co_u32 v11, s2, v11, s8
	v_add_co_ci_u32_e64 v12, null, s9, v12, s2
	v_add_co_u32 v7, s2, 0xfffffe00, v7
	v_add_co_ci_u32_e64 v8, null, -1, v8, s2
	v_add_co_u32 v11, s2, 0xfffffdf0, v11
	v_add_co_ci_u32_e64 v12, null, -1, v12, s2
	v_sub_co_u32 v143, s2, v39, s4
	v_cndmask_b32_e32 v7, v7, v11, vcc_lo
	v_cndmask_b32_e32 v8, v8, v12, vcc_lo
	v_and_b32_e32 v11, 48, v0
	v_lshlrev_b32_e32 v12, 6, v9
	v_mul_i32_i24_e32 v9, 0xffffffd0, v9
	v_subrev_co_ci_u32_e64 v144, null, s5, v40, s2
	v_lshlrev_b32_e32 v11, 4, v11
	v_mad_u32_u24 v149, 0x430, v10, v12
	v_or_b32_e32 v12, 0xf0, v142
	v_cmp_gt_u32_e64 s2, 64, v45
	s_lshl_b64 s[4:5], s[22:23], 4
	v_mad_u32_u24 v150, 0x430, v10, v11
	v_add_nc_u32_e32 v152, v149, v9
	v_mad_u32_u24 v151, 0x430, v10, v12
	s_mul_hi_i32 s11, s22, 0xd0
	s_mul_i32 s12, s22, 0xd0
	s_mov_b32 s8, 0
	s_branch .LBB26_145
.LBB26_144:                             ;   in Loop: Header=BB26_145 Depth=1
	s_or_b32 exec_lo, exec_lo, s9
	v_mul_f64 v[87:88], v[17:18], v[29:30]
	v_mul_f64 v[29:30], v[15:16], v[29:30]
	;; [unrolled: 1-line block ×4, first 2 shown]
	v_add_nc_u32_e32 v0, 64, v0
	s_add_i32 s6, s6, -1
	s_add_i32 s8, s8, s10
	s_cmp_eq_u32 s6, 0
	s_waitcnt_vscnt null, 0x0
	s_barrier
	buffer_gl0_inv
	v_fma_f64 v[15:16], v[15:16], v[27:28], -v[87:88]
	v_fma_f64 v[17:18], v[17:18], v[27:28], v[29:30]
	v_mul_f64 v[27:28], v[13:14], v[33:34]
	v_mul_f64 v[29:30], v[11:12], v[33:34]
	v_fma_f64 v[19:20], v[19:20], v[23:24], -v[89:90]
	v_fma_f64 v[21:22], v[21:22], v[23:24], v[25:26]
	v_add_f64 v[3:4], v[3:4], v[15:16]
	v_add_f64 v[5:6], v[5:6], v[17:18]
	v_mul_f64 v[15:16], v[9:10], v[49:50]
	v_mul_f64 v[17:18], v[7:8], v[49:50]
	v_fma_f64 v[11:12], v[11:12], v[31:32], -v[27:28]
	v_fma_f64 v[13:14], v[13:14], v[31:32], v[29:30]
	v_add_f64 v[3:4], v[3:4], v[19:20]
	v_add_f64 v[5:6], v[5:6], v[21:22]
	;; [unrolled: 6-line block ×14, first 2 shown]
	v_fma_f64 v[7:8], v[103:104], v[123:124], -v[7:8]
	v_fma_f64 v[9:10], v[105:106], v[123:124], v[9:10]
	v_add_f64 v[3:4], v[3:4], v[11:12]
	v_add_f64 v[5:6], v[5:6], v[13:14]
	;; [unrolled: 1-line block ×4, first 2 shown]
	v_add_co_u32 v7, s3, v140, s12
	v_add_co_ci_u32_e64 v8, null, s11, v141, s3
	s_cbranch_scc1 .LBB26_149
.LBB26_145:                             ; =>This Inner Loop Header: Depth=1
	s_and_saveexec_b32 s13, s1
	s_cbranch_execz .LBB26_147
; %bb.146:                              ;   in Loop: Header=BB26_145 Depth=1
	s_ashr_i32 s9, s8, 31
	s_lshl_b64 s[16:17], s[8:9], 4
	v_add_co_u32 v9, s3, v143, s16
	v_add_co_ci_u32_e64 v10, null, s17, v144, s3
	global_load_dwordx4 v[9:12], v[9:10], off
	s_waitcnt vmcnt(0)
	ds_write2_b64 v145, v[9:10], v[11:12] offset1:1
.LBB26_147:                             ;   in Loop: Header=BB26_145 Depth=1
	s_or_b32 exec_lo, exec_lo, s13
	v_add_co_u32 v9, s3, v7, s4
	v_add_co_ci_u32_e64 v10, null, s5, v8, s3
	s_waitcnt lgkmcnt(0)
	v_add_co_u32 v11, s3, v9, s4
	v_add_co_ci_u32_e64 v12, null, s5, v10, s3
	s_barrier
	v_add_co_u32 v27, s3, v11, s4
	buffer_gl0_inv
	global_load_dwordx4 v[15:18], v[7:8], off
	v_add_co_ci_u32_e64 v28, null, s5, v12, s3
	s_clause 0x2
	global_load_dwordx4 v[19:22], v[9:10], off
	global_load_dwordx4 v[11:14], v[11:12], off
	;; [unrolled: 1-line block ×3, first 2 shown]
	ds_read_b128 v[23:26], v147
	v_add_co_u32 v55, s3, v27, s12
	v_add_co_ci_u32_e64 v56, null, s11, v28, s3
	v_add_co_u32 v57, s3, v55, s4
	v_add_co_ci_u32_e64 v58, null, s5, v56, s3
	;; [unrolled: 2-line block ×12, first 2 shown]
	s_waitcnt vmcnt(3) lgkmcnt(0)
	v_mul_f64 v[29:30], v[17:18], v[25:26]
	v_mul_f64 v[31:32], v[17:18], v[23:24]
	s_waitcnt vmcnt(2)
	v_mul_f64 v[33:34], v[21:22], v[25:26]
	v_mul_f64 v[41:42], v[21:22], v[23:24]
	s_waitcnt vmcnt(1)
	;; [unrolled: 3-line block ×3, first 2 shown]
	v_mul_f64 v[47:48], v[9:10], v[25:26]
	v_mul_f64 v[49:50], v[9:10], v[23:24]
	v_fma_f64 v[35:36], v[15:16], v[23:24], v[29:30]
	v_fma_f64 v[37:38], v[15:16], v[25:26], -v[31:32]
	v_fma_f64 v[39:40], v[19:20], v[23:24], v[33:34]
	v_fma_f64 v[41:42], v[19:20], v[25:26], -v[41:42]
	;; [unrolled: 2-line block ×4, first 2 shown]
	ds_read_b128 v[27:30], v146
	ds_read_b128 v[23:26], v146 offset:16
	ds_read_b128 v[31:34], v146 offset:32
	;; [unrolled: 1-line block ×3, first 2 shown]
	ds_write_b128 v148, v[35:38]
	ds_write_b128 v148, v[39:42] offset:1072
	ds_write_b128 v148, v[43:46] offset:2144
	;; [unrolled: 1-line block ×3, first 2 shown]
	s_waitcnt lgkmcnt(0)
	s_barrier
	buffer_gl0_inv
	ds_read_b128 v[123:126], v149
	ds_read_b128 v[153:156], v149 offset:16
	ds_read_b128 v[157:160], v149 offset:32
	;; [unrolled: 1-line block ×3, first 2 shown]
	s_waitcnt lgkmcnt(0)
	s_barrier
	buffer_gl0_inv
	s_clause 0x3
	global_load_dwordx4 v[51:54], v[55:56], off
	global_load_dwordx4 v[43:46], v[57:58], off
	;; [unrolled: 1-line block ×4, first 2 shown]
	ds_read_b128 v[55:58], v147
	v_add_f64 v[205:206], v[123:124], 0
	v_add_f64 v[207:208], v[125:126], 0
	s_waitcnt vmcnt(2) lgkmcnt(0)
	v_mul_f64 v[63:64], v[45:46], v[57:58]
	v_mul_f64 v[59:60], v[53:54], v[57:58]
	;; [unrolled: 1-line block ×4, first 2 shown]
	s_waitcnt vmcnt(1)
	v_mul_f64 v[67:68], v[41:42], v[57:58]
	v_mul_f64 v[69:70], v[41:42], v[55:56]
	s_waitcnt vmcnt(0)
	v_mul_f64 v[73:74], v[37:38], v[57:58]
	v_mul_f64 v[75:76], v[37:38], v[55:56]
	v_fma_f64 v[63:64], v[43:44], v[55:56], v[63:64]
	v_fma_f64 v[59:60], v[51:52], v[55:56], v[59:60]
	v_fma_f64 v[61:62], v[51:52], v[57:58], -v[61:62]
	v_fma_f64 v[65:66], v[43:44], v[57:58], -v[65:66]
	v_fma_f64 v[67:68], v[39:40], v[55:56], v[67:68]
	v_fma_f64 v[69:70], v[39:40], v[57:58], -v[69:70]
	v_fma_f64 v[55:56], v[35:36], v[55:56], v[73:74]
	v_fma_f64 v[57:58], v[35:36], v[57:58], -v[75:76]
	ds_read_b128 v[83:86], v146 offset:256
	ds_read_b128 v[79:82], v146 offset:272
	;; [unrolled: 1-line block ×4, first 2 shown]
	ds_write_b128 v148, v[59:62]
	ds_write_b128 v148, v[63:66] offset:1072
	ds_write_b128 v148, v[67:70] offset:2144
	;; [unrolled: 1-line block ×3, first 2 shown]
	s_waitcnt lgkmcnt(0)
	s_barrier
	buffer_gl0_inv
	ds_read_b128 v[161:164], v149
	ds_read_b128 v[165:168], v149 offset:16
	ds_read_b128 v[169:172], v149 offset:32
	;; [unrolled: 1-line block ×3, first 2 shown]
	s_waitcnt lgkmcnt(0)
	s_barrier
	buffer_gl0_inv
	s_clause 0x2
	global_load_dwordx4 v[67:70], v[91:92], off
	global_load_dwordx4 v[63:66], v[93:94], off
	global_load_dwordx4 v[59:62], v[95:96], off
	global_load_dwordx4 v[55:58], v[107:108], off
	ds_read_b128 v[91:94], v147
	v_add_f64 v[161:162], v[161:162], 0
	v_add_f64 v[163:164], v[163:164], 0
	;; [unrolled: 1-line block ×6, first 2 shown]
	s_waitcnt vmcnt(2) lgkmcnt(0)
	v_mul_f64 v[99:100], v[65:66], v[93:94]
	v_mul_f64 v[95:96], v[69:70], v[93:94]
	;; [unrolled: 1-line block ×4, first 2 shown]
	s_waitcnt vmcnt(1)
	v_mul_f64 v[103:104], v[61:62], v[93:94]
	v_mul_f64 v[105:106], v[61:62], v[91:92]
	s_waitcnt vmcnt(0)
	v_mul_f64 v[109:110], v[57:58], v[93:94]
	v_mul_f64 v[111:112], v[57:58], v[91:92]
	v_fma_f64 v[99:100], v[63:64], v[91:92], v[99:100]
	v_fma_f64 v[95:96], v[67:68], v[91:92], v[95:96]
	v_fma_f64 v[97:98], v[67:68], v[93:94], -v[97:98]
	v_fma_f64 v[101:102], v[63:64], v[93:94], -v[101:102]
	v_fma_f64 v[103:104], v[59:60], v[91:92], v[103:104]
	v_fma_f64 v[105:106], v[59:60], v[93:94], -v[105:106]
	v_fma_f64 v[91:92], v[55:56], v[91:92], v[109:110]
	v_fma_f64 v[93:94], v[55:56], v[93:94], -v[111:112]
	ds_read_b128 v[119:122], v146 offset:512
	ds_read_b128 v[115:118], v146 offset:528
	;; [unrolled: 1-line block ×4, first 2 shown]
	ds_write_b128 v148, v[95:98]
	ds_write_b128 v148, v[99:102] offset:1072
	ds_write_b128 v148, v[103:106] offset:2144
	;; [unrolled: 1-line block ×3, first 2 shown]
	s_waitcnt lgkmcnt(0)
	s_barrier
	buffer_gl0_inv
	ds_read_b128 v[177:180], v149
	ds_read_b128 v[181:184], v149 offset:16
	ds_read_b128 v[185:188], v149 offset:32
	;; [unrolled: 1-line block ×3, first 2 shown]
	s_waitcnt lgkmcnt(0)
	s_barrier
	buffer_gl0_inv
	global_load_dwordx4 v[99:102], v[127:128], off
	global_load_dwordx4 v[95:98], v[129:130], off
	global_load_dwordx4 v[91:94], v[131:132], off
	global_load_dwordx4 v[103:106], v[140:141], off
	ds_read_b128 v[127:130], v147
	v_add_f64 v[177:178], v[177:178], 0
	v_add_f64 v[179:180], v[179:180], 0
	;; [unrolled: 1-line block ×6, first 2 shown]
	s_waitcnt vmcnt(3) lgkmcnt(0)
	v_mul_f64 v[131:132], v[101:102], v[129:130]
	s_waitcnt vmcnt(2)
	v_mul_f64 v[135:136], v[97:98], v[129:130]
	v_mul_f64 v[133:134], v[101:102], v[127:128]
	;; [unrolled: 1-line block ×3, first 2 shown]
	s_waitcnt vmcnt(1)
	v_mul_f64 v[197:198], v[93:94], v[129:130]
	v_mul_f64 v[199:200], v[93:94], v[127:128]
	s_waitcnt vmcnt(0)
	v_mul_f64 v[201:202], v[105:106], v[129:130]
	v_fma_f64 v[131:132], v[99:100], v[127:128], v[131:132]
	v_fma_f64 v[193:194], v[95:96], v[127:128], v[135:136]
	v_mul_f64 v[135:136], v[105:106], v[127:128]
	v_fma_f64 v[133:134], v[99:100], v[129:130], -v[133:134]
	v_fma_f64 v[195:196], v[95:96], v[129:130], -v[137:138]
	v_fma_f64 v[197:198], v[91:92], v[127:128], v[197:198]
	v_fma_f64 v[199:200], v[91:92], v[129:130], -v[199:200]
	v_fma_f64 v[201:202], v[103:104], v[127:128], v[201:202]
	v_fma_f64 v[203:204], v[103:104], v[129:130], -v[135:136]
	ds_write_b128 v148, v[131:134]
	ds_read_b128 v[135:138], v146 offset:768
	ds_read_b128 v[131:134], v146 offset:784
	ds_write_b128 v148, v[193:196] offset:1072
	ds_write_b128 v148, v[197:200] offset:2144
	ds_read_b128 v[127:130], v146 offset:800
	ds_read_b128 v[123:126], v146 offset:816
	v_add_f64 v[197:198], v[205:206], v[153:154]
	v_add_f64 v[199:200], v[207:208], v[155:156]
	ds_write_b128 v148, v[201:204] offset:3216
	s_waitcnt lgkmcnt(0)
	s_barrier
	buffer_gl0_inv
	ds_read_b128 v[193:196], v149
	ds_read_b128 v[153:156], v149 offset:16
	v_add_f64 v[181:182], v[197:198], v[157:158]
	v_add_f64 v[183:184], v[199:200], v[159:160]
	ds_read_b128 v[157:160], v149 offset:48
	s_waitcnt lgkmcnt(2)
	v_add_f64 v[193:194], v[193:194], 0
	v_add_f64 v[195:196], v[195:196], 0
	;; [unrolled: 1-line block ×4, first 2 shown]
	s_waitcnt lgkmcnt(1)
	v_add_f64 v[177:178], v[193:194], v[153:154]
	v_add_f64 v[179:180], v[195:196], v[155:156]
	ds_read_b128 v[153:156], v149 offset:32
	s_waitcnt lgkmcnt(0)
	s_barrier
	buffer_gl0_inv
	v_add_f64 v[169:170], v[177:178], v[153:154]
	v_add_f64 v[171:172], v[179:180], v[155:156]
	;; [unrolled: 1-line block ×8, first 2 shown]
	ds_write_b128 v152, v[87:90]
	ds_write_b128 v152, v[153:156] offset:256
	ds_write_b128 v152, v[161:164] offset:512
	;; [unrolled: 1-line block ×3, first 2 shown]
	s_waitcnt lgkmcnt(0)
	s_barrier
	buffer_gl0_inv
	s_and_saveexec_b32 s9, s2
	s_cbranch_execz .LBB26_144
; %bb.148:                              ;   in Loop: Header=BB26_145 Depth=1
	ds_read_b128 v[87:90], v150
	ds_read_b128 v[153:156], v150 offset:16
	s_waitcnt lgkmcnt(0)
	v_add_f64 v[157:158], v[153:154], v[87:88]
	v_add_f64 v[159:160], v[155:156], v[89:90]
	ds_read_b128 v[87:90], v150 offset:32
	ds_read_b128 v[153:156], v150 offset:48
	s_waitcnt lgkmcnt(1)
	v_add_f64 v[87:88], v[157:158], v[87:88]
	v_add_f64 v[89:90], v[159:160], v[89:90]
	s_waitcnt lgkmcnt(0)
	v_add_f64 v[157:158], v[87:88], v[153:154]
	v_add_f64 v[159:160], v[89:90], v[155:156]
	ds_read_b128 v[87:90], v150 offset:64
	ds_read_b128 v[153:156], v150 offset:80
	s_waitcnt lgkmcnt(1)
	v_add_f64 v[87:88], v[157:158], v[87:88]
	v_add_f64 v[89:90], v[159:160], v[89:90]
	;; [unrolled: 8-line block ×6, first 2 shown]
	s_waitcnt lgkmcnt(0)
	v_add_f64 v[157:158], v[87:88], v[153:154]
	v_add_f64 v[159:160], v[89:90], v[155:156]
	ds_read_b128 v[87:90], v150 offset:224
	ds_read_b128 v[153:156], v151
	s_waitcnt lgkmcnt(1)
	v_add_f64 v[87:88], v[157:158], v[87:88]
	v_add_f64 v[89:90], v[159:160], v[89:90]
	s_waitcnt lgkmcnt(0)
	v_add_f64 v[87:88], v[87:88], v[153:154]
	v_add_f64 v[89:90], v[89:90], v[155:156]
	v_lshlrev_b64 v[153:154], 4, v[0:1]
	v_add_co_u32 v153, s3, s7, v153
	v_add_co_ci_u32_e64 v154, null, s14, v154, s3
	global_store_dwordx4 v[153:154], v[87:90], off
	s_branch .LBB26_144
.LBB26_149:
	v_mad_u32_u24 v0, 0x430, v2, v142
	s_nor_b32 s0, s0, vcc_lo
	ds_write_b128 v0, v[3:6]
	s_waitcnt lgkmcnt(0)
	s_barrier
	buffer_gl0_inv
	s_and_saveexec_b32 s1, s0
	s_cbranch_execz .LBB26_151
; %bb.150:
	ds_read_b128 v[0:3], v142 offset:1072
	ds_read_b128 v[4:7], v142
	v_ashrrev_i32_e32 v140, 31, v139
	s_waitcnt lgkmcnt(0)
	v_add_f64 v[8:9], v[0:1], v[4:5]
	v_add_f64 v[10:11], v[2:3], v[6:7]
	ds_read_b128 v[0:3], v142 offset:2144
	ds_read_b128 v[4:7], v142 offset:3216
	s_waitcnt lgkmcnt(1)
	v_add_f64 v[0:1], v[8:9], v[0:1]
	v_add_f64 v[2:3], v[10:11], v[2:3]
	s_waitcnt lgkmcnt(0)
	v_add_f64 v[0:1], v[0:1], v[4:5]
	v_add_f64 v[2:3], v[2:3], v[6:7]
	v_lshlrev_b64 v[4:5], 4, v[139:140]
	v_add_co_u32 v4, vcc_lo, s7, v4
	v_add_co_ci_u32_e64 v5, null, s14, v5, vcc_lo
	global_store_dwordx4 v[4:5], v[0:3], off
.LBB26_151:
	s_endpgm
	.section	.rodata,"a",@progbits
	.p2align	6, 0x0
	.amdhsa_kernel _ZL26rocblas_hemvn_kernel_lowerILb1ELi64ELi4ELi33ELi32ELi16EiPK19rocblas_complex_numIdES3_PS1_EviT6_lT7_lT5_lS6_lS7_lS5_lT8_i
		.amdhsa_group_segment_fixed_size 19200
		.amdhsa_private_segment_fixed_size 0
		.amdhsa_kernarg_size 376
		.amdhsa_user_sgpr_count 6
		.amdhsa_user_sgpr_private_segment_buffer 1
		.amdhsa_user_sgpr_dispatch_ptr 0
		.amdhsa_user_sgpr_queue_ptr 0
		.amdhsa_user_sgpr_kernarg_segment_ptr 1
		.amdhsa_user_sgpr_dispatch_id 0
		.amdhsa_user_sgpr_flat_scratch_init 0
		.amdhsa_user_sgpr_private_segment_size 0
		.amdhsa_wavefront_size32 1
		.amdhsa_uses_dynamic_stack 0
		.amdhsa_system_sgpr_private_segment_wavefront_offset 0
		.amdhsa_system_sgpr_workgroup_id_x 1
		.amdhsa_system_sgpr_workgroup_id_y 0
		.amdhsa_system_sgpr_workgroup_id_z 1
		.amdhsa_system_sgpr_workgroup_info 0
		.amdhsa_system_vgpr_workitem_id 1
		.amdhsa_next_free_vgpr 209
		.amdhsa_next_free_sgpr 30
		.amdhsa_reserve_vcc 1
		.amdhsa_reserve_flat_scratch 0
		.amdhsa_float_round_mode_32 0
		.amdhsa_float_round_mode_16_64 0
		.amdhsa_float_denorm_mode_32 3
		.amdhsa_float_denorm_mode_16_64 3
		.amdhsa_dx10_clamp 1
		.amdhsa_ieee_mode 1
		.amdhsa_fp16_overflow 0
		.amdhsa_workgroup_processor_mode 1
		.amdhsa_memory_ordered 1
		.amdhsa_forward_progress 1
		.amdhsa_shared_vgpr_count 0
		.amdhsa_exception_fp_ieee_invalid_op 0
		.amdhsa_exception_fp_denorm_src 0
		.amdhsa_exception_fp_ieee_div_zero 0
		.amdhsa_exception_fp_ieee_overflow 0
		.amdhsa_exception_fp_ieee_underflow 0
		.amdhsa_exception_fp_ieee_inexact 0
		.amdhsa_exception_int_div_zero 0
	.end_amdhsa_kernel
	.section	.text._ZL26rocblas_hemvn_kernel_lowerILb1ELi64ELi4ELi33ELi32ELi16EiPK19rocblas_complex_numIdES3_PS1_EviT6_lT7_lT5_lS6_lS7_lS5_lT8_i,"axG",@progbits,_ZL26rocblas_hemvn_kernel_lowerILb1ELi64ELi4ELi33ELi32ELi16EiPK19rocblas_complex_numIdES3_PS1_EviT6_lT7_lT5_lS6_lS7_lS5_lT8_i,comdat
.Lfunc_end26:
	.size	_ZL26rocblas_hemvn_kernel_lowerILb1ELi64ELi4ELi33ELi32ELi16EiPK19rocblas_complex_numIdES3_PS1_EviT6_lT7_lT5_lS6_lS7_lS5_lT8_i, .Lfunc_end26-_ZL26rocblas_hemvn_kernel_lowerILb1ELi64ELi4ELi33ELi32ELi16EiPK19rocblas_complex_numIdES3_PS1_EviT6_lT7_lT5_lS6_lS7_lS5_lT8_i
                                        ; -- End function
	.set _ZL26rocblas_hemvn_kernel_lowerILb1ELi64ELi4ELi33ELi32ELi16EiPK19rocblas_complex_numIdES3_PS1_EviT6_lT7_lT5_lS6_lS7_lS5_lT8_i.num_vgpr, 209
	.set _ZL26rocblas_hemvn_kernel_lowerILb1ELi64ELi4ELi33ELi32ELi16EiPK19rocblas_complex_numIdES3_PS1_EviT6_lT7_lT5_lS6_lS7_lS5_lT8_i.num_agpr, 0
	.set _ZL26rocblas_hemvn_kernel_lowerILb1ELi64ELi4ELi33ELi32ELi16EiPK19rocblas_complex_numIdES3_PS1_EviT6_lT7_lT5_lS6_lS7_lS5_lT8_i.numbered_sgpr, 30
	.set _ZL26rocblas_hemvn_kernel_lowerILb1ELi64ELi4ELi33ELi32ELi16EiPK19rocblas_complex_numIdES3_PS1_EviT6_lT7_lT5_lS6_lS7_lS5_lT8_i.num_named_barrier, 0
	.set _ZL26rocblas_hemvn_kernel_lowerILb1ELi64ELi4ELi33ELi32ELi16EiPK19rocblas_complex_numIdES3_PS1_EviT6_lT7_lT5_lS6_lS7_lS5_lT8_i.private_seg_size, 0
	.set _ZL26rocblas_hemvn_kernel_lowerILb1ELi64ELi4ELi33ELi32ELi16EiPK19rocblas_complex_numIdES3_PS1_EviT6_lT7_lT5_lS6_lS7_lS5_lT8_i.uses_vcc, 1
	.set _ZL26rocblas_hemvn_kernel_lowerILb1ELi64ELi4ELi33ELi32ELi16EiPK19rocblas_complex_numIdES3_PS1_EviT6_lT7_lT5_lS6_lS7_lS5_lT8_i.uses_flat_scratch, 0
	.set _ZL26rocblas_hemvn_kernel_lowerILb1ELi64ELi4ELi33ELi32ELi16EiPK19rocblas_complex_numIdES3_PS1_EviT6_lT7_lT5_lS6_lS7_lS5_lT8_i.has_dyn_sized_stack, 0
	.set _ZL26rocblas_hemvn_kernel_lowerILb1ELi64ELi4ELi33ELi32ELi16EiPK19rocblas_complex_numIdES3_PS1_EviT6_lT7_lT5_lS6_lS7_lS5_lT8_i.has_recursion, 0
	.set _ZL26rocblas_hemvn_kernel_lowerILb1ELi64ELi4ELi33ELi32ELi16EiPK19rocblas_complex_numIdES3_PS1_EviT6_lT7_lT5_lS6_lS7_lS5_lT8_i.has_indirect_call, 0
	.section	.AMDGPU.csdata,"",@progbits
; Kernel info:
; codeLenInByte = 10568
; TotalNumSgprs: 32
; NumVgprs: 209
; ScratchSize: 0
; MemoryBound: 0
; FloatMode: 240
; IeeeMode: 1
; LDSByteSize: 19200 bytes/workgroup (compile time only)
; SGPRBlocks: 0
; VGPRBlocks: 26
; NumSGPRsForWavesPerEU: 32
; NumVGPRsForWavesPerEU: 209
; Occupancy: 4
; WaveLimiterHint : 1
; COMPUTE_PGM_RSRC2:SCRATCH_EN: 0
; COMPUTE_PGM_RSRC2:USER_SGPR: 6
; COMPUTE_PGM_RSRC2:TRAP_HANDLER: 0
; COMPUTE_PGM_RSRC2:TGID_X_EN: 1
; COMPUTE_PGM_RSRC2:TGID_Y_EN: 0
; COMPUTE_PGM_RSRC2:TGID_Z_EN: 1
; COMPUTE_PGM_RSRC2:TIDIG_COMP_CNT: 1
	.section	.text._ZL36rocblas_hemvn_kernel_lower_block_sumILi64EiPK19rocblas_complex_numIdEPS1_S1_EviT1_lS5_lT2_lT0_lPT3_i,"axG",@progbits,_ZL36rocblas_hemvn_kernel_lower_block_sumILi64EiPK19rocblas_complex_numIdEPS1_S1_EviT1_lS5_lT2_lT0_lPT3_i,comdat
	.globl	_ZL36rocblas_hemvn_kernel_lower_block_sumILi64EiPK19rocblas_complex_numIdEPS1_S1_EviT1_lS5_lT2_lT0_lPT3_i ; -- Begin function _ZL36rocblas_hemvn_kernel_lower_block_sumILi64EiPK19rocblas_complex_numIdEPS1_S1_EviT1_lS5_lT2_lT0_lPT3_i
	.p2align	8
	.type	_ZL36rocblas_hemvn_kernel_lower_block_sumILi64EiPK19rocblas_complex_numIdEPS1_S1_EviT1_lS5_lT2_lT0_lPT3_i,@function
_ZL36rocblas_hemvn_kernel_lower_block_sumILi64EiPK19rocblas_complex_numIdEPS1_S1_EviT1_lS5_lT2_lT0_lPT3_i: ; @_ZL36rocblas_hemvn_kernel_lower_block_sumILi64EiPK19rocblas_complex_numIdEPS1_S1_EviT1_lS5_lT2_lT0_lPT3_i
; %bb.0:
	s_load_dwordx8 s[12:19], s[4:5], 0x8
	s_waitcnt lgkmcnt(0)
	s_mul_i32 s1, s15, s7
	s_mul_hi_u32 s2, s14, s7
	s_mul_i32 s0, s14, s7
	s_add_i32 s1, s2, s1
	s_lshl_b64 s[0:1], s[0:1], 4
	s_add_u32 s0, s12, s0
	s_addc_u32 s1, s13, s1
	s_load_dwordx4 s[12:15], s[0:1], 0x0
	s_mul_i32 s0, s19, s7
	s_mul_hi_u32 s1, s18, s7
	s_add_i32 s1, s1, s0
	s_mul_i32 s0, s18, s7
	s_lshl_b64 s[0:1], s[0:1], 4
	s_add_u32 s0, s16, s0
	s_addc_u32 s1, s17, s1
	s_load_dwordx4 s[8:11], s[0:1], 0x0
	s_mov_b32 s1, -1
	s_waitcnt lgkmcnt(0)
	v_cmp_neq_f64_e64 s2, s[12:13], 0
	v_cmp_neq_f64_e64 s3, s[14:15], 0
	s_or_b32 s0, s2, s3
	s_and_b32 vcc_lo, exec_lo, s0
	s_cbranch_vccnz .LBB27_2
; %bb.1:
	v_cmp_neq_f64_e64 s1, s[8:9], 1.0
	v_cmp_neq_f64_e64 s2, s[10:11], 0
	s_or_b32 s1, s1, s2
.LBB27_2:
	s_andn2_b32 vcc_lo, exec_lo, s1
	s_cbranch_vccnz .LBB27_22
; %bb.3:
	s_clause 0x3
	s_load_dwordx2 s[16:17], s[4:5], 0x40
	s_load_dwordx4 s[20:23], s[4:5], 0x28
	s_load_dword s19, s[4:5], 0x38
	s_load_dword s2, s[4:5], 0x0
	s_xor_b32 s3, s0, -1
	v_lshl_or_b32 v4, s6, 6, v0
	s_waitcnt lgkmcnt(0)
	s_mul_i32 s1, s17, s7
	s_mul_hi_u32 s17, s16, s7
	s_mul_i32 s0, s16, s7
	s_add_i32 s1, s17, s1
	s_lshl_b64 s[0:1], s[0:1], 4
	s_add_u32 s18, s20, s0
	s_addc_u32 s1, s21, s1
	s_lshl_b64 s[16:17], s[22:23], 4
	v_cmp_gt_i32_e64 s0, s2, v4
	s_add_u32 s16, s18, s16
	s_addc_u32 s17, s1, s17
	s_andn2_b32 vcc_lo, exec_lo, s3
	s_mov_b32 s18, 0
	s_cbranch_vccnz .LBB27_8
; %bb.4:
	s_mov_b32 s1, 0
                                        ; implicit-def: $vgpr2_vgpr3
                                        ; implicit-def: $vgpr5_vgpr6
	s_and_saveexec_b32 s3, s0
	s_cbranch_execz .LBB27_9
; %bb.5:
	v_cmp_neq_f64_e64 s0, s[8:9], 0
	v_cmp_neq_f64_e64 s18, s[10:11], 0
	v_mul_lo_u32 v5, s19, v4
	v_mov_b32_e32 v2, 0
	v_mov_b32_e32 v0, 0
	v_mov_b32_e32 v3, 0
	v_mov_b32_e32 v1, 0
	v_ashrrev_i32_e32 v6, 31, v5
	s_or_b32 s0, s0, s18
	s_andn2_b32 vcc_lo, exec_lo, s0
	s_cbranch_vccnz .LBB27_7
; %bb.6:
	v_lshlrev_b64 v[0:1], 4, v[5:6]
	v_add_co_u32 v0, vcc_lo, s16, v0
	v_add_co_ci_u32_e64 v1, null, s17, v1, vcc_lo
	global_load_dwordx4 v[7:10], v[0:1], off
	s_waitcnt vmcnt(0)
	v_mul_f64 v[0:1], s[10:11], v[9:10]
	v_mul_f64 v[2:3], s[8:9], v[9:10]
	v_fma_f64 v[0:1], s[8:9], v[7:8], -v[0:1]
	v_fma_f64 v[2:3], s[10:11], v[7:8], v[2:3]
.LBB27_7:
	s_mov_b32 s18, exec_lo
	s_or_b32 exec_lo, exec_lo, s3
	s_and_b32 vcc_lo, exec_lo, s1
	s_cbranch_vccnz .LBB27_10
	s_branch .LBB27_20
.LBB27_8:
                                        ; implicit-def: $vgpr2_vgpr3
                                        ; implicit-def: $vgpr5_vgpr6
	s_cbranch_execnz .LBB27_10
	s_branch .LBB27_20
.LBB27_9:
	s_or_b32 exec_lo, exec_lo, s3
	s_and_b32 vcc_lo, exec_lo, s1
	s_cbranch_vccz .LBB27_20
.LBB27_10:
	s_mov_b32 s20, exec_lo
                                        ; implicit-def: $vgpr2_vgpr3
                                        ; implicit-def: $vgpr5_vgpr6
	v_cmpx_gt_i32_e64 s2, v4
	s_cbranch_execz .LBB27_19
; %bb.11:
	s_load_dword s21, s[4:5], 0x58
	v_mov_b32_e32 v0, 0
	v_mov_b32_e32 v2, 0
	;; [unrolled: 1-line block ×4, first 2 shown]
	s_waitcnt lgkmcnt(0)
	s_cmp_ge_i32 s6, s21
	s_cbranch_scc1 .LBB27_14
; %bb.12:
	s_load_dwordx2 s[0:1], s[4:5], 0x48
	v_mad_u64_u32 v[0:1], null, s2, s6, v[4:5]
	s_ashr_i32 s3, s2, 31
	s_mul_hi_u32 s4, s2, s7
	s_mul_i32 s5, s3, s7
	s_mul_i32 s7, s2, s7
	s_add_i32 s4, s4, s5
	s_mul_hi_u32 s5, s7, s21
	v_ashrrev_i32_e32 v1, 31, v0
	s_mul_i32 s22, s4, s21
	s_mul_i32 s4, s7, s21
	s_add_i32 s5, s5, s22
	v_lshlrev_b64 v[2:3], 4, v[0:1]
	s_lshl_b64 s[4:5], s[4:5], 4
	v_mov_b32_e32 v0, 0
	v_mov_b32_e32 v1, 0
	s_waitcnt lgkmcnt(0)
	s_add_u32 s0, s0, s4
	s_addc_u32 s1, s1, s5
	v_add_co_u32 v5, vcc_lo, s0, v2
	v_add_co_ci_u32_e64 v6, null, s1, v3, vcc_lo
	v_mov_b32_e32 v2, 0
	v_add_co_u32 v5, vcc_lo, v5, 8
	v_mov_b32_e32 v3, 0
	v_add_co_ci_u32_e64 v6, null, 0, v6, vcc_lo
	s_lshl_b64 s[0:1], s[2:3], 4
.LBB27_13:                              ; =>This Inner Loop Header: Depth=1
	global_load_dwordx4 v[7:10], v[5:6], off offset:-8
	v_add_co_u32 v5, vcc_lo, v5, s0
	v_add_co_ci_u32_e64 v6, null, s1, v6, vcc_lo
	s_add_i32 s6, s6, 1
	s_cmp_ge_i32 s6, s21
	s_waitcnt vmcnt(0)
	v_add_f64 v[2:3], v[2:3], v[7:8]
	v_add_f64 v[0:1], v[0:1], v[9:10]
	s_cbranch_scc0 .LBB27_13
.LBB27_14:
	v_mul_f64 v[5:6], s[14:15], v[0:1]
	v_mul_f64 v[7:8], s[12:13], v[0:1]
	v_cmp_neq_f64_e64 s0, s[8:9], 0
	v_cmp_neq_f64_e64 s1, s[10:11], 0
	v_fma_f64 v[0:1], s[12:13], v[2:3], -v[5:6]
	v_fma_f64 v[2:3], s[14:15], v[2:3], v[7:8]
	v_mul_lo_u32 v5, s19, v4
	s_or_b32 s0, s0, s1
	s_andn2_b32 vcc_lo, exec_lo, s0
	v_ashrrev_i32_e32 v6, 31, v5
	s_cbranch_vccz .LBB27_16
; %bb.15:
	s_cbranch_execz .LBB27_17
	s_branch .LBB27_18
.LBB27_16:
.LBB27_17:
	v_lshlrev_b64 v[7:8], 4, v[5:6]
	v_add_co_u32 v7, vcc_lo, s16, v7
	v_add_co_ci_u32_e64 v8, null, s17, v8, vcc_lo
	global_load_dwordx4 v[7:10], v[7:8], off
	s_waitcnt vmcnt(0)
	v_mul_f64 v[11:12], s[10:11], v[9:10]
	v_mul_f64 v[9:10], s[8:9], v[9:10]
	v_fma_f64 v[11:12], s[8:9], v[7:8], -v[11:12]
	v_fma_f64 v[7:8], s[10:11], v[7:8], v[9:10]
	v_add_f64 v[0:1], v[0:1], v[11:12]
	v_add_f64 v[2:3], v[2:3], v[7:8]
.LBB27_18:
	s_or_b32 s18, s18, exec_lo
.LBB27_19:
	s_or_b32 exec_lo, exec_lo, s20
.LBB27_20:
	s_and_saveexec_b32 s0, s18
	s_cbranch_execz .LBB27_22
; %bb.21:
	v_lshlrev_b64 v[4:5], 4, v[5:6]
	v_add_co_u32 v4, vcc_lo, s16, v4
	v_add_co_ci_u32_e64 v5, null, s17, v5, vcc_lo
	global_store_dwordx4 v[4:5], v[0:3], off
.LBB27_22:
	s_endpgm
	.section	.rodata,"a",@progbits
	.p2align	6, 0x0
	.amdhsa_kernel _ZL36rocblas_hemvn_kernel_lower_block_sumILi64EiPK19rocblas_complex_numIdEPS1_S1_EviT1_lS5_lT2_lT0_lPT3_i
		.amdhsa_group_segment_fixed_size 0
		.amdhsa_private_segment_fixed_size 0
		.amdhsa_kernarg_size 344
		.amdhsa_user_sgpr_count 6
		.amdhsa_user_sgpr_private_segment_buffer 1
		.amdhsa_user_sgpr_dispatch_ptr 0
		.amdhsa_user_sgpr_queue_ptr 0
		.amdhsa_user_sgpr_kernarg_segment_ptr 1
		.amdhsa_user_sgpr_dispatch_id 0
		.amdhsa_user_sgpr_flat_scratch_init 0
		.amdhsa_user_sgpr_private_segment_size 0
		.amdhsa_wavefront_size32 1
		.amdhsa_uses_dynamic_stack 0
		.amdhsa_system_sgpr_private_segment_wavefront_offset 0
		.amdhsa_system_sgpr_workgroup_id_x 1
		.amdhsa_system_sgpr_workgroup_id_y 0
		.amdhsa_system_sgpr_workgroup_id_z 1
		.amdhsa_system_sgpr_workgroup_info 0
		.amdhsa_system_vgpr_workitem_id 0
		.amdhsa_next_free_vgpr 13
		.amdhsa_next_free_sgpr 24
		.amdhsa_reserve_vcc 1
		.amdhsa_reserve_flat_scratch 0
		.amdhsa_float_round_mode_32 0
		.amdhsa_float_round_mode_16_64 0
		.amdhsa_float_denorm_mode_32 3
		.amdhsa_float_denorm_mode_16_64 3
		.amdhsa_dx10_clamp 1
		.amdhsa_ieee_mode 1
		.amdhsa_fp16_overflow 0
		.amdhsa_workgroup_processor_mode 1
		.amdhsa_memory_ordered 1
		.amdhsa_forward_progress 1
		.amdhsa_shared_vgpr_count 0
		.amdhsa_exception_fp_ieee_invalid_op 0
		.amdhsa_exception_fp_denorm_src 0
		.amdhsa_exception_fp_ieee_div_zero 0
		.amdhsa_exception_fp_ieee_overflow 0
		.amdhsa_exception_fp_ieee_underflow 0
		.amdhsa_exception_fp_ieee_inexact 0
		.amdhsa_exception_int_div_zero 0
	.end_amdhsa_kernel
	.section	.text._ZL36rocblas_hemvn_kernel_lower_block_sumILi64EiPK19rocblas_complex_numIdEPS1_S1_EviT1_lS5_lT2_lT0_lPT3_i,"axG",@progbits,_ZL36rocblas_hemvn_kernel_lower_block_sumILi64EiPK19rocblas_complex_numIdEPS1_S1_EviT1_lS5_lT2_lT0_lPT3_i,comdat
.Lfunc_end27:
	.size	_ZL36rocblas_hemvn_kernel_lower_block_sumILi64EiPK19rocblas_complex_numIdEPS1_S1_EviT1_lS5_lT2_lT0_lPT3_i, .Lfunc_end27-_ZL36rocblas_hemvn_kernel_lower_block_sumILi64EiPK19rocblas_complex_numIdEPS1_S1_EviT1_lS5_lT2_lT0_lPT3_i
                                        ; -- End function
	.set _ZL36rocblas_hemvn_kernel_lower_block_sumILi64EiPK19rocblas_complex_numIdEPS1_S1_EviT1_lS5_lT2_lT0_lPT3_i.num_vgpr, 13
	.set _ZL36rocblas_hemvn_kernel_lower_block_sumILi64EiPK19rocblas_complex_numIdEPS1_S1_EviT1_lS5_lT2_lT0_lPT3_i.num_agpr, 0
	.set _ZL36rocblas_hemvn_kernel_lower_block_sumILi64EiPK19rocblas_complex_numIdEPS1_S1_EviT1_lS5_lT2_lT0_lPT3_i.numbered_sgpr, 24
	.set _ZL36rocblas_hemvn_kernel_lower_block_sumILi64EiPK19rocblas_complex_numIdEPS1_S1_EviT1_lS5_lT2_lT0_lPT3_i.num_named_barrier, 0
	.set _ZL36rocblas_hemvn_kernel_lower_block_sumILi64EiPK19rocblas_complex_numIdEPS1_S1_EviT1_lS5_lT2_lT0_lPT3_i.private_seg_size, 0
	.set _ZL36rocblas_hemvn_kernel_lower_block_sumILi64EiPK19rocblas_complex_numIdEPS1_S1_EviT1_lS5_lT2_lT0_lPT3_i.uses_vcc, 1
	.set _ZL36rocblas_hemvn_kernel_lower_block_sumILi64EiPK19rocblas_complex_numIdEPS1_S1_EviT1_lS5_lT2_lT0_lPT3_i.uses_flat_scratch, 0
	.set _ZL36rocblas_hemvn_kernel_lower_block_sumILi64EiPK19rocblas_complex_numIdEPS1_S1_EviT1_lS5_lT2_lT0_lPT3_i.has_dyn_sized_stack, 0
	.set _ZL36rocblas_hemvn_kernel_lower_block_sumILi64EiPK19rocblas_complex_numIdEPS1_S1_EviT1_lS5_lT2_lT0_lPT3_i.has_recursion, 0
	.set _ZL36rocblas_hemvn_kernel_lower_block_sumILi64EiPK19rocblas_complex_numIdEPS1_S1_EviT1_lS5_lT2_lT0_lPT3_i.has_indirect_call, 0
	.section	.AMDGPU.csdata,"",@progbits
; Kernel info:
; codeLenInByte = 892
; TotalNumSgprs: 26
; NumVgprs: 13
; ScratchSize: 0
; MemoryBound: 0
; FloatMode: 240
; IeeeMode: 1
; LDSByteSize: 0 bytes/workgroup (compile time only)
; SGPRBlocks: 0
; VGPRBlocks: 1
; NumSGPRsForWavesPerEU: 26
; NumVGPRsForWavesPerEU: 13
; Occupancy: 16
; WaveLimiterHint : 0
; COMPUTE_PGM_RSRC2:SCRATCH_EN: 0
; COMPUTE_PGM_RSRC2:USER_SGPR: 6
; COMPUTE_PGM_RSRC2:TRAP_HANDLER: 0
; COMPUTE_PGM_RSRC2:TGID_X_EN: 1
; COMPUTE_PGM_RSRC2:TGID_Y_EN: 0
; COMPUTE_PGM_RSRC2:TGID_Z_EN: 1
; COMPUTE_PGM_RSRC2:TIDIG_COMP_CNT: 0
	.section	.text._ZL26rocblas_hemvn_kernel_lowerILb1ELi64ELi4ELi33ELi32ELi16El19rocblas_complex_numIdEPKS1_PS1_EviT6_lT7_lT5_lS6_lS7_lS5_lT8_i,"axG",@progbits,_ZL26rocblas_hemvn_kernel_lowerILb1ELi64ELi4ELi33ELi32ELi16El19rocblas_complex_numIdEPKS1_PS1_EviT6_lT7_lT5_lS6_lS7_lS5_lT8_i,comdat
	.globl	_ZL26rocblas_hemvn_kernel_lowerILb1ELi64ELi4ELi33ELi32ELi16El19rocblas_complex_numIdEPKS1_PS1_EviT6_lT7_lT5_lS6_lS7_lS5_lT8_i ; -- Begin function _ZL26rocblas_hemvn_kernel_lowerILb1ELi64ELi4ELi33ELi32ELi16El19rocblas_complex_numIdEPKS1_PS1_EviT6_lT7_lT5_lS6_lS7_lS5_lT8_i
	.p2align	8
	.type	_ZL26rocblas_hemvn_kernel_lowerILb1ELi64ELi4ELi33ELi32ELi16El19rocblas_complex_numIdEPKS1_PS1_EviT6_lT7_lT5_lS6_lS7_lS5_lT8_i,@function
_ZL26rocblas_hemvn_kernel_lowerILb1ELi64ELi4ELi33ELi32ELi16El19rocblas_complex_numIdEPKS1_PS1_EviT6_lT7_lT5_lS6_lS7_lS5_lT8_i: ; @_ZL26rocblas_hemvn_kernel_lowerILb1ELi64ELi4ELi33ELi32ELi16El19rocblas_complex_numIdEPKS1_PS1_EviT6_lT7_lT5_lS6_lS7_lS5_lT8_i
; %bb.0:
	s_load_dwordx2 s[2:3], s[4:5], 0x94
	s_add_u32 s0, s4, 0x88
	s_addc_u32 s1, s5, 0
	s_waitcnt lgkmcnt(0)
	s_lshr_b32 s8, s2, 16
	s_and_b32 s2, s2, 0xffff
	s_and_b32 s3, s3, 0xffff
	s_mul_i32 s2, s8, s2
	s_mul_i32 s2, s2, s3
	s_cmpk_lg_i32 s2, 0x100
	s_cbranch_scc1 .LBB28_151
; %bb.1:
	s_load_dwordx4 s[8:11], s[4:5], 0x8
	s_waitcnt lgkmcnt(0)
	v_cmp_neq_f64_e64 s2, s[8:9], 0
	v_cmp_neq_f64_e64 s3, s[10:11], 0
	s_or_b32 s2, s2, s3
	s_mov_b32 s3, -1
	s_and_b32 vcc_lo, exec_lo, s2
	s_cbranch_vccnz .LBB28_3
; %bb.2:
	s_load_dwordx4 s[8:11], s[4:5], 0x60
	s_waitcnt lgkmcnt(0)
	v_cmp_neq_f64_e64 s3, s[8:9], 1.0
	v_cmp_neq_f64_e64 s8, s[10:11], 0
	s_or_b32 s3, s3, s8
.LBB28_3:
	s_andn2_b32 vcc_lo, exec_lo, s3
	s_cbranch_vccnz .LBB28_151
; %bb.4:
	s_andn2_b32 vcc_lo, exec_lo, s2
	s_cbranch_vccnz .LBB28_151
; %bb.5:
	s_clause 0x1
	s_load_dwordx16 s[8:23], s[4:5], 0x20
	s_load_dword s24, s[4:5], 0x0
	s_load_dword s25, s[0:1], 0x0
	s_waitcnt lgkmcnt(0)
	s_mul_i32 s3, s23, s7
	s_mul_hi_u32 s23, s22, s7
	s_mul_i32 s2, s22, s7
	s_add_i32 s3, s23, s3
	s_lshl_b64 s[2:3], s[2:3], 4
	s_add_u32 s16, s16, s2
	s_addc_u32 s17, s17, s3
	s_lshl_b64 s[2:3], s[18:19], 4
	s_add_u32 s2, s16, s2
	s_addc_u32 s3, s17, s3
	s_lshl_b32 s16, s6, 6
	s_ashr_i32 s26, s24, 31
	v_add_nc_u32_e32 v134, s16, v0
	s_lshr_b32 s0, s26, 26
	s_add_i32 s17, s25, -1
	s_add_i32 s1, s24, s0
	v_cmp_ne_u32_e64 s0, 0, v1
	v_ashrrev_i32_e32 v135, 31, v134
	v_mul_lo_u32 v4, s21, v134
	v_mad_u64_u32 v[2:3], null, s20, v134, 0
	s_andn2_b32 s1, s1, 63
	v_mul_lo_u32 v5, s20, v135
	s_sub_i32 s18, s24, s1
	v_cmp_eq_u32_e64 s1, 0, v1
	s_cmp_eq_u32 s6, s17
	s_cselect_b32 s18, s18, 0
	v_add3_u32 v3, v3, v5, v4
	v_lshlrev_b64 v[2:3], 4, v[2:3]
	v_add_co_u32 v38, vcc_lo, s2, v2
	v_add_co_ci_u32_e64 v39, null, s3, v3, vcc_lo
	s_mov_b32 s2, -1
	s_and_saveexec_b32 s3, s1
	s_cbranch_execz .LBB28_10
; %bb.6:
	v_cmp_le_i32_e32 vcc_lo, s18, v0
	s_cmp_lg_u32 s18, 0
	v_lshl_add_u32 v2, v0, 4, 0x4700
	s_cselect_b32 s17, -1, 0
	s_and_b32 s17, s17, vcc_lo
	s_and_saveexec_b32 s19, s17
	s_xor_b32 s17, exec_lo, s19
	s_cbranch_execz .LBB28_8
; %bb.7:
	v_mov_b32_e32 v3, 0
	v_mov_b32_e32 v4, v3
	;; [unrolled: 1-line block ×4, first 2 shown]
	ds_write_b128 v2, v[3:6]
                                        ; implicit-def: $vgpr2
.LBB28_8:
	s_andn2_saveexec_b32 s17, s17
	s_cbranch_execz .LBB28_10
; %bb.9:
	global_load_dwordx4 v[3:6], v[38:39], off
	s_waitcnt vmcnt(0)
	ds_write2_b64 v2, v[3:4], v[5:6] offset1:1
.LBB28_10:
	s_or_b32 exec_lo, exec_lo, s3
	v_lshl_add_u32 v44, v1, 6, v0
	v_and_b32_e32 v10, 31, v0
	v_mov_b32_e32 v11, 0
	s_mul_i32 s3, s15, s7
	s_mul_hi_u32 s15, s14, s7
	v_lshrrev_b32_e32 v13, 5, v44
	s_mul_i32 s14, s14, s7
	s_add_i32 s15, s15, s3
	s_lshl_b64 s[14:15], s[14:15], 4
	v_mad_u64_u32 v[2:3], null, s12, v13, v[10:11]
	s_add_u32 s3, s8, s14
	s_addc_u32 s14, s9, s15
	s_lshl_b64 s[8:9], s[10:11], 4
	s_mul_hi_u32 s10, s12, s16
	s_add_u32 s3, s3, s8
	s_addc_u32 s11, s14, s9
	v_mad_u64_u32 v[3:4], null, s13, v13, v[3:4]
	s_ashr_i32 s17, s16, 31
	s_mul_i32 s14, s13, s16
	s_lshl_b64 s[8:9], s[16:17], 4
	s_mul_i32 s15, s12, s17
	s_add_u32 s3, s3, s8
	s_addc_u32 s11, s11, s9
	v_lshlrev_b64 v[40:41], 4, v[2:3]
	s_add_i32 s9, s10, s15
	s_mul_i32 s8, s12, s16
	s_add_i32 s9, s9, s14
	s_lshl_b64 s[14:15], s[8:9], 4
	v_add_co_u32 v2, vcc_lo, s3, v40
	v_add_co_ci_u32_e64 v3, null, s11, v41, vcc_lo
	s_cmp_lg_u32 s18, 0
	v_add_co_u32 v6, vcc_lo, v2, s14
	v_add_co_ci_u32_e64 v7, null, s15, v3, vcc_lo
	s_cselect_b32 s27, -1, 0
	s_cmp_eq_u32 s18, 0
	s_cselect_b32 s11, -1, 0
	s_and_b32 vcc_lo, exec_lo, s27
	s_cbranch_vccnz .LBB28_12
; %bb.11:
	s_lshl_b64 s[2:3], s[12:13], 7
	v_add_co_u32 v8, vcc_lo, v6, s2
	v_add_co_ci_u32_e64 v9, null, s3, v7, vcc_lo
	v_add_co_u32 v11, vcc_lo, v8, s2
	v_add_co_ci_u32_e64 v12, null, s3, v9, vcc_lo
	;; [unrolled: 2-line block ×3, first 2 shown]
	s_clause 0x3
	global_load_dwordx4 v[2:5], v[6:7], off
	global_load_dwordx4 v[14:17], v[8:9], off
	global_load_dwordx4 v[18:21], v[11:12], off
	global_load_dwordx4 v[22:25], v[22:23], off
	v_mul_u32_u24_e32 v8, 0x210, v13
	s_mov_b32 s2, 0
	v_lshl_add_u32 v8, v10, 4, v8
	v_add_nc_u32_e32 v12, 0x3180, v8
	v_add_nc_u32_e32 v9, 0x1080, v8
	;; [unrolled: 1-line block ×3, first 2 shown]
	s_waitcnt vmcnt(3)
	ds_write2_b64 v8, v[2:3], v[4:5] offset1:1
	s_waitcnt vmcnt(2)
	ds_write2_b64 v9, v[14:15], v[16:17] offset1:1
	;; [unrolled: 2-line block ×4, first 2 shown]
.LBB28_12:
	v_lshlrev_b32_e32 v14, 4, v10
	s_andn2_b32 vcc_lo, exec_lo, s2
	s_cbranch_vccnz .LBB28_30
; %bb.13:
	v_lshlrev_b32_e32 v4, 4, v10
	s_ashr_i32 s19, s18, 31
	v_cmp_le_i32_e64 s2, s18, v13
	s_lshl_b64 s[8:9], s[18:19], 4
	v_mad_u32_u24 v5, 0x210, v13, v14
	v_sub_co_u32 v2, vcc_lo, v6, v4
	v_subrev_co_ci_u32_e64 v3, null, 0, v7, vcc_lo
	v_add_co_u32 v2, vcc_lo, v2, s8
	v_add_co_ci_u32_e64 v3, null, s9, v3, vcc_lo
	v_add_co_u32 v2, vcc_lo, v2, -16
	v_add_co_ci_u32_e64 v3, null, -1, v3, vcc_lo
	v_cmp_gt_i32_e32 vcc_lo, s18, v10
	v_cndmask_b32_e32 v3, v3, v7, vcc_lo
	v_cndmask_b32_e32 v2, v2, v6, vcc_lo
	s_and_saveexec_b32 s3, s2
	s_xor_b32 s2, exec_lo, s3
	s_cbranch_execz .LBB28_15
; %bb.14:
	v_mov_b32_e32 v15, 0
	v_mov_b32_e32 v16, v15
	;; [unrolled: 1-line block ×4, first 2 shown]
	ds_write_b128 v5, v[15:18]
                                        ; implicit-def: $vgpr5
.LBB28_15:
	s_andn2_saveexec_b32 s2, s2
	s_cbranch_execz .LBB28_17
; %bb.16:
	global_load_dwordx4 v[15:18], v[2:3], off
	s_waitcnt vmcnt(0)
	ds_write2_b64 v5, v[15:16], v[17:18] offset1:1
.LBB28_17:
	s_or_b32 exec_lo, exec_lo, s2
	v_add_nc_u32_e32 v8, 8, v13
	v_mul_u32_u24_e32 v5, 0x210, v13
	v_cmp_le_i32_e64 s2, s18, v8
	s_and_saveexec_b32 s3, s2
	s_xor_b32 s2, exec_lo, s3
	s_cbranch_execz .LBB28_19
; %bb.18:
	v_mov_b32_e32 v15, 0
	v_add_nc_u32_e32 v8, v5, v14
	v_mov_b32_e32 v16, v15
	v_mov_b32_e32 v17, v15
	;; [unrolled: 1-line block ×3, first 2 shown]
	ds_write_b128 v8, v[15:18] offset:4224
.LBB28_19:
	s_andn2_saveexec_b32 s3, s2
	s_cbranch_execz .LBB28_21
; %bb.20:
	s_lshl_b64 s[22:23], s[12:13], 7
	v_add_co_u32 v8, s2, v2, s22
	v_add_co_ci_u32_e64 v9, null, s23, v3, s2
	global_load_dwordx4 v[15:18], v[8:9], off
	v_add3_u32 v8, v5, v14, 0x1080
	s_waitcnt vmcnt(0)
	ds_write2_b64 v8, v[15:16], v[17:18] offset1:1
.LBB28_21:
	s_or_b32 exec_lo, exec_lo, s3
	v_add_nc_u32_e32 v8, 16, v13
	v_cmp_le_i32_e64 s2, s18, v8
	s_and_saveexec_b32 s3, s2
	s_xor_b32 s2, exec_lo, s3
	s_cbranch_execz .LBB28_23
; %bb.22:
	v_mov_b32_e32 v15, 0
	v_add_nc_u32_e32 v8, v5, v14
	v_mov_b32_e32 v16, v15
	v_mov_b32_e32 v17, v15
	;; [unrolled: 1-line block ×3, first 2 shown]
	ds_write_b128 v8, v[15:18] offset:8448
.LBB28_23:
	s_andn2_saveexec_b32 s3, s2
	s_cbranch_execz .LBB28_25
; %bb.24:
	s_lshl_b64 s[22:23], s[12:13], 8
	v_add_co_u32 v8, s2, v2, s22
	v_add_co_ci_u32_e64 v9, null, s23, v3, s2
	global_load_dwordx4 v[15:18], v[8:9], off
	v_add3_u32 v8, v5, v14, 0x2100
	s_waitcnt vmcnt(0)
	ds_write2_b64 v8, v[15:16], v[17:18] offset1:1
.LBB28_25:
	s_or_b32 exec_lo, exec_lo, s3
	v_add_nc_u32_e32 v8, 24, v13
	v_cmp_le_i32_e64 s2, s18, v8
	s_and_saveexec_b32 s3, s2
	s_xor_b32 s2, exec_lo, s3
	s_cbranch_execz .LBB28_27
; %bb.26:
	v_mov_b32_e32 v15, 0
	v_add_nc_u32_e32 v5, v5, v14
	v_mov_b32_e32 v16, v15
	v_mov_b32_e32 v17, v15
	v_mov_b32_e32 v18, v15
	ds_write_b128 v5, v[15:18] offset:12672
                                        ; implicit-def: $vgpr5
.LBB28_27:
	s_andn2_saveexec_b32 s2, s2
	s_cbranch_execz .LBB28_29
; %bb.28:
	v_mad_u64_u32 v[8:9], null, 0x180, s12, v[2:3]
	v_add3_u32 v5, v5, v14, 0x3180
	v_mad_u64_u32 v[11:12], null, 0x180, s13, v[9:10]
	v_mov_b32_e32 v9, v11
	global_load_dwordx4 v[15:18], v[8:9], off
	s_waitcnt vmcnt(0)
	ds_write2_b64 v5, v[15:16], v[17:18] offset1:1
.LBB28_29:
	s_or_b32 exec_lo, exec_lo, s2
	v_add_co_u32 v2, s2, v2, v4
	v_add_co_ci_u32_e64 v3, null, 0, v3, s2
	v_sub_co_u32 v2, s2, v2, s8
	v_subrev_co_ci_u32_e64 v3, null, s9, v3, s2
	v_add_co_u32 v2, s2, v2, 16
	v_add_co_ci_u32_e64 v3, null, 0, v3, s2
	v_cndmask_b32_e32 v6, v2, v6, vcc_lo
	v_cndmask_b32_e32 v7, v3, v7, vcc_lo
.LBB28_30:
	v_lshlrev_b32_e32 v15, 2, v13
	v_mul_u32_u24_e32 v17, 0x210, v10
	s_mov_b32 s2, 0
	s_waitcnt lgkmcnt(0)
	s_barrier
	v_cmp_ge_u32_e64 s3, v15, v10
	buffer_gl0_inv
                                        ; implicit-def: $vgpr11
	s_and_saveexec_b32 s8, s3
	s_xor_b32 s8, exec_lo, s8
	s_cbranch_execz .LBB28_34
; %bb.31:
	s_mov_b32 s9, exec_lo
                                        ; implicit-def: $vgpr11
	v_cmpx_eq_u32_e64 v15, v10
	s_xor_b32 s9, exec_lo, s9
; %bb.32:
	v_add_nc_u32_e32 v11, v14, v17
	s_mov_b32 s2, exec_lo
; %bb.33:
	s_or_b32 exec_lo, exec_lo, s9
	s_and_b32 s2, s2, exec_lo
.LBB28_34:
	s_or_saveexec_b32 s8, s8
	v_mov_b32_e32 v4, 0
	v_lshl_or_b32 v8, v10, 9, v14
	v_mov_b32_e32 v5, 0
	v_mad_u32_u24 v9, 0x840, v13, v14
	s_xor_b32 exec_lo, exec_lo, s8
	s_cbranch_execz .LBB28_36
; %bb.35:
	ds_read_b128 v[2:5], v9
	v_lshl_add_u32 v11, v15, 4, v8
	s_or_b32 s2, s2, exec_lo
	s_waitcnt lgkmcnt(0)
	v_xor_b32_e32 v5, 0x80000000, v5
	ds_write_b64 v11, v[2:3]
.LBB28_36:
	s_or_b32 exec_lo, exec_lo, s8
	s_and_saveexec_b32 s8, s2
; %bb.37:
	ds_write_b64 v11, v[4:5] offset:8
; %bb.38:
	s_or_b32 exec_lo, exec_lo, s8
	v_or_b32_e32 v19, 1, v15
	s_mov_b32 s2, 0
                                        ; implicit-def: $vgpr12
	v_cmp_ge_u32_e64 s8, v19, v10
	s_and_saveexec_b32 s9, s8
	s_xor_b32 s9, exec_lo, s9
	s_cbranch_execz .LBB28_42
; %bb.39:
	s_mov_b32 s10, exec_lo
                                        ; implicit-def: $vgpr12
	v_cmpx_eq_u32_e64 v19, v10
; %bb.40:
	v_add_nc_u32_e32 v12, v14, v17
	s_mov_b32 s2, exec_lo
; %bb.41:
	s_or_b32 exec_lo, exec_lo, s10
	s_and_b32 s2, s2, exec_lo
.LBB28_42:
	s_or_saveexec_b32 s9, s9
	v_mov_b32_e32 v4, 0
	v_mov_b32_e32 v5, 0
	v_mad_u32_u24 v11, 0x210, v19, v14
	s_xor_b32 exec_lo, exec_lo, s9
	s_cbranch_execz .LBB28_44
; %bb.43:
	ds_read_b128 v[2:5], v11
	v_lshl_add_u32 v16, v15, 4, v8
	s_or_b32 s2, s2, exec_lo
	v_add_nc_u32_e32 v12, 16, v16
	s_waitcnt lgkmcnt(0)
	v_xor_b32_e32 v5, 0x80000000, v5
	ds_write_b64 v16, v[2:3] offset:16
.LBB28_44:
	s_or_b32 exec_lo, exec_lo, s9
	s_and_saveexec_b32 s9, s2
; %bb.45:
	ds_write_b64 v12, v[4:5] offset:8
; %bb.46:
	s_or_b32 exec_lo, exec_lo, s9
	v_or_b32_e32 v20, 2, v15
	s_mov_b32 s2, 0
                                        ; implicit-def: $vgpr12
	v_cmp_ge_u32_e64 s9, v20, v10
	s_and_saveexec_b32 s10, s9
	s_xor_b32 s10, exec_lo, s10
	s_cbranch_execz .LBB28_50
; %bb.47:
	s_mov_b32 s19, exec_lo
                                        ; implicit-def: $vgpr12
	v_cmpx_eq_u32_e64 v20, v10
; %bb.48:
	v_add_nc_u32_e32 v12, v14, v17
	s_mov_b32 s2, exec_lo
; %bb.49:
	s_or_b32 exec_lo, exec_lo, s19
	s_and_b32 s2, s2, exec_lo
.LBB28_50:
	s_or_saveexec_b32 s10, s10
	v_mov_b32_e32 v4, 0
	v_mov_b32_e32 v5, 0
	s_xor_b32 exec_lo, exec_lo, s10
	s_cbranch_execz .LBB28_52
; %bb.51:
	v_mad_u32_u24 v2, 0x210, v20, v14
	v_lshl_add_u32 v16, v15, 4, v8
	s_or_b32 s2, s2, exec_lo
	ds_read_b128 v[2:5], v2
	v_add_nc_u32_e32 v12, 32, v16
	s_waitcnt lgkmcnt(0)
	v_xor_b32_e32 v5, 0x80000000, v5
	ds_write_b64 v16, v[2:3] offset:32
.LBB28_52:
	s_or_b32 exec_lo, exec_lo, s10
	s_and_saveexec_b32 s10, s2
; %bb.53:
	ds_write_b64 v12, v[4:5] offset:8
; %bb.54:
	s_or_b32 exec_lo, exec_lo, s10
	v_or_b32_e32 v21, 3, v15
	s_mov_b32 s2, 0
                                        ; implicit-def: $vgpr12
	v_cmp_ge_u32_e64 s10, v21, v10
	s_and_saveexec_b32 s19, s10
	s_xor_b32 s19, exec_lo, s19
	s_cbranch_execz .LBB28_58
; %bb.55:
	s_mov_b32 s22, exec_lo
                                        ; implicit-def: $vgpr12
	v_cmpx_eq_u32_e64 v21, v10
; %bb.56:
	v_add_nc_u32_e32 v12, v14, v17
	s_mov_b32 s2, exec_lo
; %bb.57:
	s_or_b32 exec_lo, exec_lo, s22
	s_and_b32 s2, s2, exec_lo
                                        ; implicit-def: $vgpr8
.LBB28_58:
	s_or_saveexec_b32 s19, s19
	v_mov_b32_e32 v4, 0
	v_mov_b32_e32 v5, 0
	s_xor_b32 exec_lo, exec_lo, s19
	s_cbranch_execz .LBB28_60
; %bb.59:
	v_mad_u32_u24 v2, 0x210, v21, v14
	v_lshl_add_u32 v8, v15, 4, v8
	s_or_b32 s2, s2, exec_lo
	ds_read_b128 v[2:5], v2
	v_add_nc_u32_e32 v12, 48, v8
	s_waitcnt lgkmcnt(0)
	v_xor_b32_e32 v5, 0x80000000, v5
	ds_write_b64 v8, v[2:3] offset:48
.LBB28_60:
	s_or_b32 exec_lo, exec_lo, s19
	s_and_saveexec_b32 s19, s2
; %bb.61:
	ds_write_b64 v12, v[4:5] offset:8
; %bb.62:
	s_or_b32 exec_lo, exec_lo, s19
	v_lshlrev_b32_e32 v8, 4, v15
	s_waitcnt lgkmcnt(0)
	s_barrier
	buffer_gl0_inv
	ds_read_b128 v[2:5], v9
	ds_read_b128 v[22:25], v8 offset:18176
	ds_read_b128 v[26:29], v11
	ds_read_b128 v[30:33], v11 offset:1056
	ds_read_b128 v[34:37], v8 offset:18192
	;; [unrolled: 1-line block ×4, first 2 shown]
	v_cmp_gt_u32_e64 s2, 32, v44
	s_waitcnt lgkmcnt(5)
	v_mul_f64 v[42:43], v[24:25], v[4:5]
	v_mul_f64 v[4:5], v[22:23], v[4:5]
	s_waitcnt lgkmcnt(2)
	v_mul_f64 v[11:12], v[36:37], v[28:29]
	v_mul_f64 v[28:29], v[34:35], v[28:29]
	v_fma_f64 v[22:23], v[22:23], v[2:3], -v[42:43]
	v_fma_f64 v[24:25], v[24:25], v[2:3], v[4:5]
	s_waitcnt lgkmcnt(0)
	v_mul_f64 v[42:43], v[51:52], v[47:48]
	v_mul_f64 v[47:48], v[49:50], v[47:48]
	v_fma_f64 v[11:12], v[34:35], v[26:27], -v[11:12]
	v_fma_f64 v[26:27], v[36:37], v[26:27], v[28:29]
	ds_read_b128 v[2:5], v8 offset:18224
	s_waitcnt lgkmcnt(0)
	s_barrier
	buffer_gl0_inv
	v_add_f64 v[22:23], v[22:23], 0
	v_add_f64 v[24:25], v[24:25], 0
	v_fma_f64 v[34:35], v[49:50], v[45:46], -v[42:43]
	v_fma_f64 v[36:37], v[51:52], v[45:46], v[47:48]
	v_mul_f64 v[28:29], v[4:5], v[32:33]
	v_mul_f64 v[32:33], v[2:3], v[32:33]
	v_add_f64 v[11:12], v[22:23], v[11:12]
	v_add_f64 v[22:23], v[24:25], v[26:27]
	v_fma_f64 v[2:3], v[2:3], v[30:31], -v[28:29]
	v_fma_f64 v[4:5], v[4:5], v[30:31], v[32:33]
	v_add_f64 v[11:12], v[11:12], v[34:35]
	v_add_f64 v[24:25], v[22:23], v[36:37]
	;; [unrolled: 1-line block ×4, first 2 shown]
	v_mul_u32_u24_e32 v2, 33, v10
	v_mov_b32_e32 v4, 0
	v_mov_b32_e32 v5, 0
	v_lshlrev_b32_e32 v45, 4, v2
	v_mov_b32_e32 v2, 0
	v_mov_b32_e32 v3, 0
	v_lshl_add_u32 v46, v13, 4, v45
	ds_write_b128 v46, v[22:25]
	s_waitcnt lgkmcnt(0)
	s_barrier
	buffer_gl0_inv
	s_and_saveexec_b32 s19, s2
	s_cbranch_execz .LBB28_64
; %bb.63:
	ds_read_b128 v[2:5], v45
	ds_read_b128 v[22:25], v45 offset:16
	s_waitcnt lgkmcnt(0)
	v_add_f64 v[11:12], v[22:23], v[2:3]
	v_add_f64 v[26:27], v[24:25], v[4:5]
	ds_read_b128 v[2:5], v45 offset:32
	ds_read_b128 v[22:25], v45 offset:48
	s_waitcnt lgkmcnt(1)
	v_add_f64 v[2:3], v[11:12], v[2:3]
	v_add_f64 v[4:5], v[26:27], v[4:5]
	s_waitcnt lgkmcnt(0)
	v_add_f64 v[11:12], v[2:3], v[22:23]
	v_add_f64 v[26:27], v[4:5], v[24:25]
	ds_read_b128 v[2:5], v45 offset:64
	ds_read_b128 v[22:25], v45 offset:80
	s_waitcnt lgkmcnt(1)
	v_add_f64 v[2:3], v[11:12], v[2:3]
	v_add_f64 v[4:5], v[26:27], v[4:5]
	;; [unrolled: 8-line block ×3, first 2 shown]
	s_waitcnt lgkmcnt(0)
	v_add_f64 v[2:3], v[2:3], v[22:23]
	v_add_f64 v[4:5], v[4:5], v[24:25]
.LBB28_64:
	s_or_b32 exec_lo, exec_lo, s19
	s_lshl_b64 s[22:23], s[12:13], 9
	v_cndmask_b32_e64 v22, 0, 1, s11
	v_add_co_u32 v6, vcc_lo, v6, s22
	v_add_co_ci_u32_e64 v7, null, s23, v7, vcc_lo
	v_mad_u32_u24 v16, 0x210, v13, v14
	v_add_co_u32 v11, vcc_lo, 0x200, v6
	v_add_co_ci_u32_e64 v12, null, 0, v7, vcc_lo
	s_andn2_b32 vcc_lo, exec_lo, s11
	s_mov_b32 s11, -1
	s_barrier
	buffer_gl0_inv
	s_cbranch_vccnz .LBB28_66
; %bb.65:
	s_lshl_b64 s[22:23], s[12:13], 7
	v_add_nc_u32_e32 v9, 0x1080, v16
	v_add_co_u32 v27, vcc_lo, v6, s22
	v_add_co_ci_u32_e64 v28, null, s23, v7, vcc_lo
	v_add_nc_u32_e32 v18, 0x2100, v16
	v_add_co_u32 v31, vcc_lo, v27, s22
	v_add_co_ci_u32_e64 v32, null, s23, v28, vcc_lo
	s_mov_b32 s11, 0
	v_add_co_u32 v35, vcc_lo, v31, s22
	v_add_co_ci_u32_e64 v36, null, s23, v32, vcc_lo
	s_clause 0x3
	global_load_dwordx4 v[23:26], v[11:12], off
	global_load_dwordx4 v[27:30], v[27:28], off offset:512
	global_load_dwordx4 v[31:34], v[31:32], off offset:512
	;; [unrolled: 1-line block ×3, first 2 shown]
	v_add_nc_u32_e32 v35, 0x3180, v16
	s_waitcnt vmcnt(3)
	ds_write2_b64 v16, v[23:24], v[25:26] offset1:1
	s_waitcnt vmcnt(2)
	ds_write2_b64 v9, v[27:28], v[29:30] offset1:1
	s_waitcnt vmcnt(1)
	ds_write2_b64 v18, v[31:32], v[33:34] offset1:1
	s_waitcnt vmcnt(0)
	ds_write2_b64 v35, v[47:48], v[49:50] offset1:1
.LBB28_66:
	s_andn2_b32 vcc_lo, exec_lo, s11
	s_cbranch_vccnz .LBB28_84
; %bb.67:
	v_lshlrev_b32_e32 v9, 4, v10
	s_ashr_i32 s19, s18, 31
	v_or_b32_e32 v18, 32, v10
	s_lshl_b64 s[22:23], s[18:19], 4
	s_sub_i32 s19, s18, 32
	v_sub_co_u32 v6, vcc_lo, v6, v9
	v_subrev_co_ci_u32_e64 v7, null, 0, v7, vcc_lo
	v_cmp_le_i32_e64 s11, s19, v13
	v_add_co_u32 v6, vcc_lo, v6, s22
	v_add_co_ci_u32_e64 v7, null, s23, v7, vcc_lo
	v_add_co_u32 v6, vcc_lo, v6, -16
	v_add_co_ci_u32_e64 v7, null, -1, v7, vcc_lo
	v_cmp_gt_i32_e32 vcc_lo, s18, v18
	v_cndmask_b32_e32 v7, v7, v12, vcc_lo
	v_cndmask_b32_e32 v6, v6, v11, vcc_lo
	s_and_saveexec_b32 s28, s11
	s_xor_b32 s11, exec_lo, s28
	s_cbranch_execz .LBB28_69
; %bb.68:
	v_mov_b32_e32 v23, 0
	v_mov_b32_e32 v24, v23
	;; [unrolled: 1-line block ×4, first 2 shown]
	ds_write_b128 v16, v[23:26]
.LBB28_69:
	s_andn2_saveexec_b32 s11, s11
	s_cbranch_execz .LBB28_71
; %bb.70:
	global_load_dwordx4 v[23:26], v[6:7], off
	s_waitcnt vmcnt(0)
	ds_write2_b64 v16, v[23:24], v[25:26] offset1:1
.LBB28_71:
	s_or_b32 exec_lo, exec_lo, s11
	v_add_nc_u32_e32 v23, 8, v13
	v_mul_u32_u24_e32 v18, 0x210, v13
	v_cmp_le_i32_e64 s11, s19, v23
	s_and_saveexec_b32 s28, s11
	s_xor_b32 s11, exec_lo, s28
	s_cbranch_execz .LBB28_73
; %bb.72:
	v_mov_b32_e32 v23, 0
	v_add_nc_u32_e32 v27, v18, v14
	v_mov_b32_e32 v24, v23
	v_mov_b32_e32 v25, v23
	v_mov_b32_e32 v26, v23
	ds_write_b128 v27, v[23:26] offset:4224
.LBB28_73:
	s_andn2_saveexec_b32 s28, s11
	s_cbranch_execz .LBB28_75
; %bb.74:
	s_lshl_b64 s[30:31], s[12:13], 7
	v_add3_u32 v27, v18, v14, 0x1080
	v_add_co_u32 v23, s11, v6, s30
	v_add_co_ci_u32_e64 v24, null, s31, v7, s11
	global_load_dwordx4 v[23:26], v[23:24], off
	s_waitcnt vmcnt(0)
	ds_write2_b64 v27, v[23:24], v[25:26] offset1:1
.LBB28_75:
	s_or_b32 exec_lo, exec_lo, s28
	v_add_nc_u32_e32 v23, 16, v13
	v_cmp_le_i32_e64 s11, s19, v23
	s_and_saveexec_b32 s28, s11
	s_xor_b32 s11, exec_lo, s28
	s_cbranch_execz .LBB28_77
; %bb.76:
	v_mov_b32_e32 v23, 0
	v_add_nc_u32_e32 v27, v18, v14
	v_mov_b32_e32 v24, v23
	v_mov_b32_e32 v25, v23
	;; [unrolled: 1-line block ×3, first 2 shown]
	ds_write_b128 v27, v[23:26] offset:8448
.LBB28_77:
	s_andn2_saveexec_b32 s28, s11
	s_cbranch_execz .LBB28_79
; %bb.78:
	s_lshl_b64 s[30:31], s[12:13], 8
	v_add3_u32 v27, v18, v14, 0x2100
	v_add_co_u32 v23, s11, v6, s30
	v_add_co_ci_u32_e64 v24, null, s31, v7, s11
	global_load_dwordx4 v[23:26], v[23:24], off
	s_waitcnt vmcnt(0)
	ds_write2_b64 v27, v[23:24], v[25:26] offset1:1
.LBB28_79:
	s_or_b32 exec_lo, exec_lo, s28
	v_add_nc_u32_e32 v23, 24, v13
	v_cmp_le_i32_e64 s11, s19, v23
	s_and_saveexec_b32 s19, s11
	s_xor_b32 s11, exec_lo, s19
	s_cbranch_execz .LBB28_81
; %bb.80:
	v_mov_b32_e32 v23, 0
	v_add_nc_u32_e32 v18, v18, v14
	v_mov_b32_e32 v24, v23
	v_mov_b32_e32 v25, v23
	;; [unrolled: 1-line block ×3, first 2 shown]
	ds_write_b128 v18, v[23:26] offset:12672
                                        ; implicit-def: $vgpr18
.LBB28_81:
	s_andn2_saveexec_b32 s11, s11
	s_cbranch_execz .LBB28_83
; %bb.82:
	v_mad_u64_u32 v[23:24], null, 0x180, s12, v[6:7]
	v_add3_u32 v18, v18, v14, 0x3180
	v_mad_u64_u32 v[24:25], null, 0x180, s13, v[24:25]
	global_load_dwordx4 v[23:26], v[23:24], off
	s_waitcnt vmcnt(0)
	ds_write2_b64 v18, v[23:24], v[25:26] offset1:1
.LBB28_83:
	s_or_b32 exec_lo, exec_lo, s11
	v_add_co_u32 v6, s11, v6, v9
	v_add_co_ci_u32_e64 v7, null, 0, v7, s11
	v_sub_co_u32 v6, s11, v6, s22
	v_subrev_co_ci_u32_e64 v7, null, s23, v7, s11
	v_add_co_u32 v6, s11, 0x210, v6
	v_add_co_ci_u32_e64 v7, null, 0, v7, s11
	v_cndmask_b32_e32 v11, v6, v11, vcc_lo
	v_cndmask_b32_e32 v12, v7, v12, vcc_lo
.LBB28_84:
	v_mul_u32_u24_e32 v6, 0x840, v13
	v_add_nc_u32_e32 v18, 0x4700, v8
	v_mul_u32_u24_e32 v24, 0x210, v19
	s_lshl_b64 s[22:23], s[12:13], 5
	s_mov_b32 s11, 0
	s_waitcnt lgkmcnt(0)
	s_barrier
	buffer_gl0_inv
                                        ; implicit-def: $vgpr25
	s_and_saveexec_b32 s19, s3
	s_xor_b32 s3, exec_lo, s19
	s_cbranch_execz .LBB28_88
; %bb.85:
	s_mov_b32 s19, exec_lo
                                        ; implicit-def: $vgpr25
	v_cmpx_eq_u32_e64 v15, v10
	s_xor_b32 s19, exec_lo, s19
; %bb.86:
	s_mov_b32 s11, exec_lo
	v_add_nc_u32_e32 v25, v14, v17
; %bb.87:
	s_or_b32 exec_lo, exec_lo, s19
	s_and_b32 s11, s11, exec_lo
.LBB28_88:
	s_or_saveexec_b32 s3, s3
	v_mov_b32_e32 v8, 0
	v_mov_b32_e32 v9, 0
	v_add_nc_u32_e32 v23, v14, v6
	s_xor_b32 exec_lo, exec_lo, s3
	s_cbranch_execz .LBB28_90
; %bb.89:
	ds_read_b128 v[6:9], v23
	v_lshl_add_u32 v25, v15, 4, v45
	s_or_b32 s11, s11, exec_lo
	s_waitcnt lgkmcnt(0)
	v_xor_b32_e32 v9, 0x80000000, v9
	ds_write_b64 v25, v[6:7]
.LBB28_90:
	s_or_b32 exec_lo, exec_lo, s3
	s_and_saveexec_b32 s3, s11
; %bb.91:
	ds_write_b64 v25, v[8:9] offset:8
; %bb.92:
	s_or_b32 exec_lo, exec_lo, s3
	s_mov_b32 s3, 0
                                        ; implicit-def: $vgpr25
	s_and_saveexec_b32 s11, s8
	s_xor_b32 s8, exec_lo, s11
	s_cbranch_execz .LBB28_96
; %bb.93:
	s_mov_b32 s11, exec_lo
                                        ; implicit-def: $vgpr25
	v_cmpx_eq_u32_e64 v19, v10
; %bb.94:
	v_add_nc_u32_e32 v25, v14, v17
	s_mov_b32 s3, exec_lo
; %bb.95:
	s_or_b32 exec_lo, exec_lo, s11
	s_and_b32 s3, s3, exec_lo
.LBB28_96:
	s_or_saveexec_b32 s8, s8
	v_mov_b32_e32 v8, 0
	v_mov_b32_e32 v9, 0
	v_add_nc_u32_e32 v19, v14, v24
	s_xor_b32 exec_lo, exec_lo, s8
	s_cbranch_execz .LBB28_98
; %bb.97:
	ds_read_b128 v[6:9], v19
	v_lshl_add_u32 v24, v15, 4, v45
	s_or_b32 s3, s3, exec_lo
	v_add_nc_u32_e32 v25, 16, v24
	s_waitcnt lgkmcnt(0)
	v_xor_b32_e32 v9, 0x80000000, v9
	ds_write_b64 v24, v[6:7] offset:16
.LBB28_98:
	s_or_b32 exec_lo, exec_lo, s8
	s_and_saveexec_b32 s8, s3
; %bb.99:
	ds_write_b64 v25, v[8:9] offset:8
; %bb.100:
	s_or_b32 exec_lo, exec_lo, s8
	s_mov_b32 s3, 0
                                        ; implicit-def: $vgpr24
	s_and_saveexec_b32 s8, s9
	s_xor_b32 s8, exec_lo, s8
	s_cbranch_execz .LBB28_104
; %bb.101:
	s_mov_b32 s9, exec_lo
                                        ; implicit-def: $vgpr24
	v_cmpx_eq_u32_e64 v20, v10
; %bb.102:
	v_add_nc_u32_e32 v24, v14, v17
	s_mov_b32 s3, exec_lo
; %bb.103:
	s_or_b32 exec_lo, exec_lo, s9
	s_and_b32 s3, s3, exec_lo
.LBB28_104:
	s_or_saveexec_b32 s8, s8
	v_mov_b32_e32 v8, 0
	v_mov_b32_e32 v9, 0
	s_xor_b32 exec_lo, exec_lo, s8
	s_cbranch_execz .LBB28_106
; %bb.105:
	ds_read_b128 v[6:9], v19 offset:528
	v_lshl_add_u32 v20, v15, 4, v45
	s_or_b32 s3, s3, exec_lo
	v_add_nc_u32_e32 v24, 32, v20
	s_waitcnt lgkmcnt(0)
	v_xor_b32_e32 v9, 0x80000000, v9
	ds_write_b64 v20, v[6:7] offset:32
.LBB28_106:
	s_or_b32 exec_lo, exec_lo, s8
	s_and_saveexec_b32 s8, s3
; %bb.107:
	ds_write_b64 v24, v[8:9] offset:8
; %bb.108:
	s_or_b32 exec_lo, exec_lo, s8
	s_mov_b32 s3, 0
                                        ; implicit-def: $vgpr20
	s_and_saveexec_b32 s8, s10
	s_xor_b32 s8, exec_lo, s8
	s_cbranch_execz .LBB28_112
; %bb.109:
	s_mov_b32 s9, exec_lo
                                        ; implicit-def: $vgpr20
	v_cmpx_eq_u32_e64 v21, v10
; %bb.110:
	v_add_nc_u32_e32 v20, v14, v17
	s_mov_b32 s3, exec_lo
; %bb.111:
	s_or_b32 exec_lo, exec_lo, s9
	s_and_b32 s3, s3, exec_lo
.LBB28_112:
	s_or_saveexec_b32 s8, s8
	v_mov_b32_e32 v8, 0
	v_mov_b32_e32 v9, 0
	s_xor_b32 exec_lo, exec_lo, s8
	s_cbranch_execz .LBB28_114
; %bb.113:
	ds_read_b128 v[6:9], v19 offset:1056
	v_lshl_add_u32 v17, v15, 4, v45
	s_or_b32 s3, s3, exec_lo
	v_add_nc_u32_e32 v20, 48, v17
	s_waitcnt lgkmcnt(0)
	v_xor_b32_e32 v9, 0x80000000, v9
	ds_write_b64 v17, v[6:7] offset:48
.LBB28_114:
	s_or_b32 exec_lo, exec_lo, s8
	s_and_saveexec_b32 s8, s3
; %bb.115:
	ds_write_b64 v20, v[8:9] offset:8
; %bb.116:
	s_or_b32 exec_lo, exec_lo, s8
	s_waitcnt lgkmcnt(0)
	s_barrier
	buffer_gl0_inv
	ds_read_b128 v[6:9], v23
	ds_read_b128 v[23:26], v18 offset:512
	ds_read_b128 v[27:30], v18 offset:528
	ds_read_b128 v[31:34], v19
	ds_read_b128 v[47:50], v19 offset:1056
	ds_read_b128 v[51:54], v18 offset:544
	;; [unrolled: 1-line block ×3, first 2 shown]
	v_cmp_eq_u32_e64 s3, 1, v13
	s_waitcnt lgkmcnt(5)
	v_mul_f64 v[20:21], v[25:26], v[8:9]
	v_mul_f64 v[8:9], v[23:24], v[8:9]
	s_waitcnt lgkmcnt(3)
	v_mul_f64 v[35:36], v[29:30], v[33:34]
	v_mul_f64 v[33:34], v[27:28], v[33:34]
	s_waitcnt lgkmcnt(0)
	v_mul_f64 v[42:43], v[51:52], v[57:58]
	v_fma_f64 v[19:20], v[23:24], v[6:7], -v[20:21]
	v_fma_f64 v[23:24], v[25:26], v[6:7], v[8:9]
	v_mul_f64 v[25:26], v[53:54], v[57:58]
	v_fma_f64 v[27:28], v[27:28], v[31:32], -v[35:36]
	v_fma_f64 v[29:30], v[29:30], v[31:32], v[33:34]
	ds_read_b128 v[6:9], v18 offset:560
	v_fma_f64 v[35:36], v[53:54], v[55:56], v[42:43]
	s_waitcnt lgkmcnt(0)
	s_barrier
	buffer_gl0_inv
	v_add_f64 v[19:20], v[19:20], 0
	v_add_f64 v[23:24], v[23:24], 0
	v_fma_f64 v[25:26], v[51:52], v[55:56], -v[25:26]
	v_mul_f64 v[31:32], v[8:9], v[49:50]
	v_mul_f64 v[33:34], v[6:7], v[49:50]
	v_add_f64 v[19:20], v[19:20], v[27:28]
	v_add_f64 v[23:24], v[23:24], v[29:30]
	v_fma_f64 v[6:7], v[6:7], v[47:48], -v[31:32]
	v_fma_f64 v[8:9], v[8:9], v[47:48], v[33:34]
	v_add_f64 v[19:20], v[19:20], v[25:26]
	v_add_f64 v[23:24], v[23:24], v[35:36]
	;; [unrolled: 1-line block ×4, first 2 shown]
	ds_write_b128 v46, v[6:9]
	s_waitcnt lgkmcnt(0)
	s_barrier
	buffer_gl0_inv
	s_and_saveexec_b32 s8, s3
	s_cbranch_execz .LBB28_118
; %bb.117:
	ds_read_b128 v[2:5], v45
	ds_read_b128 v[6:9], v45 offset:16
	s_waitcnt lgkmcnt(0)
	v_add_f64 v[19:20], v[6:7], v[2:3]
	v_add_f64 v[23:24], v[8:9], v[4:5]
	ds_read_b128 v[2:5], v45 offset:32
	ds_read_b128 v[6:9], v45 offset:48
	s_waitcnt lgkmcnt(1)
	v_add_f64 v[2:3], v[19:20], v[2:3]
	v_add_f64 v[4:5], v[23:24], v[4:5]
	s_waitcnt lgkmcnt(0)
	v_add_f64 v[19:20], v[2:3], v[6:7]
	v_add_f64 v[23:24], v[4:5], v[8:9]
	ds_read_b128 v[2:5], v45 offset:64
	ds_read_b128 v[6:9], v45 offset:80
	s_waitcnt lgkmcnt(1)
	v_add_f64 v[2:3], v[19:20], v[2:3]
	v_add_f64 v[4:5], v[23:24], v[4:5]
	;; [unrolled: 8-line block ×3, first 2 shown]
	s_waitcnt lgkmcnt(0)
	v_add_f64 v[2:3], v[2:3], v[6:7]
	v_add_f64 v[4:5], v[4:5], v[8:9]
.LBB28_118:
	s_or_b32 exec_lo, exec_lo, s8
	s_lshl_b64 s[8:9], s[22:23], 4
	v_cmp_ne_u32_e32 vcc_lo, 1, v22
	v_sub_co_u32 v42, s8, v11, s8
	v_subrev_co_ci_u32_e64 v43, null, s9, v12, s8
	s_barrier
	buffer_gl0_inv
	s_cbranch_vccnz .LBB28_120
; %bb.119:
	s_lshl_b64 s[8:9], s[12:13], 7
	global_load_dwordx4 v[19:22], v[42:43], off
	v_add_co_u32 v6, vcc_lo, v42, s8
	v_add_co_ci_u32_e64 v7, null, s9, v43, vcc_lo
	v_add_co_u32 v8, vcc_lo, v6, s8
	v_add_co_ci_u32_e64 v9, null, s9, v7, vcc_lo
	;; [unrolled: 2-line block ×3, first 2 shown]
	s_movk_i32 s8, 0x1080
	s_clause 0x2
	global_load_dwordx4 v[23:26], v[6:7], off
	global_load_dwordx4 v[27:30], v[8:9], off
	;; [unrolled: 1-line block ×3, first 2 shown]
	v_add_nc_u32_e32 v9, 8, v13
	v_add_nc_u32_e32 v8, 16, v13
	;; [unrolled: 1-line block ×3, first 2 shown]
	v_mad_u32_u24 v6, 0x210, v9, s8
	s_movk_i32 s8, 0x2100
	v_mul_u32_u24_e32 v7, 0x210, v9
	v_mad_u32_u24 v12, 0x210, v9, s8
	v_mad_u32_u24 v17, 0x210, v9, v14
	s_waitcnt vmcnt(3)
	ds_write2_b64 v16, v[19:20], v[21:22] offset1:1
	v_add_nc_u32_e32 v20, v14, v12
	v_add_nc_u32_e32 v19, v14, v6
	s_waitcnt vmcnt(2)
	ds_write2_b64 v17, v[23:24], v[25:26] offset1:1
	s_waitcnt vmcnt(1)
	ds_write2_b64 v19, v[27:28], v[29:30] offset1:1
	;; [unrolled: 2-line block ×3, first 2 shown]
	s_cbranch_execz .LBB28_121
	s_branch .LBB28_138
.LBB28_120:
                                        ; implicit-def: $vgpr9
                                        ; implicit-def: $vgpr7
                                        ; implicit-def: $vgpr8
                                        ; implicit-def: $vgpr6
                                        ; implicit-def: $vgpr11
                                        ; implicit-def: $vgpr12
.LBB28_121:
	v_lshlrev_b32_e32 v17, 4, v10
	s_ashr_i32 s19, s18, 31
	v_or_b32_e32 v8, 32, v10
	s_lshl_b64 s[10:11], s[18:19], 4
	v_cmp_le_i32_e64 s8, s18, v13
	v_sub_co_u32 v6, vcc_lo, v42, v17
	v_subrev_co_ci_u32_e64 v7, null, 0, v43, vcc_lo
	v_add_co_u32 v6, vcc_lo, v6, s10
	v_add_co_ci_u32_e64 v7, null, s11, v7, vcc_lo
	v_add_co_u32 v6, vcc_lo, 0xfffffdf0, v6
	v_add_co_ci_u32_e64 v7, null, -1, v7, vcc_lo
	v_cmp_gt_i32_e32 vcc_lo, s18, v8
	v_cndmask_b32_e32 v7, v7, v43, vcc_lo
	v_cndmask_b32_e32 v6, v6, v42, vcc_lo
	s_and_saveexec_b32 s9, s8
	s_xor_b32 s8, exec_lo, s9
	s_cbranch_execz .LBB28_123
; %bb.122:
	v_mov_b32_e32 v8, 0
	v_mov_b32_e32 v9, v8
	;; [unrolled: 1-line block ×4, first 2 shown]
	ds_write_b128 v16, v[8:11]
.LBB28_123:
	s_andn2_saveexec_b32 s8, s8
	s_cbranch_execz .LBB28_125
; %bb.124:
	global_load_dwordx4 v[8:11], v[6:7], off
	s_waitcnt vmcnt(0)
	ds_write2_b64 v16, v[8:9], v[10:11] offset1:1
.LBB28_125:
	s_or_b32 exec_lo, exec_lo, s8
	v_add_nc_u32_e32 v9, 8, v13
	v_cmp_le_i32_e64 s8, s18, v9
	s_and_saveexec_b32 s9, s8
	s_xor_b32 s8, exec_lo, s9
	s_cbranch_execz .LBB28_127
; %bb.126:
	v_mov_b32_e32 v19, 0
	v_mad_u32_u24 v8, 0x210, v9, v14
	v_mov_b32_e32 v20, v19
	v_mov_b32_e32 v21, v19
	;; [unrolled: 1-line block ×3, first 2 shown]
	ds_write_b128 v8, v[19:22]
.LBB28_127:
	s_andn2_saveexec_b32 s9, s8
	s_cbranch_execz .LBB28_129
; %bb.128:
	s_lshl_b64 s[22:23], s[12:13], 7
	v_mad_u32_u24 v8, 0x210, v9, v14
	v_add_co_u32 v10, s8, v6, s22
	v_add_co_ci_u32_e64 v11, null, s23, v7, s8
	global_load_dwordx4 v[19:22], v[10:11], off
	s_waitcnt vmcnt(0)
	ds_write2_b64 v8, v[19:20], v[21:22] offset1:1
.LBB28_129:
	s_or_b32 exec_lo, exec_lo, s9
	v_add_nc_u32_e32 v8, 16, v13
	v_cmp_le_i32_e64 s8, s18, v8
	s_and_saveexec_b32 s9, s8
	s_xor_b32 s8, exec_lo, s9
	s_cbranch_execz .LBB28_131
; %bb.130:
	v_mov_b32_e32 v19, 0
	v_mad_u32_u24 v10, 0x210, v8, v14
	v_mov_b32_e32 v20, v19
	v_mov_b32_e32 v21, v19
	;; [unrolled: 1-line block ×3, first 2 shown]
	ds_write_b128 v10, v[19:22]
.LBB28_131:
	s_andn2_saveexec_b32 s9, s8
	s_cbranch_execz .LBB28_133
; %bb.132:
	s_lshl_b64 s[22:23], s[12:13], 8
	v_add_co_u32 v10, s8, v6, s22
	v_add_co_ci_u32_e64 v11, null, s23, v7, s8
	global_load_dwordx4 v[19:22], v[10:11], off
	v_mad_u32_u24 v10, 0x210, v8, v14
	s_waitcnt vmcnt(0)
	ds_write2_b64 v10, v[19:20], v[21:22] offset1:1
.LBB28_133:
	s_or_b32 exec_lo, exec_lo, s9
	v_add_nc_u32_e32 v11, 24, v13
                                        ; implicit-def: $vgpr12
	v_cmp_le_i32_e64 s8, s18, v11
	s_and_saveexec_b32 s9, s8
	s_xor_b32 s8, exec_lo, s9
	s_cbranch_execz .LBB28_135
; %bb.134:
	v_mov_b32_e32 v19, 0
	v_mad_u32_u24 v10, 0x210, v11, v14
	v_mul_u32_u24_e32 v12, 0x210, v11
	v_mov_b32_e32 v20, v19
	v_mov_b32_e32 v21, v19
	;; [unrolled: 1-line block ×3, first 2 shown]
	ds_write_b128 v10, v[19:22]
.LBB28_135:
	s_andn2_saveexec_b32 s8, s8
	s_cbranch_execz .LBB28_137
; %bb.136:
	v_mad_u64_u32 v[19:20], null, 0x180, s12, v[6:7]
	v_mul_u32_u24_e32 v12, 0x210, v11
	v_mov_b32_e32 v10, v20
	v_mad_u64_u32 v[20:21], null, 0x180, s13, v[10:11]
	v_mad_u32_u24 v10, 0x210, v11, v14
	global_load_dwordx4 v[19:22], v[19:20], off
	s_waitcnt vmcnt(0)
	ds_write2_b64 v10, v[19:20], v[21:22] offset1:1
.LBB28_137:
	s_or_b32 exec_lo, exec_lo, s8
	v_add_co_u32 v6, s8, v6, v17
	v_add_co_ci_u32_e64 v7, null, 0, v7, s8
	v_sub_co_u32 v6, s8, v6, s10
	v_subrev_co_ci_u32_e64 v7, null, s11, v7, s8
	v_add_co_u32 v6, s8, 0x210, v6
	v_add_co_ci_u32_e64 v10, null, 0, v7, s8
	s_movk_i32 s8, 0x1080
	v_mul_u32_u24_e32 v7, 0x210, v9
	v_cndmask_b32_e32 v42, v6, v42, vcc_lo
	v_cndmask_b32_e32 v43, v10, v43, vcc_lo
	v_mad_u32_u24 v6, 0x210, v9, s8
.LBB28_138:
	v_lshlrev_b32_e32 v10, 4, v13
	s_waitcnt lgkmcnt(0)
	s_barrier
	buffer_gl0_inv
	v_lshlrev_b32_e32 v9, 4, v9
	ds_read_b128 v[19:22], v10 offset:18176
	ds_read_b128 v[23:26], v16
	v_add_nc_u32_e32 v7, v14, v7
	ds_read_b128 v[27:30], v9 offset:18176
	ds_read_b128 v[31:34], v7
	v_lshlrev_b32_e32 v7, 4, v8
	v_add_nc_u32_e32 v10, v14, v6
	ds_read_b128 v[6:9], v7 offset:18176
	ds_read_b128 v[47:50], v10
	v_lshlrev_b32_e32 v10, 4, v11
	v_add_nc_u32_e32 v14, v14, v12
	s_waitcnt lgkmcnt(4)
	v_mul_f64 v[16:17], v[21:22], v[25:26]
	v_mul_f64 v[25:26], v[19:20], v[25:26]
	s_waitcnt lgkmcnt(2)
	v_mul_f64 v[35:36], v[29:30], v[33:34]
	v_mul_f64 v[33:34], v[27:28], v[33:34]
	v_fma_f64 v[16:17], v[19:20], v[23:24], -v[16:17]
	v_fma_f64 v[23:24], v[21:22], v[23:24], v[25:26]
	s_waitcnt lgkmcnt(0)
	v_mul_f64 v[25:26], v[8:9], v[49:50]
	v_mul_f64 v[49:50], v[6:7], v[49:50]
	ds_read_b128 v[10:13], v10 offset:18176
	ds_read2_b64 v[19:22], v14 offset1:1
	v_fma_f64 v[27:28], v[27:28], v[31:32], -v[35:36]
	v_fma_f64 v[29:30], v[29:30], v[31:32], v[33:34]
	v_lshl_add_u32 v14, v15, 4, v45
	v_add_f64 v[16:17], v[16:17], 0
	v_add_f64 v[23:24], v[23:24], 0
	s_waitcnt lgkmcnt(0)
	v_mul_f64 v[31:32], v[12:13], v[21:22]
	v_mul_f64 v[21:22], v[10:11], v[21:22]
	v_fma_f64 v[6:7], v[6:7], v[47:48], -v[25:26]
	v_fma_f64 v[8:9], v[8:9], v[47:48], v[49:50]
	v_add_f64 v[16:17], v[16:17], v[27:28]
	v_add_f64 v[23:24], v[23:24], v[29:30]
	v_fma_f64 v[10:11], v[10:11], v[19:20], -v[31:32]
	v_fma_f64 v[12:13], v[12:13], v[19:20], v[21:22]
	v_add_f64 v[6:7], v[16:17], v[6:7]
	v_add_f64 v[8:9], v[23:24], v[8:9]
	ds_read_b128 v[30:33], v18 offset:512
	ds_read_b128 v[22:25], v18 offset:528
	v_add_f64 v[47:48], v[6:7], v[10:11]
	v_add_f64 v[49:50], v[8:9], v[12:13]
	ds_read_b128 v[10:13], v18 offset:544
	ds_read_b128 v[6:9], v18 offset:560
	ds_read_b128 v[34:37], v14
	ds_read_b128 v[26:29], v14 offset:16
	ds_read_b128 v[18:21], v14 offset:32
	;; [unrolled: 1-line block ×3, first 2 shown]
	s_waitcnt lgkmcnt(0)
	s_barrier
	buffer_gl0_inv
	ds_write_b128 v46, v[47:50]
	s_waitcnt lgkmcnt(0)
	s_barrier
	buffer_gl0_inv
	s_and_saveexec_b32 s8, s3
	s_cbranch_execz .LBB28_140
; %bb.139:
	ds_read_b128 v[47:50], v45
	ds_read_b128 v[51:54], v45 offset:16
	s_waitcnt lgkmcnt(1)
	v_add_f64 v[2:3], v[2:3], v[47:48]
	v_add_f64 v[4:5], v[4:5], v[49:50]
	s_waitcnt lgkmcnt(0)
	v_add_f64 v[51:52], v[2:3], v[51:52]
	v_add_f64 v[53:54], v[4:5], v[53:54]
	ds_read_b128 v[2:5], v45 offset:32
	ds_read_b128 v[47:50], v45 offset:48
	s_waitcnt lgkmcnt(1)
	v_add_f64 v[2:3], v[51:52], v[2:3]
	v_add_f64 v[4:5], v[53:54], v[4:5]
	s_waitcnt lgkmcnt(0)
	v_add_f64 v[51:52], v[2:3], v[47:48]
	v_add_f64 v[53:54], v[4:5], v[49:50]
	ds_read_b128 v[2:5], v45 offset:64
	;; [unrolled: 8-line block ×3, first 2 shown]
	ds_read_b128 v[47:50], v45 offset:112
	s_waitcnt lgkmcnt(1)
	v_add_f64 v[2:3], v[51:52], v[2:3]
	v_add_f64 v[4:5], v[53:54], v[4:5]
	s_waitcnt lgkmcnt(0)
	v_add_f64 v[2:3], v[2:3], v[47:48]
	v_add_f64 v[4:5], v[4:5], v[49:50]
.LBB28_140:
	s_or_b32 exec_lo, exec_lo, s8
	v_mul_f64 v[47:48], v[36:37], v[32:33]
	v_mul_f64 v[36:37], v[36:37], v[30:31]
	;; [unrolled: 1-line block ×4, first 2 shown]
	s_barrier
	buffer_gl0_inv
	v_fma_f64 v[30:31], v[34:35], v[30:31], v[47:48]
	v_fma_f64 v[32:33], v[34:35], v[32:33], -v[36:37]
	v_mul_f64 v[34:35], v[20:21], v[12:13]
	v_mul_f64 v[20:21], v[20:21], v[10:11]
	v_fma_f64 v[22:23], v[26:27], v[22:23], v[49:50]
	v_fma_f64 v[24:25], v[26:27], v[24:25], -v[28:29]
	v_add_f64 v[26:27], v[30:31], 0
	v_add_f64 v[28:29], v[32:33], 0
	v_mul_f64 v[30:31], v[16:17], v[8:9]
	v_mul_f64 v[16:17], v[16:17], v[6:7]
	v_fma_f64 v[10:11], v[18:19], v[10:11], v[34:35]
	v_fma_f64 v[12:13], v[18:19], v[12:13], -v[20:21]
	v_add_f64 v[18:19], v[26:27], v[22:23]
	v_add_f64 v[20:21], v[28:29], v[24:25]
	v_fma_f64 v[6:7], v[14:15], v[6:7], v[30:31]
	v_fma_f64 v[8:9], v[14:15], v[8:9], -v[16:17]
	v_add_f64 v[10:11], v[18:19], v[10:11]
	v_add_f64 v[12:13], v[20:21], v[12:13]
	;; [unrolled: 1-line block ×4, first 2 shown]
	ds_write_b128 v46, v[6:9]
	s_waitcnt lgkmcnt(0)
	s_barrier
	buffer_gl0_inv
	s_and_saveexec_b32 s3, s2
	s_cbranch_execz .LBB28_142
; %bb.141:
	ds_read_b128 v[6:9], v45
	ds_read_b128 v[10:13], v45 offset:16
	s_waitcnt lgkmcnt(1)
	v_add_f64 v[2:3], v[2:3], v[6:7]
	v_add_f64 v[4:5], v[4:5], v[8:9]
	s_waitcnt lgkmcnt(0)
	v_add_f64 v[10:11], v[2:3], v[10:11]
	v_add_f64 v[12:13], v[4:5], v[12:13]
	ds_read_b128 v[2:5], v45 offset:32
	ds_read_b128 v[6:9], v45 offset:48
	s_waitcnt lgkmcnt(1)
	v_add_f64 v[2:3], v[10:11], v[2:3]
	v_add_f64 v[4:5], v[12:13], v[4:5]
	s_waitcnt lgkmcnt(0)
	v_add_f64 v[10:11], v[2:3], v[6:7]
	v_add_f64 v[12:13], v[4:5], v[8:9]
	ds_read_b128 v[2:5], v45 offset:64
	ds_read_b128 v[6:9], v45 offset:80
	s_waitcnt lgkmcnt(1)
	v_add_f64 v[2:3], v[10:11], v[2:3]
	v_add_f64 v[4:5], v[12:13], v[4:5]
	s_waitcnt lgkmcnt(0)
	v_add_f64 v[10:11], v[2:3], v[6:7]
	v_add_f64 v[12:13], v[4:5], v[8:9]
	ds_read_b128 v[2:5], v45 offset:96
	ds_read_b128 v[6:9], v45 offset:112
	s_waitcnt lgkmcnt(1)
	v_add_f64 v[2:3], v[10:11], v[2:3]
	v_add_f64 v[4:5], v[12:13], v[4:5]
	s_waitcnt lgkmcnt(0)
	v_add_f64 v[2:3], v[2:3], v[6:7]
	v_add_f64 v[4:5], v[4:5], v[8:9]
.LBB28_142:
	s_or_b32 exec_lo, exec_lo, s3
	s_load_dwordx2 s[2:3], s[4:5], 0x78
	s_mul_hi_u32 s4, s24, s7
	s_mul_i32 s26, s26, s7
	s_mul_i32 s5, s24, s7
	s_add_i32 s4, s4, s26
	s_mul_hi_u32 s7, s5, s25
	s_mul_i32 s8, s4, s25
	s_mul_i32 s4, s5, s25
	s_add_i32 s5, s7, s8
	s_mul_i32 s8, s24, s6
	s_lshl_b64 s[4:5], s[4:5], 4
	v_cmp_le_i32_e32 vcc_lo, s18, v0
	v_lshlrev_b32_e32 v140, 4, v0
	s_waitcnt lgkmcnt(0)
	s_barrier
	buffer_gl0_inv
	s_add_u32 s4, s2, s4
	s_addc_u32 s5, s3, s5
	s_ashr_i32 s9, s8, 31
	s_lshl_b64 s[2:3], s[8:9], 4
	s_add_u32 s7, s4, s2
	s_addc_u32 s8, s5, s3
	s_and_b32 vcc_lo, s27, vcc_lo
	s_cmp_lt_i32 s6, 1
	s_cbranch_scc1 .LBB28_149
; %bb.143:
	v_lshlrev_b32_e32 v8, 2, v1
	v_sub_co_u32 v10, s2, v42, s14
	v_subrev_co_ci_u32_e64 v11, null, s15, v43, s2
	v_mad_u64_u32 v[6:7], null, s12, v8, 0
	v_sub_co_u32 v10, s2, v10, v40
	v_sub_co_ci_u32_e64 v11, null, v11, v41, s2
	s_ashr_i32 s19, s18, 31
	s_mul_i32 s3, s20, s17
	v_mad_u64_u32 v[7:8], null, s13, v8, v[7:8]
	s_lshl_b64 s[10:11], s[18:19], 4
	v_lshrrev_b32_e32 v8, 4, v44
	s_mul_hi_u32 s5, s20, s16
	v_and_b32_e32 v9, 15, v0
	s_mul_i32 s9, s21, s16
	s_add_i32 s3, s5, s3
	v_lshlrev_b64 v[6:7], 4, v[6:7]
	s_mul_i32 s4, s20, s16
	s_add_i32 s5, s3, s9
	v_or_b32_e32 v12, 0xf0, v140
	s_lshl_b64 s[4:5], s[4:5], 4
	v_mov_b32_e32 v137, 0
	v_add_co_u32 v6, s2, v10, v6
	v_add_co_ci_u32_e64 v7, null, v11, v7, s2
	v_add_nc_u32_e32 v143, 0x4300, v140
	v_add_co_u32 v10, s2, v6, s10
	v_add_co_ci_u32_e64 v11, null, s11, v7, s2
	v_add_co_u32 v6, s2, v6, v140
	v_add_co_ci_u32_e64 v7, null, 0, v7, s2
	v_add_co_u32 v10, s2, 0xfffffdf0, v10
	v_add_co_ci_u32_e64 v11, null, -1, v11, s2
	v_add_co_u32 v6, s2, 0xfffffe00, v6
	v_add_co_ci_u32_e64 v7, null, -1, v7, s2
	v_sub_co_u32 v141, s2, v38, s4
	v_cndmask_b32_e32 v6, v6, v10, vcc_lo
	v_cndmask_b32_e32 v7, v7, v11, vcc_lo
	v_and_b32_e32 v10, 48, v0
	v_lshlrev_b32_e32 v11, 6, v8
	v_mul_i32_i24_e32 v8, 0xffffffd0, v8
	v_subrev_co_ci_u32_e64 v142, null, s5, v39, s2
	v_lshlrev_b32_e32 v10, 4, v10
	v_mad_u32_u24 v147, 0x430, v9, v11
	v_lshl_add_u32 v144, v1, 6, 0x4300
	v_add_nc_u32_e32 v145, 0x4700, v140
	v_mad_u32_u24 v146, 0x10c0, v1, v140
	v_cmp_gt_u32_e64 s2, 64, v44
	v_mad_u32_u24 v148, 0x430, v9, v10
	v_mad_u32_u24 v149, 0x430, v9, v12
	v_add_nc_u32_e32 v150, v147, v8
	s_mul_i32 s3, s13, 0xd0
	s_mul_hi_u32 s9, s12, 0xd0
	s_lshl_b64 s[4:5], s[12:13], 4
	s_add_i32 s9, s9, s3
	s_mul_i32 s10, s12, 0xd0
	s_mov_b32 s11, 0
	s_branch .LBB28_145
.LBB28_144:                             ;   in Loop: Header=BB28_145 Depth=1
	s_or_b32 exec_lo, exec_lo, s12
	v_mul_f64 v[151:152], v[16:17], v[24:25]
	v_mul_f64 v[24:25], v[14:15], v[24:25]
	;; [unrolled: 1-line block ×4, first 2 shown]
	s_add_i32 s6, s6, -1
	s_add_i32 s11, s11, 64
	s_cmp_eq_u32 s6, 0
	s_waitcnt_vscnt null, 0x0
	s_barrier
	buffer_gl0_inv
	v_fma_f64 v[14:15], v[14:15], v[22:23], -v[151:152]
	v_fma_f64 v[16:17], v[16:17], v[22:23], v[24:25]
	v_mul_f64 v[22:23], v[12:13], v[32:33]
	v_mul_f64 v[24:25], v[10:11], v[32:33]
	v_fma_f64 v[18:19], v[18:19], v[26:27], -v[153:154]
	v_fma_f64 v[20:21], v[20:21], v[26:27], v[28:29]
	v_add_f64 v[2:3], v[2:3], v[14:15]
	v_add_f64 v[4:5], v[4:5], v[16:17]
	v_mul_f64 v[14:15], v[8:9], v[48:49]
	v_mul_f64 v[16:17], v[6:7], v[48:49]
	v_fma_f64 v[10:11], v[10:11], v[30:31], -v[22:23]
	v_fma_f64 v[12:13], v[12:13], v[30:31], v[24:25]
	v_add_f64 v[2:3], v[2:3], v[18:19]
	v_add_f64 v[4:5], v[4:5], v[20:21]
	;; [unrolled: 6-line block ×14, first 2 shown]
	v_fma_f64 v[6:7], v[114:115], v[118:119], -v[6:7]
	v_fma_f64 v[8:9], v[116:117], v[118:119], v[8:9]
	v_add_f64 v[2:3], v[2:3], v[10:11]
	v_add_f64 v[4:5], v[4:5], v[12:13]
	;; [unrolled: 1-line block ×4, first 2 shown]
	v_add_co_u32 v6, s3, v138, s10
	v_add_co_ci_u32_e64 v7, null, s9, v139, s3
	s_cbranch_scc1 .LBB28_149
.LBB28_145:                             ; =>This Inner Loop Header: Depth=1
	s_and_saveexec_b32 s12, s1
	s_cbranch_execz .LBB28_147
; %bb.146:                              ;   in Loop: Header=BB28_145 Depth=1
	s_mul_i32 s3, s21, s11
	s_mul_hi_u32 s13, s20, s11
	s_mul_i32 s14, s20, s11
	s_add_i32 s15, s13, s3
	s_lshl_b64 s[14:15], s[14:15], 4
	v_add_co_u32 v8, s3, v141, s14
	v_add_co_ci_u32_e64 v9, null, s15, v142, s3
	global_load_dwordx4 v[8:11], v[8:9], off
	s_waitcnt vmcnt(0)
	ds_write2_b64 v143, v[8:9], v[10:11] offset1:1
.LBB28_147:                             ;   in Loop: Header=BB28_145 Depth=1
	s_or_b32 exec_lo, exec_lo, s12
	v_add_co_u32 v8, s3, v6, s4
	v_add_co_ci_u32_e64 v9, null, s5, v7, s3
	s_waitcnt lgkmcnt(0)
	v_add_co_u32 v10, s3, v8, s4
	v_add_co_ci_u32_e64 v11, null, s5, v9, s3
	s_barrier
	v_add_co_u32 v29, s3, v10, s4
	buffer_gl0_inv
	global_load_dwordx4 v[14:17], v[6:7], off
	v_add_co_ci_u32_e64 v30, null, s5, v11, s3
	s_clause 0x2
	global_load_dwordx4 v[18:21], v[8:9], off
	global_load_dwordx4 v[10:13], v[10:11], off
	;; [unrolled: 1-line block ×3, first 2 shown]
	ds_read_b128 v[22:25], v145
	v_add_co_u32 v54, s3, v29, s10
	v_add_co_ci_u32_e64 v55, null, s9, v30, s3
	v_add_co_u32 v56, s3, v54, s4
	v_add_co_ci_u32_e64 v57, null, s5, v55, s3
	;; [unrolled: 2-line block ×8, first 2 shown]
	s_waitcnt vmcnt(3) lgkmcnt(0)
	v_mul_f64 v[26:27], v[16:17], v[24:25]
	v_mul_f64 v[31:32], v[16:17], v[22:23]
	s_waitcnt vmcnt(2)
	v_mul_f64 v[38:39], v[20:21], v[24:25]
	v_mul_f64 v[40:41], v[20:21], v[22:23]
	s_waitcnt vmcnt(1)
	;; [unrolled: 3-line block ×3, first 2 shown]
	v_mul_f64 v[46:47], v[8:9], v[24:25]
	v_mul_f64 v[48:49], v[8:9], v[22:23]
	v_fma_f64 v[34:35], v[14:15], v[22:23], v[26:27]
	v_fma_f64 v[36:37], v[14:15], v[24:25], -v[31:32]
	v_fma_f64 v[38:39], v[18:19], v[22:23], v[38:39]
	v_fma_f64 v[40:41], v[18:19], v[24:25], -v[40:41]
	;; [unrolled: 2-line block ×4, first 2 shown]
	ds_read_b128 v[22:25], v144
	ds_read_b128 v[26:29], v144 offset:16
	ds_read_b128 v[30:33], v144 offset:32
	;; [unrolled: 1-line block ×3, first 2 shown]
	ds_write_b128 v146, v[34:37]
	ds_write_b128 v146, v[38:41] offset:1072
	ds_write_b128 v146, v[42:45] offset:2144
	;; [unrolled: 1-line block ×3, first 2 shown]
	s_waitcnt lgkmcnt(0)
	s_barrier
	buffer_gl0_inv
	ds_read_b128 v[86:89], v147
	ds_read_b128 v[90:93], v147 offset:16
	ds_read_b128 v[94:97], v147 offset:32
	;; [unrolled: 1-line block ×3, first 2 shown]
	s_waitcnt lgkmcnt(0)
	s_barrier
	buffer_gl0_inv
	s_clause 0x3
	global_load_dwordx4 v[50:53], v[54:55], off
	global_load_dwordx4 v[42:45], v[56:57], off
	;; [unrolled: 1-line block ×4, first 2 shown]
	ds_read_b128 v[54:57], v145
	v_add_f64 v[86:87], v[86:87], 0
	v_add_f64 v[88:89], v[88:89], 0
	;; [unrolled: 1-line block ×6, first 2 shown]
	s_waitcnt vmcnt(2) lgkmcnt(0)
	v_mul_f64 v[62:63], v[44:45], v[56:57]
	v_mul_f64 v[58:59], v[52:53], v[56:57]
	;; [unrolled: 1-line block ×4, first 2 shown]
	s_waitcnt vmcnt(1)
	v_mul_f64 v[66:67], v[40:41], v[56:57]
	v_mul_f64 v[71:72], v[40:41], v[54:55]
	s_waitcnt vmcnt(0)
	v_mul_f64 v[73:74], v[36:37], v[56:57]
	v_mul_f64 v[75:76], v[36:37], v[54:55]
	v_fma_f64 v[62:63], v[42:43], v[54:55], v[62:63]
	v_fma_f64 v[58:59], v[50:51], v[54:55], v[58:59]
	v_fma_f64 v[60:61], v[50:51], v[56:57], -v[60:61]
	v_fma_f64 v[64:65], v[42:43], v[56:57], -v[64:65]
	v_fma_f64 v[66:67], v[38:39], v[54:55], v[66:67]
	v_fma_f64 v[68:69], v[38:39], v[56:57], -v[71:72]
	v_fma_f64 v[54:55], v[34:35], v[54:55], v[73:74]
	v_fma_f64 v[56:57], v[34:35], v[56:57], -v[75:76]
	ds_read_b128 v[82:85], v144 offset:256
	ds_read_b128 v[78:81], v144 offset:272
	;; [unrolled: 1-line block ×4, first 2 shown]
	ds_write_b128 v146, v[58:61]
	ds_write_b128 v146, v[62:65] offset:1072
	ds_write_b128 v146, v[66:69] offset:2144
	;; [unrolled: 1-line block ×3, first 2 shown]
	s_waitcnt lgkmcnt(0)
	s_barrier
	buffer_gl0_inv
	ds_read_b128 v[98:101], v147
	ds_read_b128 v[114:117], v147 offset:16
	ds_read_b128 v[118:121], v147 offset:32
	ds_read_b128 v[122:125], v147 offset:48
	s_waitcnt lgkmcnt(0)
	s_barrier
	buffer_gl0_inv
	s_clause 0x2
	global_load_dwordx4 v[66:69], v[102:103], off
	global_load_dwordx4 v[62:65], v[104:105], off
	;; [unrolled: 1-line block ×4, first 2 shown]
	ds_read_b128 v[102:105], v145
	v_add_f64 v[159:160], v[98:99], 0
	v_add_f64 v[163:164], v[100:101], 0
	;; [unrolled: 1-line block ×10, first 2 shown]
	s_waitcnt vmcnt(2) lgkmcnt(0)
	v_mul_f64 v[128:129], v[64:65], v[104:105]
	v_mul_f64 v[106:107], v[68:69], v[104:105]
	;; [unrolled: 1-line block ×4, first 2 shown]
	s_waitcnt vmcnt(1)
	v_mul_f64 v[132:133], v[60:61], v[104:105]
	v_mul_f64 v[138:139], v[60:61], v[102:103]
	s_waitcnt vmcnt(0)
	v_mul_f64 v[151:152], v[56:57], v[104:105]
	v_mul_f64 v[153:154], v[56:57], v[102:103]
	v_fma_f64 v[90:91], v[62:63], v[102:103], v[128:129]
	v_fma_f64 v[86:87], v[66:67], v[102:103], v[106:107]
	v_fma_f64 v[88:89], v[66:67], v[104:105], -v[126:127]
	v_fma_f64 v[92:93], v[62:63], v[104:105], -v[130:131]
	v_fma_f64 v[126:127], v[58:59], v[102:103], v[132:133]
	v_fma_f64 v[128:129], v[58:59], v[104:105], -v[138:139]
	v_fma_f64 v[130:131], v[54:55], v[102:103], v[151:152]
	v_fma_f64 v[132:133], v[54:55], v[104:105], -v[153:154]
	v_add_co_u32 v138, s3, v108, s10
	v_add_co_ci_u32_e64 v139, null, s9, v109, s3
	ds_read_b128 v[106:109], v144 offset:512
	ds_read_b128 v[102:105], v144 offset:528
	;; [unrolled: 1-line block ×4, first 2 shown]
	ds_write_b128 v146, v[86:89]
	ds_write_b128 v146, v[90:93] offset:1072
	ds_write_b128 v146, v[126:129] offset:2144
	;; [unrolled: 1-line block ×3, first 2 shown]
	s_waitcnt lgkmcnt(0)
	s_barrier
	buffer_gl0_inv
	ds_read_b128 v[126:129], v147
	ds_read_b128 v[130:133], v147 offset:16
	ds_read_b128 v[151:154], v147 offset:32
	;; [unrolled: 1-line block ×3, first 2 shown]
	s_waitcnt lgkmcnt(0)
	s_barrier
	buffer_gl0_inv
	global_load_dwordx4 v[90:93], v[138:139], off
	ds_read_b128 v[118:121], v145
	v_add_co_u32 v167, s3, v138, s4
	v_add_co_ci_u32_e64 v168, null, s5, v139, s3
	v_add_co_u32 v171, s3, v167, s4
	global_load_dwordx4 v[86:89], v[167:168], off
	v_add_co_ci_u32_e64 v172, null, s5, v168, s3
	v_add_co_u32 v138, s3, v171, s4
	v_add_f64 v[126:127], v[126:127], 0
	v_add_co_ci_u32_e64 v139, null, s5, v172, s3
	v_add_f64 v[128:129], v[128:129], 0
	v_add_f64 v[126:127], v[126:127], v[130:131]
	;; [unrolled: 1-line block ×3, first 2 shown]
	ds_read_b128 v[130:133], v144 offset:768
	v_add_f64 v[126:127], v[126:127], v[151:152]
	v_add_f64 v[128:129], v[128:129], v[153:154]
	;; [unrolled: 1-line block ×4, first 2 shown]
	ds_read_b128 v[126:129], v144 offset:784
	s_waitcnt vmcnt(1) lgkmcnt(2)
	v_mul_f64 v[110:111], v[92:93], v[120:121]
	v_mul_f64 v[112:113], v[92:93], v[118:119]
	s_waitcnt vmcnt(0)
	v_mul_f64 v[114:115], v[88:89], v[120:121]
	v_mul_f64 v[116:117], v[88:89], v[118:119]
	v_fma_f64 v[122:123], v[90:91], v[118:119], v[110:111]
	v_fma_f64 v[124:125], v[90:91], v[120:121], -v[112:113]
	global_load_dwordx4 v[110:113], v[171:172], off
	v_fma_f64 v[167:168], v[86:87], v[118:119], v[114:115]
	v_fma_f64 v[169:170], v[86:87], v[120:121], -v[116:117]
	ds_write_b128 v146, v[122:125]
	ds_read_b128 v[122:125], v144 offset:800
	ds_write_b128 v146, v[167:170] offset:1072
	s_waitcnt vmcnt(0)
	v_mul_f64 v[114:115], v[112:113], v[120:121]
	v_mul_f64 v[116:117], v[112:113], v[118:119]
	v_fma_f64 v[171:172], v[110:111], v[118:119], v[114:115]
	v_fma_f64 v[173:174], v[110:111], v[120:121], -v[116:117]
	global_load_dwordx4 v[114:117], v[138:139], off
	ds_write_b128 v146, v[171:174] offset:2144
	s_waitcnt vmcnt(0)
	v_mul_f64 v[175:176], v[116:117], v[120:121]
	v_mul_f64 v[177:178], v[116:117], v[118:119]
	v_fma_f64 v[118:119], v[114:115], v[118:119], v[175:176]
	v_fma_f64 v[120:121], v[114:115], v[120:121], -v[177:178]
	ds_write_b128 v146, v[118:121] offset:3216
	ds_read_b128 v[118:121], v144 offset:816
	s_waitcnt lgkmcnt(0)
	s_barrier
	buffer_gl0_inv
	ds_read_b128 v[155:158], v147
	s_waitcnt lgkmcnt(0)
	v_add_f64 v[167:168], v[155:156], 0
	v_add_f64 v[169:170], v[157:158], 0
	ds_read_b128 v[155:158], v147 offset:16
	s_waitcnt lgkmcnt(0)
	v_add_f64 v[167:168], v[167:168], v[155:156]
	v_add_f64 v[169:170], v[169:170], v[157:158]
	ds_read_b128 v[155:158], v147 offset:32
	;; [unrolled: 4-line block ×3, first 2 shown]
	s_waitcnt lgkmcnt(0)
	s_barrier
	buffer_gl0_inv
	v_add_f64 v[155:156], v[167:168], v[155:156]
	v_add_f64 v[157:158], v[169:170], v[157:158]
	ds_write_b128 v150, v[159:162]
	ds_write_b128 v150, v[163:166] offset:256
	ds_write_b128 v150, v[151:154] offset:512
	;; [unrolled: 1-line block ×3, first 2 shown]
	s_waitcnt lgkmcnt(0)
	s_barrier
	buffer_gl0_inv
	s_and_saveexec_b32 s12, s2
	s_cbranch_execz .LBB28_144
; %bb.148:                              ;   in Loop: Header=BB28_145 Depth=1
	ds_read_b128 v[151:154], v148
	ds_read_b128 v[155:158], v148 offset:16
	v_add_nc_u32_e32 v136, s11, v0
	s_waitcnt lgkmcnt(0)
	v_add_f64 v[159:160], v[155:156], v[151:152]
	v_add_f64 v[161:162], v[157:158], v[153:154]
	ds_read_b128 v[151:154], v148 offset:32
	ds_read_b128 v[155:158], v148 offset:48
	s_waitcnt lgkmcnt(1)
	v_add_f64 v[151:152], v[159:160], v[151:152]
	v_add_f64 v[153:154], v[161:162], v[153:154]
	s_waitcnt lgkmcnt(0)
	v_add_f64 v[159:160], v[151:152], v[155:156]
	v_add_f64 v[161:162], v[153:154], v[157:158]
	ds_read_b128 v[151:154], v148 offset:64
	ds_read_b128 v[155:158], v148 offset:80
	s_waitcnt lgkmcnt(1)
	v_add_f64 v[151:152], v[159:160], v[151:152]
	v_add_f64 v[153:154], v[161:162], v[153:154]
	;; [unrolled: 8-line block ×6, first 2 shown]
	s_waitcnt lgkmcnt(0)
	v_add_f64 v[159:160], v[151:152], v[155:156]
	v_add_f64 v[161:162], v[153:154], v[157:158]
	ds_read_b128 v[151:154], v148 offset:224
	ds_read_b128 v[155:158], v149
	s_waitcnt lgkmcnt(1)
	v_add_f64 v[151:152], v[159:160], v[151:152]
	v_add_f64 v[153:154], v[161:162], v[153:154]
	s_waitcnt lgkmcnt(0)
	v_add_f64 v[151:152], v[151:152], v[155:156]
	v_add_f64 v[153:154], v[153:154], v[157:158]
	v_lshlrev_b64 v[155:156], 4, v[136:137]
	v_add_co_u32 v155, s3, s7, v155
	v_add_co_ci_u32_e64 v156, null, s8, v156, s3
	global_store_dwordx4 v[155:156], v[151:154], off
	s_branch .LBB28_144
.LBB28_149:
	v_mad_u32_u24 v0, 0x430, v1, v140
	s_nor_b32 s0, s0, vcc_lo
	ds_write_b128 v0, v[2:5]
	s_waitcnt lgkmcnt(0)
	s_barrier
	buffer_gl0_inv
	s_and_saveexec_b32 s1, s0
	s_cbranch_execz .LBB28_151
; %bb.150:
	ds_read_b128 v[0:3], v140 offset:1072
	ds_read_b128 v[4:7], v140
	s_waitcnt lgkmcnt(0)
	v_add_f64 v[8:9], v[0:1], v[4:5]
	v_add_f64 v[10:11], v[2:3], v[6:7]
	ds_read_b128 v[0:3], v140 offset:2144
	ds_read_b128 v[4:7], v140 offset:3216
	s_waitcnt lgkmcnt(1)
	v_add_f64 v[0:1], v[8:9], v[0:1]
	v_add_f64 v[2:3], v[10:11], v[2:3]
	s_waitcnt lgkmcnt(0)
	v_add_f64 v[0:1], v[0:1], v[4:5]
	v_add_f64 v[2:3], v[2:3], v[6:7]
	v_lshlrev_b64 v[4:5], 4, v[134:135]
	v_add_co_u32 v4, vcc_lo, s7, v4
	v_add_co_ci_u32_e64 v5, null, s8, v5, vcc_lo
	global_store_dwordx4 v[4:5], v[0:3], off
.LBB28_151:
	s_endpgm
	.section	.rodata,"a",@progbits
	.p2align	6, 0x0
	.amdhsa_kernel _ZL26rocblas_hemvn_kernel_lowerILb1ELi64ELi4ELi33ELi32ELi16El19rocblas_complex_numIdEPKS1_PS1_EviT6_lT7_lT5_lS6_lS7_lS5_lT8_i
		.amdhsa_group_segment_fixed_size 19200
		.amdhsa_private_segment_fixed_size 0
		.amdhsa_kernarg_size 392
		.amdhsa_user_sgpr_count 6
		.amdhsa_user_sgpr_private_segment_buffer 1
		.amdhsa_user_sgpr_dispatch_ptr 0
		.amdhsa_user_sgpr_queue_ptr 0
		.amdhsa_user_sgpr_kernarg_segment_ptr 1
		.amdhsa_user_sgpr_dispatch_id 0
		.amdhsa_user_sgpr_flat_scratch_init 0
		.amdhsa_user_sgpr_private_segment_size 0
		.amdhsa_wavefront_size32 1
		.amdhsa_uses_dynamic_stack 0
		.amdhsa_system_sgpr_private_segment_wavefront_offset 0
		.amdhsa_system_sgpr_workgroup_id_x 1
		.amdhsa_system_sgpr_workgroup_id_y 0
		.amdhsa_system_sgpr_workgroup_id_z 1
		.amdhsa_system_sgpr_workgroup_info 0
		.amdhsa_system_vgpr_workitem_id 1
		.amdhsa_next_free_vgpr 179
		.amdhsa_next_free_sgpr 32
		.amdhsa_reserve_vcc 1
		.amdhsa_reserve_flat_scratch 0
		.amdhsa_float_round_mode_32 0
		.amdhsa_float_round_mode_16_64 0
		.amdhsa_float_denorm_mode_32 3
		.amdhsa_float_denorm_mode_16_64 3
		.amdhsa_dx10_clamp 1
		.amdhsa_ieee_mode 1
		.amdhsa_fp16_overflow 0
		.amdhsa_workgroup_processor_mode 1
		.amdhsa_memory_ordered 1
		.amdhsa_forward_progress 1
		.amdhsa_shared_vgpr_count 0
		.amdhsa_exception_fp_ieee_invalid_op 0
		.amdhsa_exception_fp_denorm_src 0
		.amdhsa_exception_fp_ieee_div_zero 0
		.amdhsa_exception_fp_ieee_overflow 0
		.amdhsa_exception_fp_ieee_underflow 0
		.amdhsa_exception_fp_ieee_inexact 0
		.amdhsa_exception_int_div_zero 0
	.end_amdhsa_kernel
	.section	.text._ZL26rocblas_hemvn_kernel_lowerILb1ELi64ELi4ELi33ELi32ELi16El19rocblas_complex_numIdEPKS1_PS1_EviT6_lT7_lT5_lS6_lS7_lS5_lT8_i,"axG",@progbits,_ZL26rocblas_hemvn_kernel_lowerILb1ELi64ELi4ELi33ELi32ELi16El19rocblas_complex_numIdEPKS1_PS1_EviT6_lT7_lT5_lS6_lS7_lS5_lT8_i,comdat
.Lfunc_end28:
	.size	_ZL26rocblas_hemvn_kernel_lowerILb1ELi64ELi4ELi33ELi32ELi16El19rocblas_complex_numIdEPKS1_PS1_EviT6_lT7_lT5_lS6_lS7_lS5_lT8_i, .Lfunc_end28-_ZL26rocblas_hemvn_kernel_lowerILb1ELi64ELi4ELi33ELi32ELi16El19rocblas_complex_numIdEPKS1_PS1_EviT6_lT7_lT5_lS6_lS7_lS5_lT8_i
                                        ; -- End function
	.set _ZL26rocblas_hemvn_kernel_lowerILb1ELi64ELi4ELi33ELi32ELi16El19rocblas_complex_numIdEPKS1_PS1_EviT6_lT7_lT5_lS6_lS7_lS5_lT8_i.num_vgpr, 179
	.set _ZL26rocblas_hemvn_kernel_lowerILb1ELi64ELi4ELi33ELi32ELi16El19rocblas_complex_numIdEPKS1_PS1_EviT6_lT7_lT5_lS6_lS7_lS5_lT8_i.num_agpr, 0
	.set _ZL26rocblas_hemvn_kernel_lowerILb1ELi64ELi4ELi33ELi32ELi16El19rocblas_complex_numIdEPKS1_PS1_EviT6_lT7_lT5_lS6_lS7_lS5_lT8_i.numbered_sgpr, 32
	.set _ZL26rocblas_hemvn_kernel_lowerILb1ELi64ELi4ELi33ELi32ELi16El19rocblas_complex_numIdEPKS1_PS1_EviT6_lT7_lT5_lS6_lS7_lS5_lT8_i.num_named_barrier, 0
	.set _ZL26rocblas_hemvn_kernel_lowerILb1ELi64ELi4ELi33ELi32ELi16El19rocblas_complex_numIdEPKS1_PS1_EviT6_lT7_lT5_lS6_lS7_lS5_lT8_i.private_seg_size, 0
	.set _ZL26rocblas_hemvn_kernel_lowerILb1ELi64ELi4ELi33ELi32ELi16El19rocblas_complex_numIdEPKS1_PS1_EviT6_lT7_lT5_lS6_lS7_lS5_lT8_i.uses_vcc, 1
	.set _ZL26rocblas_hemvn_kernel_lowerILb1ELi64ELi4ELi33ELi32ELi16El19rocblas_complex_numIdEPKS1_PS1_EviT6_lT7_lT5_lS6_lS7_lS5_lT8_i.uses_flat_scratch, 0
	.set _ZL26rocblas_hemvn_kernel_lowerILb1ELi64ELi4ELi33ELi32ELi16El19rocblas_complex_numIdEPKS1_PS1_EviT6_lT7_lT5_lS6_lS7_lS5_lT8_i.has_dyn_sized_stack, 0
	.set _ZL26rocblas_hemvn_kernel_lowerILb1ELi64ELi4ELi33ELi32ELi16El19rocblas_complex_numIdEPKS1_PS1_EviT6_lT7_lT5_lS6_lS7_lS5_lT8_i.has_recursion, 0
	.set _ZL26rocblas_hemvn_kernel_lowerILb1ELi64ELi4ELi33ELi32ELi16El19rocblas_complex_numIdEPKS1_PS1_EviT6_lT7_lT5_lS6_lS7_lS5_lT8_i.has_indirect_call, 0
	.section	.AMDGPU.csdata,"",@progbits
; Kernel info:
; codeLenInByte = 10440
; TotalNumSgprs: 34
; NumVgprs: 179
; ScratchSize: 0
; MemoryBound: 0
; FloatMode: 240
; IeeeMode: 1
; LDSByteSize: 19200 bytes/workgroup (compile time only)
; SGPRBlocks: 0
; VGPRBlocks: 22
; NumSGPRsForWavesPerEU: 34
; NumVGPRsForWavesPerEU: 179
; Occupancy: 5
; WaveLimiterHint : 0
; COMPUTE_PGM_RSRC2:SCRATCH_EN: 0
; COMPUTE_PGM_RSRC2:USER_SGPR: 6
; COMPUTE_PGM_RSRC2:TRAP_HANDLER: 0
; COMPUTE_PGM_RSRC2:TGID_X_EN: 1
; COMPUTE_PGM_RSRC2:TGID_Y_EN: 0
; COMPUTE_PGM_RSRC2:TGID_Z_EN: 1
; COMPUTE_PGM_RSRC2:TIDIG_COMP_CNT: 1
	.section	.text._ZL36rocblas_hemvn_kernel_lower_block_sumILi64El19rocblas_complex_numIdEPS1_S1_EviT1_lS3_lT2_lT0_lPT3_i,"axG",@progbits,_ZL36rocblas_hemvn_kernel_lower_block_sumILi64El19rocblas_complex_numIdEPS1_S1_EviT1_lS3_lT2_lT0_lPT3_i,comdat
	.globl	_ZL36rocblas_hemvn_kernel_lower_block_sumILi64El19rocblas_complex_numIdEPS1_S1_EviT1_lS3_lT2_lT0_lPT3_i ; -- Begin function _ZL36rocblas_hemvn_kernel_lower_block_sumILi64El19rocblas_complex_numIdEPS1_S1_EviT1_lS3_lT2_lT0_lPT3_i
	.p2align	8
	.type	_ZL36rocblas_hemvn_kernel_lower_block_sumILi64El19rocblas_complex_numIdEPS1_S1_EviT1_lS3_lT2_lT0_lPT3_i,@function
_ZL36rocblas_hemvn_kernel_lower_block_sumILi64El19rocblas_complex_numIdEPS1_S1_EviT1_lS3_lT2_lT0_lPT3_i: ; @_ZL36rocblas_hemvn_kernel_lower_block_sumILi64El19rocblas_complex_numIdEPS1_S1_EviT1_lS3_lT2_lT0_lPT3_i
; %bb.0:
	s_clause 0x1
	s_load_dwordx4 s[12:15], s[4:5], 0x8
	s_load_dwordx4 s[8:11], s[4:5], 0x20
	s_waitcnt lgkmcnt(0)
	v_cmp_neq_f64_e64 s0, s[12:13], 0
	v_cmp_neq_f64_e64 s1, s[14:15], 0
	s_or_b32 s17, s0, s1
	s_mov_b32 s0, -1
	s_and_b32 vcc_lo, exec_lo, s17
	s_cbranch_vccnz .LBB29_2
; %bb.1:
	v_cmp_neq_f64_e64 s0, s[8:9], 1.0
	v_cmp_neq_f64_e64 s1, s[10:11], 0
	s_or_b32 s0, s0, s1
.LBB29_2:
	s_andn2_b32 vcc_lo, exec_lo, s0
	s_cbranch_vccnz .LBB29_22
; %bb.3:
	s_clause 0x3
	s_load_dwordx2 s[18:19], s[4:5], 0x50
	s_load_dwordx2 s[20:21], s[4:5], 0x38
	s_load_dwordx4 s[0:3], s[4:5], 0x40
	s_load_dword s16, s[4:5], 0x0
	v_lshl_or_b32 v4, s6, 6, v0
	s_xor_b32 s17, s17, -1
	s_waitcnt lgkmcnt(0)
	s_mul_i32 s19, s19, s7
	s_mul_hi_u32 s22, s18, s7
	s_mul_i32 s18, s18, s7
	s_add_i32 s19, s22, s19
	s_lshl_b64 s[18:19], s[18:19], 4
	s_add_u32 s20, s20, s18
	s_addc_u32 s21, s21, s19
	s_lshl_b64 s[18:19], s[0:1], 4
	v_cmp_gt_i32_e64 s0, s16, v4
	s_add_u32 s18, s20, s18
	s_addc_u32 s19, s21, s19
	s_andn2_b32 vcc_lo, exec_lo, s17
	s_mov_b32 s20, 0
	s_cbranch_vccnz .LBB29_8
; %bb.4:
	s_mov_b32 s1, 0
                                        ; implicit-def: $vgpr2_vgpr3
                                        ; implicit-def: $vgpr5_vgpr6
	s_and_saveexec_b32 s17, s0
	s_cbranch_execz .LBB29_9
; %bb.5:
	v_cmp_neq_f64_e64 s0, s[8:9], 0
	v_cmp_neq_f64_e64 s20, s[10:11], 0
	v_ashrrev_i32_e32 v0, 31, v4
	v_mul_lo_u32 v7, s3, v4
	v_mad_u64_u32 v[5:6], null, s2, v4, 0
	v_mov_b32_e32 v2, 0
	v_mul_lo_u32 v8, s2, v0
	v_mov_b32_e32 v0, 0
	v_mov_b32_e32 v3, 0
	;; [unrolled: 1-line block ×3, first 2 shown]
	v_add3_u32 v6, v6, v8, v7
	s_or_b32 s0, s0, s20
	s_andn2_b32 vcc_lo, exec_lo, s0
	s_cbranch_vccnz .LBB29_7
; %bb.6:
	v_lshlrev_b64 v[0:1], 4, v[5:6]
	v_add_co_u32 v0, vcc_lo, s18, v0
	v_add_co_ci_u32_e64 v1, null, s19, v1, vcc_lo
	global_load_dwordx4 v[7:10], v[0:1], off
	s_waitcnt vmcnt(0)
	v_mul_f64 v[0:1], s[10:11], v[9:10]
	v_mul_f64 v[2:3], s[8:9], v[9:10]
	v_fma_f64 v[0:1], s[8:9], v[7:8], -v[0:1]
	v_fma_f64 v[2:3], s[10:11], v[7:8], v[2:3]
.LBB29_7:
	s_mov_b32 s20, exec_lo
	s_or_b32 exec_lo, exec_lo, s17
	s_and_b32 vcc_lo, exec_lo, s1
	s_cbranch_vccnz .LBB29_10
	s_branch .LBB29_20
.LBB29_8:
                                        ; implicit-def: $vgpr2_vgpr3
                                        ; implicit-def: $vgpr5_vgpr6
	s_cbranch_execnz .LBB29_10
	s_branch .LBB29_20
.LBB29_9:
	s_or_b32 exec_lo, exec_lo, s17
	s_and_b32 vcc_lo, exec_lo, s1
	s_cbranch_vccz .LBB29_20
.LBB29_10:
	s_mov_b32 s21, exec_lo
                                        ; implicit-def: $vgpr2_vgpr3
                                        ; implicit-def: $vgpr5_vgpr6
	v_cmpx_gt_i32_e64 s16, v4
	s_cbranch_execz .LBB29_19
; %bb.11:
	s_load_dword s22, s[4:5], 0x68
	v_mov_b32_e32 v0, 0
	v_mov_b32_e32 v2, 0
	;; [unrolled: 1-line block ×4, first 2 shown]
	s_waitcnt lgkmcnt(0)
	s_cmp_ge_i32 s6, s22
	s_cbranch_scc1 .LBB29_14
; %bb.12:
	s_load_dwordx2 s[0:1], s[4:5], 0x58
	v_mad_u64_u32 v[0:1], null, s16, s6, v[4:5]
	s_ashr_i32 s17, s16, 31
	s_mul_hi_u32 s4, s16, s7
	s_mul_i32 s5, s17, s7
	s_mul_i32 s7, s16, s7
	s_add_i32 s4, s4, s5
	s_mul_hi_u32 s5, s7, s22
	v_ashrrev_i32_e32 v1, 31, v0
	s_mul_i32 s23, s4, s22
	s_mul_i32 s4, s7, s22
	s_add_i32 s5, s5, s23
	v_lshlrev_b64 v[2:3], 4, v[0:1]
	s_lshl_b64 s[4:5], s[4:5], 4
	v_mov_b32_e32 v0, 0
	v_mov_b32_e32 v1, 0
	s_waitcnt lgkmcnt(0)
	s_add_u32 s0, s0, s4
	s_addc_u32 s1, s1, s5
	v_add_co_u32 v5, vcc_lo, s0, v2
	v_add_co_ci_u32_e64 v6, null, s1, v3, vcc_lo
	v_mov_b32_e32 v2, 0
	v_add_co_u32 v5, vcc_lo, v5, 8
	v_mov_b32_e32 v3, 0
	v_add_co_ci_u32_e64 v6, null, 0, v6, vcc_lo
	s_lshl_b64 s[0:1], s[16:17], 4
.LBB29_13:                              ; =>This Inner Loop Header: Depth=1
	global_load_dwordx4 v[7:10], v[5:6], off offset:-8
	v_add_co_u32 v5, vcc_lo, v5, s0
	v_add_co_ci_u32_e64 v6, null, s1, v6, vcc_lo
	s_add_i32 s6, s6, 1
	s_cmp_ge_i32 s6, s22
	s_waitcnt vmcnt(0)
	v_add_f64 v[2:3], v[2:3], v[7:8]
	v_add_f64 v[0:1], v[0:1], v[9:10]
	s_cbranch_scc0 .LBB29_13
.LBB29_14:
	v_mul_f64 v[5:6], s[14:15], v[0:1]
	v_mul_f64 v[7:8], s[12:13], v[0:1]
	v_cmp_neq_f64_e64 s0, s[8:9], 0
	v_cmp_neq_f64_e64 s1, s[10:11], 0
	v_fma_f64 v[0:1], s[12:13], v[2:3], -v[5:6]
	v_fma_f64 v[2:3], s[14:15], v[2:3], v[7:8]
	v_ashrrev_i32_e32 v5, 31, v4
	v_mul_lo_u32 v7, s3, v4
	s_or_b32 s0, s0, s1
	s_andn2_b32 vcc_lo, exec_lo, s0
	v_mul_lo_u32 v8, s2, v5
	s_cbranch_vccz .LBB29_16
; %bb.15:
	v_mad_u64_u32 v[5:6], null, s2, v4, 0
	v_add3_u32 v6, v6, v8, v7
	s_cbranch_execz .LBB29_17
	s_branch .LBB29_18
.LBB29_16:
                                        ; implicit-def: $vgpr5_vgpr6
.LBB29_17:
	v_mad_u64_u32 v[5:6], null, s2, v4, 0
	v_add3_u32 v6, v6, v8, v7
	v_lshlrev_b64 v[7:8], 4, v[5:6]
	v_add_co_u32 v7, vcc_lo, s18, v7
	v_add_co_ci_u32_e64 v8, null, s19, v8, vcc_lo
	global_load_dwordx4 v[7:10], v[7:8], off
	s_waitcnt vmcnt(0)
	v_mul_f64 v[11:12], s[10:11], v[9:10]
	v_mul_f64 v[9:10], s[8:9], v[9:10]
	v_fma_f64 v[11:12], s[8:9], v[7:8], -v[11:12]
	v_fma_f64 v[7:8], s[10:11], v[7:8], v[9:10]
	v_add_f64 v[0:1], v[0:1], v[11:12]
	v_add_f64 v[2:3], v[2:3], v[7:8]
.LBB29_18:
	s_or_b32 s20, s20, exec_lo
.LBB29_19:
	s_or_b32 exec_lo, exec_lo, s21
.LBB29_20:
	s_and_saveexec_b32 s0, s20
	s_cbranch_execz .LBB29_22
; %bb.21:
	v_lshlrev_b64 v[4:5], 4, v[5:6]
	v_add_co_u32 v4, vcc_lo, s18, v4
	v_add_co_ci_u32_e64 v5, null, s19, v5, vcc_lo
	global_store_dwordx4 v[4:5], v[0:3], off
.LBB29_22:
	s_endpgm
	.section	.rodata,"a",@progbits
	.p2align	6, 0x0
	.amdhsa_kernel _ZL36rocblas_hemvn_kernel_lower_block_sumILi64El19rocblas_complex_numIdEPS1_S1_EviT1_lS3_lT2_lT0_lPT3_i
		.amdhsa_group_segment_fixed_size 0
		.amdhsa_private_segment_fixed_size 0
		.amdhsa_kernarg_size 360
		.amdhsa_user_sgpr_count 6
		.amdhsa_user_sgpr_private_segment_buffer 1
		.amdhsa_user_sgpr_dispatch_ptr 0
		.amdhsa_user_sgpr_queue_ptr 0
		.amdhsa_user_sgpr_kernarg_segment_ptr 1
		.amdhsa_user_sgpr_dispatch_id 0
		.amdhsa_user_sgpr_flat_scratch_init 0
		.amdhsa_user_sgpr_private_segment_size 0
		.amdhsa_wavefront_size32 1
		.amdhsa_uses_dynamic_stack 0
		.amdhsa_system_sgpr_private_segment_wavefront_offset 0
		.amdhsa_system_sgpr_workgroup_id_x 1
		.amdhsa_system_sgpr_workgroup_id_y 0
		.amdhsa_system_sgpr_workgroup_id_z 1
		.amdhsa_system_sgpr_workgroup_info 0
		.amdhsa_system_vgpr_workitem_id 0
		.amdhsa_next_free_vgpr 13
		.amdhsa_next_free_sgpr 24
		.amdhsa_reserve_vcc 1
		.amdhsa_reserve_flat_scratch 0
		.amdhsa_float_round_mode_32 0
		.amdhsa_float_round_mode_16_64 0
		.amdhsa_float_denorm_mode_32 3
		.amdhsa_float_denorm_mode_16_64 3
		.amdhsa_dx10_clamp 1
		.amdhsa_ieee_mode 1
		.amdhsa_fp16_overflow 0
		.amdhsa_workgroup_processor_mode 1
		.amdhsa_memory_ordered 1
		.amdhsa_forward_progress 1
		.amdhsa_shared_vgpr_count 0
		.amdhsa_exception_fp_ieee_invalid_op 0
		.amdhsa_exception_fp_denorm_src 0
		.amdhsa_exception_fp_ieee_div_zero 0
		.amdhsa_exception_fp_ieee_overflow 0
		.amdhsa_exception_fp_ieee_underflow 0
		.amdhsa_exception_fp_ieee_inexact 0
		.amdhsa_exception_int_div_zero 0
	.end_amdhsa_kernel
	.section	.text._ZL36rocblas_hemvn_kernel_lower_block_sumILi64El19rocblas_complex_numIdEPS1_S1_EviT1_lS3_lT2_lT0_lPT3_i,"axG",@progbits,_ZL36rocblas_hemvn_kernel_lower_block_sumILi64El19rocblas_complex_numIdEPS1_S1_EviT1_lS3_lT2_lT0_lPT3_i,comdat
.Lfunc_end29:
	.size	_ZL36rocblas_hemvn_kernel_lower_block_sumILi64El19rocblas_complex_numIdEPS1_S1_EviT1_lS3_lT2_lT0_lPT3_i, .Lfunc_end29-_ZL36rocblas_hemvn_kernel_lower_block_sumILi64El19rocblas_complex_numIdEPS1_S1_EviT1_lS3_lT2_lT0_lPT3_i
                                        ; -- End function
	.set _ZL36rocblas_hemvn_kernel_lower_block_sumILi64El19rocblas_complex_numIdEPS1_S1_EviT1_lS3_lT2_lT0_lPT3_i.num_vgpr, 13
	.set _ZL36rocblas_hemvn_kernel_lower_block_sumILi64El19rocblas_complex_numIdEPS1_S1_EviT1_lS3_lT2_lT0_lPT3_i.num_agpr, 0
	.set _ZL36rocblas_hemvn_kernel_lower_block_sumILi64El19rocblas_complex_numIdEPS1_S1_EviT1_lS3_lT2_lT0_lPT3_i.numbered_sgpr, 24
	.set _ZL36rocblas_hemvn_kernel_lower_block_sumILi64El19rocblas_complex_numIdEPS1_S1_EviT1_lS3_lT2_lT0_lPT3_i.num_named_barrier, 0
	.set _ZL36rocblas_hemvn_kernel_lower_block_sumILi64El19rocblas_complex_numIdEPS1_S1_EviT1_lS3_lT2_lT0_lPT3_i.private_seg_size, 0
	.set _ZL36rocblas_hemvn_kernel_lower_block_sumILi64El19rocblas_complex_numIdEPS1_S1_EviT1_lS3_lT2_lT0_lPT3_i.uses_vcc, 1
	.set _ZL36rocblas_hemvn_kernel_lower_block_sumILi64El19rocblas_complex_numIdEPS1_S1_EviT1_lS3_lT2_lT0_lPT3_i.uses_flat_scratch, 0
	.set _ZL36rocblas_hemvn_kernel_lower_block_sumILi64El19rocblas_complex_numIdEPS1_S1_EviT1_lS3_lT2_lT0_lPT3_i.has_dyn_sized_stack, 0
	.set _ZL36rocblas_hemvn_kernel_lower_block_sumILi64El19rocblas_complex_numIdEPS1_S1_EviT1_lS3_lT2_lT0_lPT3_i.has_recursion, 0
	.set _ZL36rocblas_hemvn_kernel_lower_block_sumILi64El19rocblas_complex_numIdEPS1_S1_EviT1_lS3_lT2_lT0_lPT3_i.has_indirect_call, 0
	.section	.AMDGPU.csdata,"",@progbits
; Kernel info:
; codeLenInByte = 892
; TotalNumSgprs: 26
; NumVgprs: 13
; ScratchSize: 0
; MemoryBound: 0
; FloatMode: 240
; IeeeMode: 1
; LDSByteSize: 0 bytes/workgroup (compile time only)
; SGPRBlocks: 0
; VGPRBlocks: 1
; NumSGPRsForWavesPerEU: 26
; NumVGPRsForWavesPerEU: 13
; Occupancy: 16
; WaveLimiterHint : 0
; COMPUTE_PGM_RSRC2:SCRATCH_EN: 0
; COMPUTE_PGM_RSRC2:USER_SGPR: 6
; COMPUTE_PGM_RSRC2:TRAP_HANDLER: 0
; COMPUTE_PGM_RSRC2:TGID_X_EN: 1
; COMPUTE_PGM_RSRC2:TGID_Y_EN: 0
; COMPUTE_PGM_RSRC2:TGID_Z_EN: 1
; COMPUTE_PGM_RSRC2:TIDIG_COMP_CNT: 0
	.section	.text._ZL26rocblas_hemvn_kernel_lowerILb1ELi64ELi4ELi33ELi32ELi16Ei19rocblas_complex_numIdEPKS1_PS1_EviT6_lT7_lT5_lS6_lS7_lS5_lT8_i,"axG",@progbits,_ZL26rocblas_hemvn_kernel_lowerILb1ELi64ELi4ELi33ELi32ELi16Ei19rocblas_complex_numIdEPKS1_PS1_EviT6_lT7_lT5_lS6_lS7_lS5_lT8_i,comdat
	.globl	_ZL26rocblas_hemvn_kernel_lowerILb1ELi64ELi4ELi33ELi32ELi16Ei19rocblas_complex_numIdEPKS1_PS1_EviT6_lT7_lT5_lS6_lS7_lS5_lT8_i ; -- Begin function _ZL26rocblas_hemvn_kernel_lowerILb1ELi64ELi4ELi33ELi32ELi16Ei19rocblas_complex_numIdEPKS1_PS1_EviT6_lT7_lT5_lS6_lS7_lS5_lT8_i
	.p2align	8
	.type	_ZL26rocblas_hemvn_kernel_lowerILb1ELi64ELi4ELi33ELi32ELi16Ei19rocblas_complex_numIdEPKS1_PS1_EviT6_lT7_lT5_lS6_lS7_lS5_lT8_i,@function
_ZL26rocblas_hemvn_kernel_lowerILb1ELi64ELi4ELi33ELi32ELi16Ei19rocblas_complex_numIdEPKS1_PS1_EviT6_lT7_lT5_lS6_lS7_lS5_lT8_i: ; @_ZL26rocblas_hemvn_kernel_lowerILb1ELi64ELi4ELi33ELi32ELi16Ei19rocblas_complex_numIdEPKS1_PS1_EviT6_lT7_lT5_lS6_lS7_lS5_lT8_i
; %bb.0:
	s_load_dwordx2 s[0:1], s[4:5], 0x94
	s_add_u32 s14, s4, 0x88
	s_addc_u32 s15, s5, 0
	s_waitcnt lgkmcnt(0)
	s_lshr_b32 s2, s0, 16
	s_and_b32 s0, s0, 0xffff
	s_and_b32 s1, s1, 0xffff
	s_mul_i32 s0, s2, s0
	s_mul_i32 s0, s0, s1
	s_cmpk_lg_i32 s0, 0x100
	s_cbranch_scc1 .LBB30_151
; %bb.1:
	s_load_dwordx4 s[0:3], s[4:5], 0x8
	v_mov_b32_e32 v2, v1
	s_waitcnt lgkmcnt(0)
	v_cmp_neq_f64_e64 s10, s[0:1], 0
	v_cmp_neq_f64_e64 s11, s[2:3], 0
	s_clause 0x1
	s_load_dwordx4 s[0:3], s[4:5], 0x58
	s_load_dwordx2 s[8:9], s[4:5], 0x68
	s_or_b32 s10, s10, s11
	s_mov_b32 s11, -1
	s_and_b32 vcc_lo, exec_lo, s10
	s_cbranch_vccnz .LBB30_3
; %bb.2:
	s_waitcnt lgkmcnt(0)
	v_cmp_neq_f64_e64 s2, s[2:3], 1.0
	v_cmp_neq_f64_e64 s3, s[8:9], 0
	s_or_b32 s11, s2, s3
.LBB30_3:
	s_andn2_b32 vcc_lo, exec_lo, s11
	s_cbranch_vccnz .LBB30_151
; %bb.4:
	s_andn2_b32 vcc_lo, exec_lo, s10
	s_cbranch_vccnz .LBB30_151
; %bb.5:
	s_waitcnt lgkmcnt(0)
	s_clause 0x2
	s_load_dwordx4 s[8:11], s[4:5], 0x38
	s_load_dwordx2 s[2:3], s[4:5], 0x48
	s_load_dword s24, s[4:5], 0x50
	s_mul_i32 s1, s1, s7
	s_mul_hi_u32 s12, s0, s7
	s_mul_i32 s0, s0, s7
	s_add_i32 s1, s12, s1
	s_load_dword s25, s[4:5], 0x0
	s_lshl_b64 s[0:1], s[0:1], 4
	s_load_dword s26, s[14:15], 0x0
	s_waitcnt lgkmcnt(0)
	s_add_u32 s10, s10, s0
	s_addc_u32 s11, s11, s1
	s_lshl_b64 s[0:1], s[2:3], 4
	s_add_u32 s2, s10, s0
	s_addc_u32 s1, s11, s1
	s_lshl_b32 s12, s6, 6
	s_ashr_i32 s27, s25, 31
	v_add_nc_u32_e32 v139, s12, v0
	s_lshr_b32 s0, s27, 26
	s_add_i32 s10, s26, -1
	s_add_i32 s3, s25, s0
	v_cmp_ne_u32_e64 s0, 0, v2
	v_mul_lo_u32 v3, s24, v139
	s_andn2_b32 s3, s3, 63
	s_sub_i32 s3, s25, s3
	s_cmp_eq_u32 s6, s10
	s_cselect_b32 s14, s3, 0
	v_ashrrev_i32_e32 v4, 31, v3
	v_lshlrev_b64 v[3:4], 4, v[3:4]
	v_add_co_u32 v39, vcc_lo, s2, v3
	v_add_co_ci_u32_e64 v40, null, s1, v4, vcc_lo
	v_cmp_eq_u32_e64 s1, 0, v2
	s_mov_b32 s2, -1
	s_and_saveexec_b32 s3, s1
	s_cbranch_execz .LBB30_10
; %bb.6:
	v_cmp_le_i32_e32 vcc_lo, s14, v0
	s_cmp_lg_u32 s14, 0
	v_lshl_add_u32 v1, v0, 4, 0x4700
	s_cselect_b32 s10, -1, 0
	s_and_b32 s10, s10, vcc_lo
	s_and_saveexec_b32 s11, s10
	s_xor_b32 s10, exec_lo, s11
	s_cbranch_execz .LBB30_8
; %bb.7:
	v_mov_b32_e32 v3, 0
	v_mov_b32_e32 v4, v3
	;; [unrolled: 1-line block ×4, first 2 shown]
	ds_write_b128 v1, v[3:6]
                                        ; implicit-def: $vgpr1
.LBB30_8:
	s_andn2_saveexec_b32 s10, s10
	s_cbranch_execz .LBB30_10
; %bb.9:
	global_load_dwordx4 v[3:6], v[39:40], off
	s_waitcnt vmcnt(0)
	ds_write2_b64 v1, v[3:4], v[5:6] offset1:1
.LBB30_10:
	s_or_b32 exec_lo, exec_lo, s3
	s_clause 0x1
	s_load_dwordx4 s[20:23], s[4:5], 0x20
	s_load_dword s16, s[4:5], 0x30
	v_lshl_add_u32 v45, v2, 6, v0
	v_and_b32_e32 v1, 31, v0
	s_mul_i32 s3, s9, s7
	s_mul_hi_u32 s9, s8, s7
	s_mul_i32 s8, s8, s7
	v_lshrrev_b32_e32 v13, 5, v45
	s_add_i32 s9, s9, s3
	s_lshl_b64 s[8:9], s[8:9], 4
	s_waitcnt lgkmcnt(0)
	s_add_u32 s3, s20, s8
	v_mad_u64_u32 v[3:4], null, s16, v13, v[1:2]
	s_addc_u32 s10, s21, s9
	s_lshl_b64 s[8:9], s[22:23], 4
	s_add_u32 s3, s3, s8
	s_addc_u32 s11, s10, s9
	s_ashr_i32 s13, s12, 31
	v_ashrrev_i32_e32 v4, 31, v3
	s_lshl_b64 s[8:9], s[12:13], 4
	s_mul_i32 s10, s16, s12
	s_add_u32 s3, s3, s8
	s_addc_u32 s8, s11, s9
	v_lshlrev_b64 v[41:42], 4, v[3:4]
	s_ashr_i32 s11, s10, 31
	s_lshl_b64 s[18:19], s[10:11], 4
	s_cmp_lg_u32 s14, 0
	s_cselect_b32 s13, -1, 0
	v_add_co_u32 v3, vcc_lo, s3, v41
	v_add_co_ci_u32_e64 v4, null, s8, v42, vcc_lo
	s_cmp_eq_u32 s14, 0
	v_add_co_u32 v7, vcc_lo, v3, s18
	v_add_co_ci_u32_e64 v8, null, s19, v4, vcc_lo
	s_cselect_b32 s11, -1, 0
	s_and_b32 vcc_lo, exec_lo, s13
	s_cbranch_vccnz .LBB30_12
; %bb.11:
	s_lshl_b32 s2, s16, 3
	s_ashr_i32 s17, s16, 31
	s_ashr_i32 s3, s2, 31
	v_mul_u32_u24_e32 v22, 0x210, v13
	s_lshl_b64 s[2:3], s[2:3], 4
	v_add_co_u32 v9, vcc_lo, v7, s2
	v_add_co_ci_u32_e64 v10, null, s3, v8, vcc_lo
	s_lshl_b64 s[2:3], s[16:17], 7
	v_lshl_add_u32 v22, v1, 4, v22
	v_add_co_u32 v14, vcc_lo, v9, s2
	v_add_co_ci_u32_e64 v15, null, s3, v10, vcc_lo
	v_add_nc_u32_e32 v25, 0x3180, v22
	v_add_co_u32 v18, vcc_lo, v14, s2
	v_add_co_ci_u32_e64 v19, null, s3, v15, vcc_lo
	s_clause 0x3
	global_load_dwordx4 v[3:6], v[7:8], off
	global_load_dwordx4 v[9:12], v[9:10], off
	;; [unrolled: 1-line block ×4, first 2 shown]
	v_add_nc_u32_e32 v23, 0x1080, v22
	v_add_nc_u32_e32 v24, 0x2100, v22
	s_mov_b32 s2, 0
	s_waitcnt vmcnt(3)
	ds_write2_b64 v22, v[3:4], v[5:6] offset1:1
	s_waitcnt vmcnt(2)
	ds_write2_b64 v23, v[9:10], v[11:12] offset1:1
	;; [unrolled: 2-line block ×4, first 2 shown]
.LBB30_12:
	v_lshlrev_b32_e32 v14, 4, v1
	s_andn2_b32 vcc_lo, exec_lo, s2
	s_cbranch_vccnz .LBB30_30
; %bb.13:
	v_sub_co_u32 v3, vcc_lo, v7, v14
	s_ashr_i32 s15, s14, 31
	v_subrev_co_ci_u32_e64 v4, null, 0, v8, vcc_lo
	s_lshl_b64 s[8:9], s[14:15], 4
	v_cmp_le_i32_e64 s2, s14, v13
	v_add_co_u32 v3, vcc_lo, v3, s8
	v_add_co_ci_u32_e64 v4, null, s9, v4, vcc_lo
	v_mad_u32_u24 v5, 0x210, v13, v14
	v_add_co_u32 v3, vcc_lo, v3, -16
	v_add_co_ci_u32_e64 v4, null, -1, v4, vcc_lo
	v_cmp_gt_i32_e32 vcc_lo, s14, v1
	v_cndmask_b32_e32 v4, v4, v8, vcc_lo
	v_cndmask_b32_e32 v3, v3, v7, vcc_lo
	s_and_saveexec_b32 s3, s2
	s_xor_b32 s2, exec_lo, s3
	s_cbranch_execz .LBB30_15
; %bb.14:
	v_mov_b32_e32 v9, 0
	v_mov_b32_e32 v10, v9
	;; [unrolled: 1-line block ×4, first 2 shown]
	ds_write_b128 v5, v[9:12]
                                        ; implicit-def: $vgpr5
.LBB30_15:
	s_andn2_saveexec_b32 s2, s2
	s_cbranch_execz .LBB30_17
; %bb.16:
	global_load_dwordx4 v[9:12], v[3:4], off
	s_waitcnt vmcnt(0)
	ds_write2_b64 v5, v[9:10], v[11:12] offset1:1
.LBB30_17:
	s_or_b32 exec_lo, exec_lo, s2
	v_add_nc_u32_e32 v6, 8, v13
	v_mul_u32_u24_e32 v5, 0x210, v13
	v_cmp_le_i32_e64 s2, s14, v6
	s_and_saveexec_b32 s3, s2
	s_xor_b32 s2, exec_lo, s3
	s_cbranch_execz .LBB30_19
; %bb.18:
	v_mov_b32_e32 v9, 0
	v_add_nc_u32_e32 v6, v5, v14
	v_mov_b32_e32 v10, v9
	v_mov_b32_e32 v11, v9
	;; [unrolled: 1-line block ×3, first 2 shown]
	ds_write_b128 v6, v[9:12] offset:4224
.LBB30_19:
	s_andn2_saveexec_b32 s3, s2
	s_cbranch_execz .LBB30_21
; %bb.20:
	s_lshl_b32 s20, s16, 3
	v_add3_u32 v6, v5, v14, 0x1080
	s_ashr_i32 s21, s20, 31
	s_lshl_b64 s[20:21], s[20:21], 4
	v_add_co_u32 v9, s2, v3, s20
	v_add_co_ci_u32_e64 v10, null, s21, v4, s2
	global_load_dwordx4 v[9:12], v[9:10], off
	s_waitcnt vmcnt(0)
	ds_write2_b64 v6, v[9:10], v[11:12] offset1:1
.LBB30_21:
	s_or_b32 exec_lo, exec_lo, s3
	v_add_nc_u32_e32 v6, 16, v13
	v_cmp_le_i32_e64 s2, s14, v6
	s_and_saveexec_b32 s3, s2
	s_xor_b32 s2, exec_lo, s3
	s_cbranch_execz .LBB30_23
; %bb.22:
	v_mov_b32_e32 v9, 0
	v_add_nc_u32_e32 v6, v5, v14
	v_mov_b32_e32 v10, v9
	v_mov_b32_e32 v11, v9
	;; [unrolled: 1-line block ×3, first 2 shown]
	ds_write_b128 v6, v[9:12] offset:8448
.LBB30_23:
	s_andn2_saveexec_b32 s3, s2
	s_cbranch_execz .LBB30_25
; %bb.24:
	s_lshl_b32 s20, s16, 4
	v_add3_u32 v6, v5, v14, 0x2100
	s_ashr_i32 s21, s20, 31
	s_lshl_b64 s[20:21], s[20:21], 4
	v_add_co_u32 v9, s2, v3, s20
	v_add_co_ci_u32_e64 v10, null, s21, v4, s2
	global_load_dwordx4 v[9:12], v[9:10], off
	s_waitcnt vmcnt(0)
	ds_write2_b64 v6, v[9:10], v[11:12] offset1:1
.LBB30_25:
	s_or_b32 exec_lo, exec_lo, s3
	v_add_nc_u32_e32 v6, 24, v13
	v_cmp_le_i32_e64 s2, s14, v6
	s_and_saveexec_b32 s3, s2
	s_xor_b32 s2, exec_lo, s3
	s_cbranch_execz .LBB30_27
; %bb.26:
	v_mov_b32_e32 v9, 0
	v_add_nc_u32_e32 v5, v5, v14
	v_mov_b32_e32 v10, v9
	v_mov_b32_e32 v11, v9
	;; [unrolled: 1-line block ×3, first 2 shown]
	ds_write_b128 v5, v[9:12] offset:12672
                                        ; implicit-def: $vgpr5
.LBB30_27:
	s_andn2_saveexec_b32 s3, s2
	s_cbranch_execz .LBB30_29
; %bb.28:
	s_mul_i32 s20, s16, 24
	v_add3_u32 v5, v5, v14, 0x3180
	s_ashr_i32 s21, s20, 31
	s_lshl_b64 s[20:21], s[20:21], 4
	v_add_co_u32 v9, s2, v3, s20
	v_add_co_ci_u32_e64 v10, null, s21, v4, s2
	global_load_dwordx4 v[9:12], v[9:10], off
	s_waitcnt vmcnt(0)
	ds_write2_b64 v5, v[9:10], v[11:12] offset1:1
.LBB30_29:
	s_or_b32 exec_lo, exec_lo, s3
	v_add_co_u32 v3, s2, v3, v14
	v_add_co_ci_u32_e64 v4, null, 0, v4, s2
	v_sub_co_u32 v3, s2, v3, s8
	v_subrev_co_ci_u32_e64 v4, null, s9, v4, s2
	v_add_co_u32 v3, s2, v3, 16
	v_add_co_ci_u32_e64 v4, null, 0, v4, s2
	v_cndmask_b32_e32 v7, v3, v7, vcc_lo
	v_cndmask_b32_e32 v8, v4, v8, vcc_lo
.LBB30_30:
	v_lshlrev_b32_e32 v15, 2, v13
	v_mul_u32_u24_e32 v16, 0x210, v1
	s_mov_b32 s2, 0
	s_waitcnt lgkmcnt(0)
	s_barrier
	v_cmp_ge_u32_e64 s3, v15, v1
	buffer_gl0_inv
                                        ; implicit-def: $vgpr11
	s_and_saveexec_b32 s8, s3
	s_xor_b32 s8, exec_lo, s8
	s_cbranch_execz .LBB30_34
; %bb.31:
	s_mov_b32 s9, exec_lo
                                        ; implicit-def: $vgpr11
	v_cmpx_eq_u32_e64 v15, v1
	s_xor_b32 s9, exec_lo, s9
; %bb.32:
	v_add_nc_u32_e32 v11, v14, v16
	s_mov_b32 s2, exec_lo
; %bb.33:
	s_or_b32 exec_lo, exec_lo, s9
	s_and_b32 s2, s2, exec_lo
.LBB30_34:
	s_or_saveexec_b32 s8, s8
	v_mov_b32_e32 v5, 0
	v_lshl_or_b32 v9, v1, 9, v14
	v_mov_b32_e32 v6, 0
	v_mad_u32_u24 v10, 0x840, v13, v14
	s_xor_b32 exec_lo, exec_lo, s8
	s_cbranch_execz .LBB30_36
; %bb.35:
	ds_read_b128 v[3:6], v10
	v_lshl_add_u32 v11, v15, 4, v9
	s_or_b32 s2, s2, exec_lo
	s_waitcnt lgkmcnt(0)
	v_xor_b32_e32 v6, 0x80000000, v6
	ds_write_b64 v11, v[3:4]
.LBB30_36:
	s_or_b32 exec_lo, exec_lo, s8
	s_and_saveexec_b32 s8, s2
; %bb.37:
	ds_write_b64 v11, v[5:6] offset:8
; %bb.38:
	s_or_b32 exec_lo, exec_lo, s8
	v_or_b32_e32 v18, 1, v15
	s_mov_b32 s2, 0
                                        ; implicit-def: $vgpr12
	v_cmp_ge_u32_e64 s8, v18, v1
	s_and_saveexec_b32 s9, s8
	s_xor_b32 s9, exec_lo, s9
	s_cbranch_execz .LBB30_42
; %bb.39:
	s_mov_b32 s10, exec_lo
                                        ; implicit-def: $vgpr12
	v_cmpx_eq_u32_e64 v18, v1
; %bb.40:
	v_add_nc_u32_e32 v12, v14, v16
	s_mov_b32 s2, exec_lo
; %bb.41:
	s_or_b32 exec_lo, exec_lo, s10
	s_and_b32 s2, s2, exec_lo
.LBB30_42:
	s_or_saveexec_b32 s9, s9
	v_mov_b32_e32 v5, 0
	v_mov_b32_e32 v6, 0
	v_mad_u32_u24 v11, 0x210, v18, v14
	s_xor_b32 exec_lo, exec_lo, s9
	s_cbranch_execz .LBB30_44
; %bb.43:
	ds_read_b128 v[3:6], v11
	v_lshl_add_u32 v17, v15, 4, v9
	s_or_b32 s2, s2, exec_lo
	v_add_nc_u32_e32 v12, 16, v17
	s_waitcnt lgkmcnt(0)
	v_xor_b32_e32 v6, 0x80000000, v6
	ds_write_b64 v17, v[3:4] offset:16
.LBB30_44:
	s_or_b32 exec_lo, exec_lo, s9
	s_and_saveexec_b32 s9, s2
; %bb.45:
	ds_write_b64 v12, v[5:6] offset:8
; %bb.46:
	s_or_b32 exec_lo, exec_lo, s9
	v_or_b32_e32 v19, 2, v15
	s_mov_b32 s2, 0
                                        ; implicit-def: $vgpr12
	v_cmp_ge_u32_e64 s9, v19, v1
	s_and_saveexec_b32 s10, s9
	s_xor_b32 s10, exec_lo, s10
	s_cbranch_execz .LBB30_50
; %bb.47:
	s_mov_b32 s15, exec_lo
                                        ; implicit-def: $vgpr12
	v_cmpx_eq_u32_e64 v19, v1
; %bb.48:
	v_add_nc_u32_e32 v12, v14, v16
	s_mov_b32 s2, exec_lo
; %bb.49:
	s_or_b32 exec_lo, exec_lo, s15
	s_and_b32 s2, s2, exec_lo
.LBB30_50:
	s_or_saveexec_b32 s10, s10
	v_mov_b32_e32 v5, 0
	v_mov_b32_e32 v6, 0
	s_xor_b32 exec_lo, exec_lo, s10
	s_cbranch_execz .LBB30_52
; %bb.51:
	v_mad_u32_u24 v3, 0x210, v19, v14
	v_lshl_add_u32 v17, v15, 4, v9
	s_or_b32 s2, s2, exec_lo
	ds_read_b128 v[3:6], v3
	v_add_nc_u32_e32 v12, 32, v17
	s_waitcnt lgkmcnt(0)
	v_xor_b32_e32 v6, 0x80000000, v6
	ds_write_b64 v17, v[3:4] offset:32
.LBB30_52:
	s_or_b32 exec_lo, exec_lo, s10
	s_and_saveexec_b32 s10, s2
; %bb.53:
	ds_write_b64 v12, v[5:6] offset:8
; %bb.54:
	s_or_b32 exec_lo, exec_lo, s10
	v_or_b32_e32 v20, 3, v15
	s_mov_b32 s2, 0
                                        ; implicit-def: $vgpr12
	v_cmp_ge_u32_e64 s10, v20, v1
	s_and_saveexec_b32 s15, s10
	s_xor_b32 s15, exec_lo, s15
	s_cbranch_execz .LBB30_58
; %bb.55:
	s_mov_b32 s17, exec_lo
                                        ; implicit-def: $vgpr12
	v_cmpx_eq_u32_e64 v20, v1
; %bb.56:
	v_add_nc_u32_e32 v12, v14, v16
	s_mov_b32 s2, exec_lo
; %bb.57:
	s_or_b32 exec_lo, exec_lo, s17
	s_and_b32 s2, s2, exec_lo
                                        ; implicit-def: $vgpr9
.LBB30_58:
	s_or_saveexec_b32 s15, s15
	v_mov_b32_e32 v5, 0
	v_mov_b32_e32 v6, 0
	s_xor_b32 exec_lo, exec_lo, s15
	s_cbranch_execz .LBB30_60
; %bb.59:
	v_mad_u32_u24 v3, 0x210, v20, v14
	v_lshl_add_u32 v9, v15, 4, v9
	s_or_b32 s2, s2, exec_lo
	ds_read_b128 v[3:6], v3
	v_add_nc_u32_e32 v12, 48, v9
	s_waitcnt lgkmcnt(0)
	v_xor_b32_e32 v6, 0x80000000, v6
	ds_write_b64 v9, v[3:4] offset:48
.LBB30_60:
	s_or_b32 exec_lo, exec_lo, s15
	s_and_saveexec_b32 s15, s2
; %bb.61:
	ds_write_b64 v12, v[5:6] offset:8
; %bb.62:
	s_or_b32 exec_lo, exec_lo, s15
	v_lshlrev_b32_e32 v9, 4, v15
	s_waitcnt lgkmcnt(0)
	s_barrier
	buffer_gl0_inv
	ds_read_b128 v[3:6], v10
	ds_read_b128 v[21:24], v9 offset:18176
	ds_read_b128 v[25:28], v11
	ds_read_b128 v[29:32], v11 offset:1056
	ds_read_b128 v[33:36], v9 offset:18192
	;; [unrolled: 1-line block ×4, first 2 shown]
	v_cmp_gt_u32_e64 s2, 32, v45
	s_waitcnt lgkmcnt(5)
	v_mul_f64 v[37:38], v[23:24], v[5:6]
	v_mul_f64 v[5:6], v[21:22], v[5:6]
	s_waitcnt lgkmcnt(2)
	v_mul_f64 v[10:11], v[35:36], v[27:28]
	v_mul_f64 v[27:28], v[33:34], v[27:28]
	s_waitcnt lgkmcnt(0)
	v_mul_f64 v[43:44], v[50:51], v[48:49]
	v_fma_f64 v[21:22], v[21:22], v[3:4], -v[37:38]
	v_fma_f64 v[23:24], v[23:24], v[3:4], v[5:6]
	v_mul_f64 v[37:38], v[52:53], v[48:49]
	v_fma_f64 v[10:11], v[33:34], v[25:26], -v[10:11]
	v_fma_f64 v[25:26], v[35:36], v[25:26], v[27:28]
	ds_read_b128 v[3:6], v9 offset:18224
	v_fma_f64 v[35:36], v[52:53], v[46:47], v[43:44]
	s_waitcnt lgkmcnt(0)
	s_barrier
	buffer_gl0_inv
	v_add_f64 v[21:22], v[21:22], 0
	v_add_f64 v[23:24], v[23:24], 0
	v_fma_f64 v[33:34], v[50:51], v[46:47], -v[37:38]
	v_mul_f64 v[27:28], v[5:6], v[31:32]
	v_mul_f64 v[31:32], v[3:4], v[31:32]
	v_add_f64 v[10:11], v[21:22], v[10:11]
	v_add_f64 v[21:22], v[23:24], v[25:26]
	v_fma_f64 v[3:4], v[3:4], v[29:30], -v[27:28]
	v_fma_f64 v[5:6], v[5:6], v[29:30], v[31:32]
	v_add_f64 v[10:11], v[10:11], v[33:34]
	v_add_f64 v[23:24], v[21:22], v[35:36]
	;; [unrolled: 1-line block ×4, first 2 shown]
	v_mul_u32_u24_e32 v3, 33, v1
	v_mov_b32_e32 v5, 0
	v_mov_b32_e32 v6, 0
	v_lshlrev_b32_e32 v46, 4, v3
	v_mov_b32_e32 v3, 0
	v_mov_b32_e32 v4, 0
	v_lshl_add_u32 v47, v13, 4, v46
	ds_write_b128 v47, v[21:24]
	s_waitcnt lgkmcnt(0)
	s_barrier
	buffer_gl0_inv
	s_and_saveexec_b32 s15, s2
	s_cbranch_execz .LBB30_64
; %bb.63:
	ds_read_b128 v[3:6], v46
	ds_read_b128 v[21:24], v46 offset:16
	s_waitcnt lgkmcnt(0)
	v_add_f64 v[10:11], v[21:22], v[3:4]
	v_add_f64 v[25:26], v[23:24], v[5:6]
	ds_read_b128 v[3:6], v46 offset:32
	ds_read_b128 v[21:24], v46 offset:48
	s_waitcnt lgkmcnt(1)
	v_add_f64 v[3:4], v[10:11], v[3:4]
	v_add_f64 v[5:6], v[25:26], v[5:6]
	s_waitcnt lgkmcnt(0)
	v_add_f64 v[10:11], v[3:4], v[21:22]
	v_add_f64 v[25:26], v[5:6], v[23:24]
	ds_read_b128 v[3:6], v46 offset:64
	ds_read_b128 v[21:24], v46 offset:80
	s_waitcnt lgkmcnt(1)
	v_add_f64 v[3:4], v[10:11], v[3:4]
	v_add_f64 v[5:6], v[25:26], v[5:6]
	;; [unrolled: 8-line block ×3, first 2 shown]
	s_waitcnt lgkmcnt(0)
	v_add_f64 v[3:4], v[3:4], v[21:22]
	v_add_f64 v[5:6], v[5:6], v[23:24]
.LBB30_64:
	s_or_b32 exec_lo, exec_lo, s15
	s_lshl_b32 s20, s16, 5
	v_cndmask_b32_e64 v21, 0, 1, s11
	s_ashr_i32 s21, s20, 31
	s_lshl_b64 s[20:21], s[20:21], 4
	s_barrier
	v_add_co_u32 v7, vcc_lo, v7, s20
	v_add_co_ci_u32_e64 v8, null, s21, v8, vcc_lo
	buffer_gl0_inv
	v_add_co_u32 v11, vcc_lo, 0x200, v7
	v_add_co_ci_u32_e64 v12, null, 0, v8, vcc_lo
	s_andn2_b32 vcc_lo, exec_lo, s11
	s_mov_b32 s11, -1
	s_cbranch_vccnz .LBB30_66
; %bb.65:
	s_lshl_b32 s22, s16, 3
	s_ashr_i32 s17, s16, 31
	s_ashr_i32 s23, s22, 31
	v_mad_u32_u24 v10, 0x210, v13, v14
	s_lshl_b64 s[22:23], s[22:23], 4
	s_mov_b32 s11, 0
	v_add_co_u32 v26, vcc_lo, v7, s22
	v_add_co_ci_u32_e64 v27, null, s23, v8, vcc_lo
	s_lshl_b64 s[22:23], s[16:17], 7
	v_add_nc_u32_e32 v43, 0x3180, v10
	v_add_co_u32 v30, vcc_lo, v26, s22
	v_add_co_ci_u32_e64 v31, null, s23, v27, vcc_lo
	v_add_nc_u32_e32 v17, 0x1080, v10
	v_add_co_u32 v34, vcc_lo, v30, s22
	v_add_co_ci_u32_e64 v35, null, s23, v31, vcc_lo
	s_clause 0x3
	global_load_dwordx4 v[22:25], v[11:12], off
	global_load_dwordx4 v[26:29], v[26:27], off offset:512
	global_load_dwordx4 v[30:33], v[30:31], off offset:512
	;; [unrolled: 1-line block ×3, first 2 shown]
	v_add_nc_u32_e32 v38, 0x2100, v10
	s_waitcnt vmcnt(3)
	ds_write2_b64 v10, v[22:23], v[24:25] offset1:1
	s_waitcnt vmcnt(2)
	ds_write2_b64 v17, v[26:27], v[28:29] offset1:1
	;; [unrolled: 2-line block ×4, first 2 shown]
.LBB30_66:
	s_andn2_b32 vcc_lo, exec_lo, s11
	s_cbranch_vccnz .LBB30_84
; %bb.67:
	v_sub_co_u32 v7, vcc_lo, v7, v14
	s_ashr_i32 s15, s14, 31
	v_subrev_co_ci_u32_e64 v8, null, 0, v8, vcc_lo
	s_lshl_b64 s[22:23], s[14:15], 4
	v_or_b32_e32 v10, 32, v1
	v_add_co_u32 v7, vcc_lo, v7, s22
	v_add_co_ci_u32_e64 v8, null, s23, v8, vcc_lo
	s_sub_i32 s15, s14, 32
	v_add_co_u32 v7, vcc_lo, v7, -16
	v_add_co_ci_u32_e64 v8, null, -1, v8, vcc_lo
	v_cmp_gt_i32_e32 vcc_lo, s14, v10
	v_cmp_le_i32_e64 s11, s15, v13
	v_mad_u32_u24 v10, 0x210, v13, v14
	v_cndmask_b32_e32 v8, v8, v12, vcc_lo
	v_cndmask_b32_e32 v7, v7, v11, vcc_lo
	s_and_saveexec_b32 s17, s11
	s_xor_b32 s11, exec_lo, s17
	s_cbranch_execz .LBB30_69
; %bb.68:
	v_mov_b32_e32 v22, 0
	v_mov_b32_e32 v23, v22
	;; [unrolled: 1-line block ×4, first 2 shown]
	ds_write_b128 v10, v[22:25]
                                        ; implicit-def: $vgpr10
.LBB30_69:
	s_andn2_saveexec_b32 s11, s11
	s_cbranch_execz .LBB30_71
; %bb.70:
	global_load_dwordx4 v[22:25], v[7:8], off
	s_waitcnt vmcnt(0)
	ds_write2_b64 v10, v[22:23], v[24:25] offset1:1
.LBB30_71:
	s_or_b32 exec_lo, exec_lo, s11
	v_add_nc_u32_e32 v17, 8, v13
	v_mul_u32_u24_e32 v10, 0x210, v13
	v_cmp_le_i32_e64 s11, s15, v17
	s_and_saveexec_b32 s17, s11
	s_xor_b32 s11, exec_lo, s17
	s_cbranch_execz .LBB30_73
; %bb.72:
	v_mov_b32_e32 v22, 0
	v_add_nc_u32_e32 v17, v10, v14
	v_mov_b32_e32 v23, v22
	v_mov_b32_e32 v24, v22
	;; [unrolled: 1-line block ×3, first 2 shown]
	ds_write_b128 v17, v[22:25] offset:4224
.LBB30_73:
	s_andn2_saveexec_b32 s17, s11
	s_cbranch_execz .LBB30_75
; %bb.74:
	s_lshl_b32 s28, s16, 3
	v_add3_u32 v17, v10, v14, 0x1080
	s_ashr_i32 s29, s28, 31
	s_lshl_b64 s[28:29], s[28:29], 4
	v_add_co_u32 v22, s11, v7, s28
	v_add_co_ci_u32_e64 v23, null, s29, v8, s11
	global_load_dwordx4 v[22:25], v[22:23], off
	s_waitcnt vmcnt(0)
	ds_write2_b64 v17, v[22:23], v[24:25] offset1:1
.LBB30_75:
	s_or_b32 exec_lo, exec_lo, s17
	v_add_nc_u32_e32 v17, 16, v13
	v_cmp_le_i32_e64 s11, s15, v17
	s_and_saveexec_b32 s17, s11
	s_xor_b32 s11, exec_lo, s17
	s_cbranch_execz .LBB30_77
; %bb.76:
	v_mov_b32_e32 v22, 0
	v_add_nc_u32_e32 v17, v10, v14
	v_mov_b32_e32 v23, v22
	v_mov_b32_e32 v24, v22
	;; [unrolled: 1-line block ×3, first 2 shown]
	ds_write_b128 v17, v[22:25] offset:8448
.LBB30_77:
	s_andn2_saveexec_b32 s17, s11
	s_cbranch_execz .LBB30_79
; %bb.78:
	s_lshl_b32 s28, s16, 4
	v_add3_u32 v17, v10, v14, 0x2100
	s_ashr_i32 s29, s28, 31
	s_lshl_b64 s[28:29], s[28:29], 4
	v_add_co_u32 v22, s11, v7, s28
	v_add_co_ci_u32_e64 v23, null, s29, v8, s11
	global_load_dwordx4 v[22:25], v[22:23], off
	s_waitcnt vmcnt(0)
	ds_write2_b64 v17, v[22:23], v[24:25] offset1:1
.LBB30_79:
	s_or_b32 exec_lo, exec_lo, s17
	v_add_nc_u32_e32 v17, 24, v13
	v_cmp_le_i32_e64 s11, s15, v17
	s_and_saveexec_b32 s15, s11
	s_xor_b32 s11, exec_lo, s15
	s_cbranch_execz .LBB30_81
; %bb.80:
	v_mov_b32_e32 v22, 0
	v_add_nc_u32_e32 v10, v10, v14
	v_mov_b32_e32 v23, v22
	v_mov_b32_e32 v24, v22
	;; [unrolled: 1-line block ×3, first 2 shown]
	ds_write_b128 v10, v[22:25] offset:12672
                                        ; implicit-def: $vgpr10
.LBB30_81:
	s_andn2_saveexec_b32 s15, s11
	s_cbranch_execz .LBB30_83
; %bb.82:
	s_mul_i32 s28, s16, 24
	v_add3_u32 v10, v10, v14, 0x3180
	s_ashr_i32 s29, s28, 31
	s_lshl_b64 s[28:29], s[28:29], 4
	v_add_co_u32 v22, s11, v7, s28
	v_add_co_ci_u32_e64 v23, null, s29, v8, s11
	global_load_dwordx4 v[22:25], v[22:23], off
	s_waitcnt vmcnt(0)
	ds_write2_b64 v10, v[22:23], v[24:25] offset1:1
.LBB30_83:
	s_or_b32 exec_lo, exec_lo, s15
	v_add_co_u32 v7, s11, v7, v14
	v_add_co_ci_u32_e64 v8, null, 0, v8, s11
	v_sub_co_u32 v7, s11, v7, s22
	v_subrev_co_ci_u32_e64 v8, null, s23, v8, s11
	v_add_co_u32 v7, s11, 0x210, v7
	v_add_co_ci_u32_e64 v8, null, 0, v8, s11
	v_cndmask_b32_e32 v11, v7, v11, vcc_lo
	v_cndmask_b32_e32 v12, v8, v12, vcc_lo
.LBB30_84:
	v_mul_u32_u24_e32 v7, 0x840, v13
	v_add_nc_u32_e32 v17, 0x4700, v9
	v_mul_u32_u24_e32 v23, 0x210, v18
	s_mov_b32 s11, 0
	s_waitcnt lgkmcnt(0)
	s_barrier
	buffer_gl0_inv
                                        ; implicit-def: $vgpr24
	s_and_saveexec_b32 s15, s3
	s_xor_b32 s3, exec_lo, s15
	s_cbranch_execz .LBB30_88
; %bb.85:
	s_mov_b32 s15, exec_lo
                                        ; implicit-def: $vgpr24
	v_cmpx_eq_u32_e64 v15, v1
	s_xor_b32 s15, exec_lo, s15
; %bb.86:
	s_mov_b32 s11, exec_lo
	v_add_nc_u32_e32 v24, v14, v16
; %bb.87:
	s_or_b32 exec_lo, exec_lo, s15
	s_and_b32 s11, s11, exec_lo
.LBB30_88:
	s_or_saveexec_b32 s3, s3
	v_mov_b32_e32 v9, 0
	v_mov_b32_e32 v10, 0
	v_add_nc_u32_e32 v22, v14, v7
	s_xor_b32 exec_lo, exec_lo, s3
	s_cbranch_execz .LBB30_90
; %bb.89:
	ds_read_b128 v[7:10], v22
	v_lshl_add_u32 v24, v15, 4, v46
	s_or_b32 s11, s11, exec_lo
	s_waitcnt lgkmcnt(0)
	v_xor_b32_e32 v10, 0x80000000, v10
	ds_write_b64 v24, v[7:8]
.LBB30_90:
	s_or_b32 exec_lo, exec_lo, s3
	s_and_saveexec_b32 s3, s11
; %bb.91:
	ds_write_b64 v24, v[9:10] offset:8
; %bb.92:
	s_or_b32 exec_lo, exec_lo, s3
	s_mov_b32 s3, 0
                                        ; implicit-def: $vgpr24
	s_and_saveexec_b32 s11, s8
	s_xor_b32 s8, exec_lo, s11
	s_cbranch_execz .LBB30_96
; %bb.93:
	s_mov_b32 s11, exec_lo
                                        ; implicit-def: $vgpr24
	v_cmpx_eq_u32_e64 v18, v1
; %bb.94:
	v_add_nc_u32_e32 v24, v14, v16
	s_mov_b32 s3, exec_lo
; %bb.95:
	s_or_b32 exec_lo, exec_lo, s11
	s_and_b32 s3, s3, exec_lo
.LBB30_96:
	s_or_saveexec_b32 s8, s8
	v_mov_b32_e32 v9, 0
	v_mov_b32_e32 v10, 0
	v_add_nc_u32_e32 v18, v14, v23
	s_xor_b32 exec_lo, exec_lo, s8
	s_cbranch_execz .LBB30_98
; %bb.97:
	ds_read_b128 v[7:10], v18
	v_lshl_add_u32 v23, v15, 4, v46
	s_or_b32 s3, s3, exec_lo
	v_add_nc_u32_e32 v24, 16, v23
	s_waitcnt lgkmcnt(0)
	v_xor_b32_e32 v10, 0x80000000, v10
	ds_write_b64 v23, v[7:8] offset:16
.LBB30_98:
	s_or_b32 exec_lo, exec_lo, s8
	s_and_saveexec_b32 s8, s3
; %bb.99:
	ds_write_b64 v24, v[9:10] offset:8
; %bb.100:
	s_or_b32 exec_lo, exec_lo, s8
	s_mov_b32 s3, 0
                                        ; implicit-def: $vgpr23
	s_and_saveexec_b32 s8, s9
	s_xor_b32 s8, exec_lo, s8
	s_cbranch_execz .LBB30_104
; %bb.101:
	s_mov_b32 s9, exec_lo
                                        ; implicit-def: $vgpr23
	v_cmpx_eq_u32_e64 v19, v1
; %bb.102:
	v_add_nc_u32_e32 v23, v14, v16
	s_mov_b32 s3, exec_lo
; %bb.103:
	s_or_b32 exec_lo, exec_lo, s9
	s_and_b32 s3, s3, exec_lo
.LBB30_104:
	s_or_saveexec_b32 s8, s8
	v_mov_b32_e32 v9, 0
	v_mov_b32_e32 v10, 0
	s_xor_b32 exec_lo, exec_lo, s8
	s_cbranch_execz .LBB30_106
; %bb.105:
	ds_read_b128 v[7:10], v18 offset:528
	v_lshl_add_u32 v19, v15, 4, v46
	s_or_b32 s3, s3, exec_lo
	v_add_nc_u32_e32 v23, 32, v19
	s_waitcnt lgkmcnt(0)
	v_xor_b32_e32 v10, 0x80000000, v10
	ds_write_b64 v19, v[7:8] offset:32
.LBB30_106:
	s_or_b32 exec_lo, exec_lo, s8
	s_and_saveexec_b32 s8, s3
; %bb.107:
	ds_write_b64 v23, v[9:10] offset:8
; %bb.108:
	s_or_b32 exec_lo, exec_lo, s8
	s_mov_b32 s3, 0
                                        ; implicit-def: $vgpr19
	s_and_saveexec_b32 s8, s10
	s_xor_b32 s8, exec_lo, s8
	s_cbranch_execz .LBB30_112
; %bb.109:
	s_mov_b32 s9, exec_lo
                                        ; implicit-def: $vgpr19
	v_cmpx_eq_u32_e64 v20, v1
; %bb.110:
	v_add_nc_u32_e32 v19, v14, v16
	s_mov_b32 s3, exec_lo
; %bb.111:
	s_or_b32 exec_lo, exec_lo, s9
	s_and_b32 s3, s3, exec_lo
.LBB30_112:
	s_or_saveexec_b32 s8, s8
	v_mov_b32_e32 v9, 0
	v_mov_b32_e32 v10, 0
	s_xor_b32 exec_lo, exec_lo, s8
	s_cbranch_execz .LBB30_114
; %bb.113:
	ds_read_b128 v[7:10], v18 offset:1056
	v_lshl_add_u32 v16, v15, 4, v46
	s_or_b32 s3, s3, exec_lo
	v_add_nc_u32_e32 v19, 48, v16
	s_waitcnt lgkmcnt(0)
	v_xor_b32_e32 v10, 0x80000000, v10
	ds_write_b64 v16, v[7:8] offset:48
.LBB30_114:
	s_or_b32 exec_lo, exec_lo, s8
	s_and_saveexec_b32 s8, s3
; %bb.115:
	ds_write_b64 v19, v[9:10] offset:8
; %bb.116:
	s_or_b32 exec_lo, exec_lo, s8
	s_waitcnt lgkmcnt(0)
	s_barrier
	buffer_gl0_inv
	ds_read_b128 v[7:10], v22
	ds_read_b128 v[22:25], v17 offset:512
	ds_read_b128 v[26:29], v17 offset:528
	ds_read_b128 v[30:33], v18
	ds_read_b128 v[34:37], v18 offset:1056
	ds_read_b128 v[48:51], v17 offset:544
	;; [unrolled: 1-line block ×3, first 2 shown]
	v_cmp_eq_u32_e64 s3, 1, v13
	s_waitcnt lgkmcnt(5)
	v_mul_f64 v[19:20], v[24:25], v[9:10]
	v_mul_f64 v[9:10], v[22:23], v[9:10]
	s_waitcnt lgkmcnt(3)
	v_mul_f64 v[43:44], v[28:29], v[32:33]
	v_mul_f64 v[32:33], v[26:27], v[32:33]
	v_fma_f64 v[18:19], v[22:23], v[7:8], -v[19:20]
	v_fma_f64 v[22:23], v[24:25], v[7:8], v[9:10]
	s_waitcnt lgkmcnt(0)
	v_mul_f64 v[24:25], v[50:51], v[54:55]
	v_mul_f64 v[54:55], v[48:49], v[54:55]
	v_fma_f64 v[26:27], v[26:27], v[30:31], -v[43:44]
	v_fma_f64 v[28:29], v[28:29], v[30:31], v[32:33]
	ds_read_b128 v[7:10], v17 offset:560
	s_waitcnt lgkmcnt(0)
	s_barrier
	buffer_gl0_inv
	v_add_f64 v[18:19], v[18:19], 0
	v_add_f64 v[22:23], v[22:23], 0
	v_fma_f64 v[24:25], v[48:49], v[52:53], -v[24:25]
	v_mul_f64 v[30:31], v[9:10], v[36:37]
	v_mul_f64 v[32:33], v[7:8], v[36:37]
	v_fma_f64 v[36:37], v[50:51], v[52:53], v[54:55]
	v_add_f64 v[18:19], v[18:19], v[26:27]
	v_add_f64 v[22:23], v[22:23], v[28:29]
	v_fma_f64 v[7:8], v[7:8], v[34:35], -v[30:31]
	v_fma_f64 v[9:10], v[9:10], v[34:35], v[32:33]
	v_add_f64 v[18:19], v[18:19], v[24:25]
	v_add_f64 v[22:23], v[22:23], v[36:37]
	;; [unrolled: 1-line block ×4, first 2 shown]
	ds_write_b128 v47, v[7:10]
	s_waitcnt lgkmcnt(0)
	s_barrier
	buffer_gl0_inv
	s_and_saveexec_b32 s8, s3
	s_cbranch_execz .LBB30_118
; %bb.117:
	ds_read_b128 v[3:6], v46
	ds_read_b128 v[7:10], v46 offset:16
	s_waitcnt lgkmcnt(0)
	v_add_f64 v[18:19], v[7:8], v[3:4]
	v_add_f64 v[22:23], v[9:10], v[5:6]
	ds_read_b128 v[3:6], v46 offset:32
	ds_read_b128 v[7:10], v46 offset:48
	s_waitcnt lgkmcnt(1)
	v_add_f64 v[3:4], v[18:19], v[3:4]
	v_add_f64 v[5:6], v[22:23], v[5:6]
	s_waitcnt lgkmcnt(0)
	v_add_f64 v[18:19], v[3:4], v[7:8]
	v_add_f64 v[22:23], v[5:6], v[9:10]
	ds_read_b128 v[3:6], v46 offset:64
	ds_read_b128 v[7:10], v46 offset:80
	s_waitcnt lgkmcnt(1)
	v_add_f64 v[3:4], v[18:19], v[3:4]
	v_add_f64 v[5:6], v[22:23], v[5:6]
	;; [unrolled: 8-line block ×3, first 2 shown]
	s_waitcnt lgkmcnt(0)
	v_add_f64 v[3:4], v[3:4], v[7:8]
	v_add_f64 v[5:6], v[5:6], v[9:10]
.LBB30_118:
	s_or_b32 exec_lo, exec_lo, s8
	v_cmp_ne_u32_e32 vcc_lo, 1, v21
	v_sub_co_u32 v43, s8, v11, s20
	v_subrev_co_ci_u32_e64 v44, null, s21, v12, s8
	s_barrier
	buffer_gl0_inv
	s_cbranch_vccnz .LBB30_120
; %bb.119:
	s_lshl_b32 s8, s16, 3
	s_ashr_i32 s17, s16, 31
	s_ashr_i32 s9, s8, 31
	global_load_dwordx4 v[18:21], v[43:44], off
	s_lshl_b64 s[8:9], s[8:9], 4
	v_add_co_u32 v7, vcc_lo, v43, s8
	v_add_co_ci_u32_e64 v8, null, s9, v44, vcc_lo
	s_lshl_b64 s[8:9], s[16:17], 7
	v_add_co_u32 v9, vcc_lo, v7, s8
	v_add_co_ci_u32_e64 v10, null, s9, v8, vcc_lo
	v_add_co_u32 v11, vcc_lo, v9, s8
	v_add_co_ci_u32_e64 v12, null, s9, v10, vcc_lo
	s_clause 0x2
	global_load_dwordx4 v[22:25], v[7:8], off
	global_load_dwordx4 v[26:29], v[9:10], off
	;; [unrolled: 1-line block ×3, first 2 shown]
	s_movk_i32 s8, 0x1080
	s_movk_i32 s9, 0x2100
	v_mad_u32_u24 v8, 0x210, v13, s8
	s_movk_i32 s8, 0x3180
	v_mad_u32_u24 v9, 0x210, v13, v14
	v_mad_u32_u24 v16, 0x210, v13, s8
	;; [unrolled: 1-line block ×3, first 2 shown]
	v_mul_u32_u24_e32 v11, 0x210, v13
	v_add_nc_u32_e32 v10, 8, v13
	v_add_nc_u32_e32 v12, 24, v13
	s_waitcnt vmcnt(3)
	ds_write2_b64 v9, v[18:19], v[20:21] offset1:1
	v_add_nc_u32_e32 v18, v14, v8
	v_add_nc_u32_e32 v9, 16, v13
	;; [unrolled: 1-line block ×4, first 2 shown]
	s_waitcnt vmcnt(2)
	ds_write2_b64 v18, v[22:23], v[24:25] offset1:1
	s_waitcnt vmcnt(1)
	ds_write2_b64 v19, v[26:27], v[28:29] offset1:1
	;; [unrolled: 2-line block ×3, first 2 shown]
	s_cbranch_execz .LBB30_121
	s_branch .LBB30_138
.LBB30_120:
                                        ; implicit-def: $vgpr11
                                        ; implicit-def: $vgpr10
                                        ; implicit-def: $vgpr8
                                        ; implicit-def: $vgpr9
                                        ; implicit-def: $vgpr7
                                        ; implicit-def: $vgpr12
                                        ; implicit-def: $vgpr16
.LBB30_121:
	v_sub_co_u32 v7, vcc_lo, v43, v14
	s_ashr_i32 s15, s14, 31
	v_subrev_co_ci_u32_e64 v8, null, 0, v44, vcc_lo
	s_lshl_b64 s[10:11], s[14:15], 4
	v_or_b32_e32 v1, 32, v1
	v_add_co_u32 v7, vcc_lo, v7, s10
	v_add_co_ci_u32_e64 v8, null, s11, v8, vcc_lo
	v_cmp_le_i32_e64 s8, s14, v13
	v_add_co_u32 v7, vcc_lo, 0xfffffdf0, v7
	v_add_co_ci_u32_e64 v8, null, -1, v8, vcc_lo
	v_cmp_gt_i32_e32 vcc_lo, s14, v1
	v_mad_u32_u24 v1, 0x210, v13, v14
	v_cndmask_b32_e32 v8, v8, v44, vcc_lo
	v_cndmask_b32_e32 v7, v7, v43, vcc_lo
	s_and_saveexec_b32 s9, s8
	s_xor_b32 s8, exec_lo, s9
	s_cbranch_execz .LBB30_123
; %bb.122:
	v_mov_b32_e32 v9, 0
	v_mov_b32_e32 v10, v9
	;; [unrolled: 1-line block ×4, first 2 shown]
	ds_write_b128 v1, v[9:12]
                                        ; implicit-def: $vgpr1
.LBB30_123:
	s_andn2_saveexec_b32 s8, s8
	s_cbranch_execz .LBB30_125
; %bb.124:
	global_load_dwordx4 v[9:12], v[7:8], off
	s_waitcnt vmcnt(0)
	ds_write2_b64 v1, v[9:10], v[11:12] offset1:1
.LBB30_125:
	s_or_b32 exec_lo, exec_lo, s8
	v_add_nc_u32_e32 v10, 8, v13
	v_mul_u32_u24_e32 v11, 0x210, v13
	v_cmp_le_i32_e64 s8, s14, v10
	s_and_saveexec_b32 s9, s8
	s_xor_b32 s8, exec_lo, s9
	s_cbranch_execz .LBB30_127
; %bb.126:
	v_mov_b32_e32 v18, 0
	v_add_nc_u32_e32 v1, v11, v14
	v_mov_b32_e32 v19, v18
	v_mov_b32_e32 v20, v18
	;; [unrolled: 1-line block ×3, first 2 shown]
	ds_write_b128 v1, v[18:21] offset:4224
.LBB30_127:
	s_andn2_saveexec_b32 s9, s8
	s_cbranch_execz .LBB30_129
; %bb.128:
	s_lshl_b32 s20, s16, 3
	v_add3_u32 v1, v11, v14, 0x1080
	s_ashr_i32 s21, s20, 31
	s_lshl_b64 s[20:21], s[20:21], 4
	v_add_co_u32 v18, s8, v7, s20
	v_add_co_ci_u32_e64 v19, null, s21, v8, s8
	global_load_dwordx4 v[18:21], v[18:19], off
	s_waitcnt vmcnt(0)
	ds_write2_b64 v1, v[18:19], v[20:21] offset1:1
.LBB30_129:
	s_or_b32 exec_lo, exec_lo, s9
	v_add_nc_u32_e32 v9, 16, v13
	v_cmp_le_i32_e64 s8, s14, v9
	s_and_saveexec_b32 s9, s8
	s_xor_b32 s8, exec_lo, s9
	s_cbranch_execz .LBB30_131
; %bb.130:
	v_mov_b32_e32 v18, 0
	v_add_nc_u32_e32 v1, v11, v14
	v_mov_b32_e32 v19, v18
	v_mov_b32_e32 v20, v18
	;; [unrolled: 1-line block ×3, first 2 shown]
	ds_write_b128 v1, v[18:21] offset:8448
.LBB30_131:
	s_andn2_saveexec_b32 s9, s8
	s_cbranch_execz .LBB30_133
; %bb.132:
	s_lshl_b32 s20, s16, 4
	v_add3_u32 v1, v11, v14, 0x2100
	s_ashr_i32 s21, s20, 31
	s_lshl_b64 s[20:21], s[20:21], 4
	v_add_co_u32 v18, s8, v7, s20
	v_add_co_ci_u32_e64 v19, null, s21, v8, s8
	global_load_dwordx4 v[18:21], v[18:19], off
	s_waitcnt vmcnt(0)
	ds_write2_b64 v1, v[18:19], v[20:21] offset1:1
.LBB30_133:
	s_or_b32 exec_lo, exec_lo, s9
	v_add_nc_u32_e32 v12, 24, v13
                                        ; implicit-def: $vgpr16
	v_cmp_le_i32_e64 s8, s14, v12
	s_and_saveexec_b32 s9, s8
	s_xor_b32 s8, exec_lo, s9
	s_cbranch_execz .LBB30_135
; %bb.134:
	v_add_nc_u32_e32 v16, 0x3180, v11
	v_mov_b32_e32 v18, 0
	v_add_nc_u32_e32 v1, v14, v16
	v_mov_b32_e32 v19, v18
	v_mov_b32_e32 v20, v18
	;; [unrolled: 1-line block ×3, first 2 shown]
	ds_write_b128 v1, v[18:21]
.LBB30_135:
	s_andn2_saveexec_b32 s9, s8
	s_cbranch_execz .LBB30_137
; %bb.136:
	s_mul_i32 s20, s16, 24
	v_add_nc_u32_e32 v16, 0x3180, v11
	s_ashr_i32 s21, s20, 31
	s_lshl_b64 s[20:21], s[20:21], 4
	v_add_nc_u32_e32 v1, v14, v16
	v_add_co_u32 v18, s8, v7, s20
	v_add_co_ci_u32_e64 v19, null, s21, v8, s8
	global_load_dwordx4 v[18:21], v[18:19], off
	s_waitcnt vmcnt(0)
	ds_write2_b64 v1, v[18:19], v[20:21] offset1:1
.LBB30_137:
	s_or_b32 exec_lo, exec_lo, s9
	v_add_co_u32 v1, s8, v7, v14
	v_add_co_ci_u32_e64 v7, null, 0, v8, s8
	v_add_nc_u32_e32 v8, 0x1080, v11
	v_sub_co_u32 v1, s8, v1, s10
	v_subrev_co_ci_u32_e64 v7, null, s11, v7, s8
	v_add_co_u32 v1, s8, 0x210, v1
	v_add_co_ci_u32_e64 v7, null, 0, v7, s8
	v_cndmask_b32_e32 v43, v1, v43, vcc_lo
	v_cndmask_b32_e32 v44, v7, v44, vcc_lo
	v_add_nc_u32_e32 v7, 0x2100, v11
.LBB30_138:
	v_lshlrev_b32_e32 v1, 4, v13
	v_add_nc_u32_e32 v11, v14, v11
	s_waitcnt lgkmcnt(0)
	s_barrier
	buffer_gl0_inv
	ds_read_b128 v[18:21], v1 offset:18176
	ds_read_b128 v[22:25], v11
	v_lshlrev_b32_e32 v1, 4, v10
	v_add_nc_u32_e32 v8, v14, v8
	v_add_nc_u32_e32 v11, v14, v7
	;; [unrolled: 1-line block ×3, first 2 shown]
	ds_read_b128 v[26:29], v1 offset:18176
	ds_read_b128 v[30:33], v8
	v_lshlrev_b32_e32 v1, 4, v9
	ds_read_b128 v[7:10], v1 offset:18176
	ds_read_b128 v[34:37], v11
	v_lshlrev_b32_e32 v1, 4, v12
	s_waitcnt lgkmcnt(4)
	v_mul_f64 v[48:49], v[20:21], v[24:25]
	v_mul_f64 v[24:25], v[18:19], v[24:25]
	s_waitcnt lgkmcnt(2)
	v_mul_f64 v[50:51], v[28:29], v[32:33]
	v_mul_f64 v[32:33], v[26:27], v[32:33]
	v_fma_f64 v[48:49], v[18:19], v[22:23], -v[48:49]
	v_fma_f64 v[22:23], v[20:21], v[22:23], v[24:25]
	s_waitcnt lgkmcnt(0)
	v_mul_f64 v[24:25], v[9:10], v[36:37]
	v_mul_f64 v[36:37], v[7:8], v[36:37]
	ds_read_b128 v[11:14], v1 offset:18176
	ds_read2_b64 v[18:21], v16 offset1:1
	v_lshl_add_u32 v1, v15, 4, v46
	v_fma_f64 v[26:27], v[26:27], v[30:31], -v[50:51]
	v_fma_f64 v[28:29], v[28:29], v[30:31], v[32:33]
	v_add_f64 v[30:31], v[48:49], 0
	v_add_f64 v[22:23], v[22:23], 0
	s_waitcnt lgkmcnt(0)
	v_mul_f64 v[32:33], v[13:14], v[20:21]
	v_mul_f64 v[20:21], v[11:12], v[20:21]
	v_fma_f64 v[7:8], v[7:8], v[34:35], -v[24:25]
	v_fma_f64 v[9:10], v[9:10], v[34:35], v[36:37]
	v_add_f64 v[24:25], v[30:31], v[26:27]
	v_add_f64 v[22:23], v[22:23], v[28:29]
	v_fma_f64 v[11:12], v[11:12], v[18:19], -v[32:33]
	v_fma_f64 v[13:14], v[13:14], v[18:19], v[20:21]
	v_add_f64 v[7:8], v[24:25], v[7:8]
	v_add_f64 v[9:10], v[22:23], v[9:10]
	ds_read_b128 v[31:34], v17 offset:512
	ds_read_b128 v[23:26], v17 offset:528
	v_add_f64 v[48:49], v[7:8], v[11:12]
	v_add_f64 v[50:51], v[9:10], v[13:14]
	ds_read_b128 v[11:14], v17 offset:544
	ds_read_b128 v[7:10], v17 offset:560
	ds_read_b128 v[35:38], v1
	ds_read_b128 v[27:30], v1 offset:16
	ds_read_b128 v[19:22], v1 offset:32
	;; [unrolled: 1-line block ×3, first 2 shown]
	s_waitcnt lgkmcnt(0)
	s_barrier
	buffer_gl0_inv
	ds_write_b128 v47, v[48:51]
	s_waitcnt lgkmcnt(0)
	s_barrier
	buffer_gl0_inv
	s_and_saveexec_b32 s8, s3
	s_cbranch_execz .LBB30_140
; %bb.139:
	ds_read_b128 v[48:51], v46
	ds_read_b128 v[52:55], v46 offset:16
	s_waitcnt lgkmcnt(1)
	v_add_f64 v[3:4], v[3:4], v[48:49]
	v_add_f64 v[5:6], v[5:6], v[50:51]
	s_waitcnt lgkmcnt(0)
	v_add_f64 v[52:53], v[3:4], v[52:53]
	v_add_f64 v[54:55], v[5:6], v[54:55]
	ds_read_b128 v[3:6], v46 offset:32
	ds_read_b128 v[48:51], v46 offset:48
	s_waitcnt lgkmcnt(1)
	v_add_f64 v[3:4], v[52:53], v[3:4]
	v_add_f64 v[5:6], v[54:55], v[5:6]
	s_waitcnt lgkmcnt(0)
	v_add_f64 v[52:53], v[3:4], v[48:49]
	v_add_f64 v[54:55], v[5:6], v[50:51]
	ds_read_b128 v[3:6], v46 offset:64
	;; [unrolled: 8-line block ×3, first 2 shown]
	ds_read_b128 v[48:51], v46 offset:112
	s_waitcnt lgkmcnt(1)
	v_add_f64 v[3:4], v[52:53], v[3:4]
	v_add_f64 v[5:6], v[54:55], v[5:6]
	s_waitcnt lgkmcnt(0)
	v_add_f64 v[3:4], v[3:4], v[48:49]
	v_add_f64 v[5:6], v[5:6], v[50:51]
.LBB30_140:
	s_or_b32 exec_lo, exec_lo, s8
	v_mul_f64 v[48:49], v[37:38], v[33:34]
	v_mul_f64 v[37:38], v[37:38], v[31:32]
	;; [unrolled: 1-line block ×4, first 2 shown]
	s_barrier
	buffer_gl0_inv
	v_fma_f64 v[31:32], v[35:36], v[31:32], v[48:49]
	v_fma_f64 v[33:34], v[35:36], v[33:34], -v[37:38]
	v_mul_f64 v[35:36], v[21:22], v[13:14]
	v_mul_f64 v[21:22], v[21:22], v[11:12]
	v_fma_f64 v[23:24], v[27:28], v[23:24], v[50:51]
	v_fma_f64 v[25:26], v[27:28], v[25:26], -v[29:30]
	v_add_f64 v[27:28], v[31:32], 0
	v_add_f64 v[29:30], v[33:34], 0
	v_mul_f64 v[31:32], v[17:18], v[9:10]
	v_mul_f64 v[17:18], v[17:18], v[7:8]
	v_fma_f64 v[11:12], v[19:20], v[11:12], v[35:36]
	v_fma_f64 v[13:14], v[19:20], v[13:14], -v[21:22]
	v_add_f64 v[19:20], v[27:28], v[23:24]
	v_add_f64 v[21:22], v[29:30], v[25:26]
	v_fma_f64 v[7:8], v[15:16], v[7:8], v[31:32]
	v_fma_f64 v[9:10], v[15:16], v[9:10], -v[17:18]
	v_add_f64 v[11:12], v[19:20], v[11:12]
	v_add_f64 v[13:14], v[21:22], v[13:14]
	;; [unrolled: 1-line block ×4, first 2 shown]
	ds_write_b128 v47, v[7:10]
	s_waitcnt lgkmcnt(0)
	s_barrier
	buffer_gl0_inv
	s_and_saveexec_b32 s3, s2
	s_cbranch_execz .LBB30_142
; %bb.141:
	ds_read_b128 v[7:10], v46
	ds_read_b128 v[11:14], v46 offset:16
	s_waitcnt lgkmcnt(1)
	v_add_f64 v[3:4], v[3:4], v[7:8]
	v_add_f64 v[5:6], v[5:6], v[9:10]
	s_waitcnt lgkmcnt(0)
	v_add_f64 v[11:12], v[3:4], v[11:12]
	v_add_f64 v[13:14], v[5:6], v[13:14]
	ds_read_b128 v[3:6], v46 offset:32
	ds_read_b128 v[7:10], v46 offset:48
	s_waitcnt lgkmcnt(1)
	v_add_f64 v[3:4], v[11:12], v[3:4]
	v_add_f64 v[5:6], v[13:14], v[5:6]
	s_waitcnt lgkmcnt(0)
	v_add_f64 v[11:12], v[3:4], v[7:8]
	v_add_f64 v[13:14], v[5:6], v[9:10]
	ds_read_b128 v[3:6], v46 offset:64
	;; [unrolled: 8-line block ×3, first 2 shown]
	ds_read_b128 v[7:10], v46 offset:112
	s_waitcnt lgkmcnt(1)
	v_add_f64 v[3:4], v[11:12], v[3:4]
	v_add_f64 v[5:6], v[13:14], v[5:6]
	s_waitcnt lgkmcnt(0)
	v_add_f64 v[3:4], v[3:4], v[7:8]
	v_add_f64 v[5:6], v[5:6], v[9:10]
.LBB30_142:
	s_or_b32 exec_lo, exec_lo, s3
	s_load_dwordx2 s[2:3], s[4:5], 0x78
	s_mul_hi_u32 s4, s25, s7
	s_mul_i32 s27, s27, s7
	s_mul_i32 s5, s25, s7
	s_add_i32 s4, s4, s27
	s_mul_hi_u32 s7, s5, s26
	s_mul_i32 s8, s4, s26
	s_mul_i32 s4, s5, s26
	s_add_i32 s5, s7, s8
	s_mul_i32 s8, s25, s6
	s_lshl_b64 s[4:5], s[4:5], 4
	v_cmp_le_i32_e32 vcc_lo, s14, v0
	v_lshlrev_b32_e32 v142, 4, v0
	s_waitcnt lgkmcnt(0)
	s_barrier
	buffer_gl0_inv
	s_add_u32 s4, s2, s4
	s_addc_u32 s5, s3, s5
	s_ashr_i32 s9, s8, 31
	s_lshl_b64 s[2:3], s[8:9], 4
	s_add_u32 s7, s4, s2
	s_addc_u32 s10, s5, s3
	s_and_b32 vcc_lo, s13, vcc_lo
	s_cmp_lt_i32 s6, 1
	s_cbranch_scc1 .LBB30_149
; %bb.143:
	v_mul_lo_u32 v1, v2, s16
	v_sub_co_u32 v11, s2, v43, s18
	v_subrev_co_ci_u32_e64 v12, null, s19, v44, s2
	s_ashr_i32 s15, s14, 31
	v_sub_co_u32 v11, s2, v11, v41
	v_lshl_add_u32 v7, v1, 2, v0
	v_sub_co_ci_u32_e64 v12, null, v12, v42, s2
	s_lshl_b64 s[8:9], s[14:15], 4
	v_lshrrev_b32_e32 v9, 4, v45
	v_ashrrev_i32_e32 v8, 31, v7
	v_and_b32_e32 v10, 15, v0
	s_mul_i32 s4, s24, s12
	v_mov_b32_e32 v1, 0
	s_ashr_i32 s5, s4, 31
	v_lshlrev_b64 v[7:8], 4, v[7:8]
	s_lshl_b64 s[4:5], s[4:5], 4
	v_add_nc_u32_e32 v145, 0x4300, v142
	v_lshl_add_u32 v146, v2, 6, 0x4300
	v_add_nc_u32_e32 v147, 0x4700, v142
	v_mad_u32_u24 v148, 0x10c0, v2, v142
	v_add_co_u32 v7, s2, v11, v7
	v_add_co_ci_u32_e64 v8, null, v12, v8, s2
	s_ashr_i32 s17, s16, 31
	v_sub_co_u32 v11, s2, v7, v142
	v_subrev_co_ci_u32_e64 v12, null, 0, v8, s2
	s_lshl_b32 s11, s24, 6
	v_add_co_u32 v11, s2, v11, s8
	v_add_co_ci_u32_e64 v12, null, s9, v12, s2
	v_add_co_u32 v7, s2, 0xfffffe00, v7
	v_add_co_ci_u32_e64 v8, null, -1, v8, s2
	v_add_co_u32 v11, s2, 0xfffffdf0, v11
	v_add_co_ci_u32_e64 v12, null, -1, v12, s2
	v_sub_co_u32 v143, s2, v39, s4
	v_cndmask_b32_e32 v7, v7, v11, vcc_lo
	v_cndmask_b32_e32 v8, v8, v12, vcc_lo
	v_and_b32_e32 v11, 48, v0
	v_lshlrev_b32_e32 v12, 6, v9
	v_mul_i32_i24_e32 v9, 0xffffffd0, v9
	v_subrev_co_ci_u32_e64 v144, null, s5, v40, s2
	v_lshlrev_b32_e32 v11, 4, v11
	v_mad_u32_u24 v149, 0x430, v10, v12
	v_or_b32_e32 v12, 0xf0, v142
	v_cmp_gt_u32_e64 s2, 64, v45
	s_lshl_b64 s[4:5], s[16:17], 4
	v_mad_u32_u24 v150, 0x430, v10, v11
	v_add_nc_u32_e32 v152, v149, v9
	v_mad_u32_u24 v151, 0x430, v10, v12
	s_mul_hi_i32 s12, s16, 0xd0
	s_mul_i32 s13, s16, 0xd0
	s_mov_b32 s8, 0
	s_branch .LBB30_145
.LBB30_144:                             ;   in Loop: Header=BB30_145 Depth=1
	s_or_b32 exec_lo, exec_lo, s9
	v_mul_f64 v[87:88], v[17:18], v[29:30]
	v_mul_f64 v[29:30], v[15:16], v[29:30]
	;; [unrolled: 1-line block ×4, first 2 shown]
	v_add_nc_u32_e32 v0, 64, v0
	s_add_i32 s6, s6, -1
	s_add_i32 s8, s8, s11
	s_cmp_eq_u32 s6, 0
	s_waitcnt_vscnt null, 0x0
	s_barrier
	buffer_gl0_inv
	v_fma_f64 v[15:16], v[15:16], v[27:28], -v[87:88]
	v_fma_f64 v[17:18], v[17:18], v[27:28], v[29:30]
	v_mul_f64 v[27:28], v[13:14], v[33:34]
	v_mul_f64 v[29:30], v[11:12], v[33:34]
	v_fma_f64 v[19:20], v[19:20], v[23:24], -v[89:90]
	v_fma_f64 v[21:22], v[21:22], v[23:24], v[25:26]
	v_add_f64 v[3:4], v[3:4], v[15:16]
	v_add_f64 v[5:6], v[5:6], v[17:18]
	v_mul_f64 v[15:16], v[9:10], v[49:50]
	v_mul_f64 v[17:18], v[7:8], v[49:50]
	v_fma_f64 v[11:12], v[11:12], v[31:32], -v[27:28]
	v_fma_f64 v[13:14], v[13:14], v[31:32], v[29:30]
	v_add_f64 v[3:4], v[3:4], v[19:20]
	v_add_f64 v[5:6], v[5:6], v[21:22]
	;; [unrolled: 6-line block ×14, first 2 shown]
	v_fma_f64 v[7:8], v[103:104], v[123:124], -v[7:8]
	v_fma_f64 v[9:10], v[105:106], v[123:124], v[9:10]
	v_add_f64 v[3:4], v[3:4], v[11:12]
	v_add_f64 v[5:6], v[5:6], v[13:14]
	;; [unrolled: 1-line block ×4, first 2 shown]
	v_add_co_u32 v7, s3, v140, s13
	v_add_co_ci_u32_e64 v8, null, s12, v141, s3
	s_cbranch_scc1 .LBB30_149
.LBB30_145:                             ; =>This Inner Loop Header: Depth=1
	s_and_saveexec_b32 s14, s1
	s_cbranch_execz .LBB30_147
; %bb.146:                              ;   in Loop: Header=BB30_145 Depth=1
	s_ashr_i32 s9, s8, 31
	s_lshl_b64 s[16:17], s[8:9], 4
	v_add_co_u32 v9, s3, v143, s16
	v_add_co_ci_u32_e64 v10, null, s17, v144, s3
	global_load_dwordx4 v[9:12], v[9:10], off
	s_waitcnt vmcnt(0)
	ds_write2_b64 v145, v[9:10], v[11:12] offset1:1
.LBB30_147:                             ;   in Loop: Header=BB30_145 Depth=1
	s_or_b32 exec_lo, exec_lo, s14
	v_add_co_u32 v9, s3, v7, s4
	v_add_co_ci_u32_e64 v10, null, s5, v8, s3
	s_waitcnt lgkmcnt(0)
	v_add_co_u32 v11, s3, v9, s4
	v_add_co_ci_u32_e64 v12, null, s5, v10, s3
	s_barrier
	v_add_co_u32 v27, s3, v11, s4
	buffer_gl0_inv
	global_load_dwordx4 v[15:18], v[7:8], off
	v_add_co_ci_u32_e64 v28, null, s5, v12, s3
	s_clause 0x2
	global_load_dwordx4 v[19:22], v[9:10], off
	global_load_dwordx4 v[11:14], v[11:12], off
	;; [unrolled: 1-line block ×3, first 2 shown]
	ds_read_b128 v[23:26], v147
	v_add_co_u32 v55, s3, v27, s13
	v_add_co_ci_u32_e64 v56, null, s12, v28, s3
	v_add_co_u32 v57, s3, v55, s4
	v_add_co_ci_u32_e64 v58, null, s5, v56, s3
	;; [unrolled: 2-line block ×12, first 2 shown]
	s_waitcnt vmcnt(3) lgkmcnt(0)
	v_mul_f64 v[29:30], v[17:18], v[25:26]
	v_mul_f64 v[31:32], v[17:18], v[23:24]
	s_waitcnt vmcnt(2)
	v_mul_f64 v[33:34], v[21:22], v[25:26]
	v_mul_f64 v[41:42], v[21:22], v[23:24]
	s_waitcnt vmcnt(1)
	;; [unrolled: 3-line block ×3, first 2 shown]
	v_mul_f64 v[47:48], v[9:10], v[25:26]
	v_mul_f64 v[49:50], v[9:10], v[23:24]
	v_fma_f64 v[35:36], v[15:16], v[23:24], v[29:30]
	v_fma_f64 v[37:38], v[15:16], v[25:26], -v[31:32]
	v_fma_f64 v[39:40], v[19:20], v[23:24], v[33:34]
	v_fma_f64 v[41:42], v[19:20], v[25:26], -v[41:42]
	;; [unrolled: 2-line block ×4, first 2 shown]
	ds_read_b128 v[27:30], v146
	ds_read_b128 v[23:26], v146 offset:16
	ds_read_b128 v[31:34], v146 offset:32
	;; [unrolled: 1-line block ×3, first 2 shown]
	ds_write_b128 v148, v[35:38]
	ds_write_b128 v148, v[39:42] offset:1072
	ds_write_b128 v148, v[43:46] offset:2144
	;; [unrolled: 1-line block ×3, first 2 shown]
	s_waitcnt lgkmcnt(0)
	s_barrier
	buffer_gl0_inv
	ds_read_b128 v[123:126], v149
	ds_read_b128 v[153:156], v149 offset:16
	ds_read_b128 v[157:160], v149 offset:32
	;; [unrolled: 1-line block ×3, first 2 shown]
	s_waitcnt lgkmcnt(0)
	s_barrier
	buffer_gl0_inv
	s_clause 0x3
	global_load_dwordx4 v[51:54], v[55:56], off
	global_load_dwordx4 v[43:46], v[57:58], off
	;; [unrolled: 1-line block ×4, first 2 shown]
	ds_read_b128 v[55:58], v147
	v_add_f64 v[205:206], v[123:124], 0
	v_add_f64 v[207:208], v[125:126], 0
	s_waitcnt vmcnt(2) lgkmcnt(0)
	v_mul_f64 v[63:64], v[45:46], v[57:58]
	v_mul_f64 v[59:60], v[53:54], v[57:58]
	;; [unrolled: 1-line block ×4, first 2 shown]
	s_waitcnt vmcnt(1)
	v_mul_f64 v[67:68], v[41:42], v[57:58]
	v_mul_f64 v[69:70], v[41:42], v[55:56]
	s_waitcnt vmcnt(0)
	v_mul_f64 v[73:74], v[37:38], v[57:58]
	v_mul_f64 v[75:76], v[37:38], v[55:56]
	v_fma_f64 v[63:64], v[43:44], v[55:56], v[63:64]
	v_fma_f64 v[59:60], v[51:52], v[55:56], v[59:60]
	v_fma_f64 v[61:62], v[51:52], v[57:58], -v[61:62]
	v_fma_f64 v[65:66], v[43:44], v[57:58], -v[65:66]
	v_fma_f64 v[67:68], v[39:40], v[55:56], v[67:68]
	v_fma_f64 v[69:70], v[39:40], v[57:58], -v[69:70]
	v_fma_f64 v[55:56], v[35:36], v[55:56], v[73:74]
	v_fma_f64 v[57:58], v[35:36], v[57:58], -v[75:76]
	ds_read_b128 v[83:86], v146 offset:256
	ds_read_b128 v[79:82], v146 offset:272
	;; [unrolled: 1-line block ×4, first 2 shown]
	ds_write_b128 v148, v[59:62]
	ds_write_b128 v148, v[63:66] offset:1072
	ds_write_b128 v148, v[67:70] offset:2144
	;; [unrolled: 1-line block ×3, first 2 shown]
	s_waitcnt lgkmcnt(0)
	s_barrier
	buffer_gl0_inv
	ds_read_b128 v[161:164], v149
	ds_read_b128 v[165:168], v149 offset:16
	ds_read_b128 v[169:172], v149 offset:32
	;; [unrolled: 1-line block ×3, first 2 shown]
	s_waitcnt lgkmcnt(0)
	s_barrier
	buffer_gl0_inv
	s_clause 0x2
	global_load_dwordx4 v[67:70], v[91:92], off
	global_load_dwordx4 v[63:66], v[93:94], off
	;; [unrolled: 1-line block ×4, first 2 shown]
	ds_read_b128 v[91:94], v147
	v_add_f64 v[161:162], v[161:162], 0
	v_add_f64 v[163:164], v[163:164], 0
	v_add_f64 v[161:162], v[161:162], v[165:166]
	v_add_f64 v[163:164], v[163:164], v[167:168]
	v_add_f64 v[161:162], v[161:162], v[169:170]
	v_add_f64 v[163:164], v[163:164], v[171:172]
	s_waitcnt vmcnt(2) lgkmcnt(0)
	v_mul_f64 v[99:100], v[65:66], v[93:94]
	v_mul_f64 v[95:96], v[69:70], v[93:94]
	;; [unrolled: 1-line block ×4, first 2 shown]
	s_waitcnt vmcnt(1)
	v_mul_f64 v[103:104], v[61:62], v[93:94]
	v_mul_f64 v[105:106], v[61:62], v[91:92]
	s_waitcnt vmcnt(0)
	v_mul_f64 v[109:110], v[57:58], v[93:94]
	v_mul_f64 v[111:112], v[57:58], v[91:92]
	v_fma_f64 v[99:100], v[63:64], v[91:92], v[99:100]
	v_fma_f64 v[95:96], v[67:68], v[91:92], v[95:96]
	v_fma_f64 v[97:98], v[67:68], v[93:94], -v[97:98]
	v_fma_f64 v[101:102], v[63:64], v[93:94], -v[101:102]
	v_fma_f64 v[103:104], v[59:60], v[91:92], v[103:104]
	v_fma_f64 v[105:106], v[59:60], v[93:94], -v[105:106]
	v_fma_f64 v[91:92], v[55:56], v[91:92], v[109:110]
	v_fma_f64 v[93:94], v[55:56], v[93:94], -v[111:112]
	ds_read_b128 v[119:122], v146 offset:512
	ds_read_b128 v[115:118], v146 offset:528
	;; [unrolled: 1-line block ×4, first 2 shown]
	ds_write_b128 v148, v[95:98]
	ds_write_b128 v148, v[99:102] offset:1072
	ds_write_b128 v148, v[103:106] offset:2144
	;; [unrolled: 1-line block ×3, first 2 shown]
	s_waitcnt lgkmcnt(0)
	s_barrier
	buffer_gl0_inv
	ds_read_b128 v[177:180], v149
	ds_read_b128 v[181:184], v149 offset:16
	ds_read_b128 v[185:188], v149 offset:32
	;; [unrolled: 1-line block ×3, first 2 shown]
	s_waitcnt lgkmcnt(0)
	s_barrier
	buffer_gl0_inv
	global_load_dwordx4 v[99:102], v[127:128], off
	global_load_dwordx4 v[95:98], v[129:130], off
	global_load_dwordx4 v[91:94], v[131:132], off
	global_load_dwordx4 v[103:106], v[140:141], off
	ds_read_b128 v[127:130], v147
	v_add_f64 v[177:178], v[177:178], 0
	v_add_f64 v[179:180], v[179:180], 0
	;; [unrolled: 1-line block ×6, first 2 shown]
	s_waitcnt vmcnt(3) lgkmcnt(0)
	v_mul_f64 v[131:132], v[101:102], v[129:130]
	s_waitcnt vmcnt(2)
	v_mul_f64 v[135:136], v[97:98], v[129:130]
	v_mul_f64 v[133:134], v[101:102], v[127:128]
	;; [unrolled: 1-line block ×3, first 2 shown]
	s_waitcnt vmcnt(1)
	v_mul_f64 v[197:198], v[93:94], v[129:130]
	v_mul_f64 v[199:200], v[93:94], v[127:128]
	s_waitcnt vmcnt(0)
	v_mul_f64 v[201:202], v[105:106], v[129:130]
	v_fma_f64 v[131:132], v[99:100], v[127:128], v[131:132]
	v_fma_f64 v[193:194], v[95:96], v[127:128], v[135:136]
	v_mul_f64 v[135:136], v[105:106], v[127:128]
	v_fma_f64 v[133:134], v[99:100], v[129:130], -v[133:134]
	v_fma_f64 v[195:196], v[95:96], v[129:130], -v[137:138]
	v_fma_f64 v[197:198], v[91:92], v[127:128], v[197:198]
	v_fma_f64 v[199:200], v[91:92], v[129:130], -v[199:200]
	v_fma_f64 v[201:202], v[103:104], v[127:128], v[201:202]
	v_fma_f64 v[203:204], v[103:104], v[129:130], -v[135:136]
	ds_write_b128 v148, v[131:134]
	ds_read_b128 v[135:138], v146 offset:768
	ds_read_b128 v[131:134], v146 offset:784
	ds_write_b128 v148, v[193:196] offset:1072
	ds_write_b128 v148, v[197:200] offset:2144
	ds_read_b128 v[127:130], v146 offset:800
	ds_read_b128 v[123:126], v146 offset:816
	v_add_f64 v[197:198], v[205:206], v[153:154]
	v_add_f64 v[199:200], v[207:208], v[155:156]
	ds_write_b128 v148, v[201:204] offset:3216
	s_waitcnt lgkmcnt(0)
	s_barrier
	buffer_gl0_inv
	ds_read_b128 v[193:196], v149
	ds_read_b128 v[153:156], v149 offset:16
	v_add_f64 v[181:182], v[197:198], v[157:158]
	v_add_f64 v[183:184], v[199:200], v[159:160]
	ds_read_b128 v[157:160], v149 offset:48
	s_waitcnt lgkmcnt(2)
	v_add_f64 v[193:194], v[193:194], 0
	v_add_f64 v[195:196], v[195:196], 0
	;; [unrolled: 1-line block ×4, first 2 shown]
	s_waitcnt lgkmcnt(1)
	v_add_f64 v[177:178], v[193:194], v[153:154]
	v_add_f64 v[179:180], v[195:196], v[155:156]
	ds_read_b128 v[153:156], v149 offset:32
	s_waitcnt lgkmcnt(0)
	s_barrier
	buffer_gl0_inv
	v_add_f64 v[169:170], v[177:178], v[153:154]
	v_add_f64 v[171:172], v[179:180], v[155:156]
	;; [unrolled: 1-line block ×8, first 2 shown]
	ds_write_b128 v152, v[87:90]
	ds_write_b128 v152, v[153:156] offset:256
	ds_write_b128 v152, v[161:164] offset:512
	;; [unrolled: 1-line block ×3, first 2 shown]
	s_waitcnt lgkmcnt(0)
	s_barrier
	buffer_gl0_inv
	s_and_saveexec_b32 s9, s2
	s_cbranch_execz .LBB30_144
; %bb.148:                              ;   in Loop: Header=BB30_145 Depth=1
	ds_read_b128 v[87:90], v150
	ds_read_b128 v[153:156], v150 offset:16
	s_waitcnt lgkmcnt(0)
	v_add_f64 v[157:158], v[153:154], v[87:88]
	v_add_f64 v[159:160], v[155:156], v[89:90]
	ds_read_b128 v[87:90], v150 offset:32
	ds_read_b128 v[153:156], v150 offset:48
	s_waitcnt lgkmcnt(1)
	v_add_f64 v[87:88], v[157:158], v[87:88]
	v_add_f64 v[89:90], v[159:160], v[89:90]
	s_waitcnt lgkmcnt(0)
	v_add_f64 v[157:158], v[87:88], v[153:154]
	v_add_f64 v[159:160], v[89:90], v[155:156]
	ds_read_b128 v[87:90], v150 offset:64
	ds_read_b128 v[153:156], v150 offset:80
	s_waitcnt lgkmcnt(1)
	v_add_f64 v[87:88], v[157:158], v[87:88]
	v_add_f64 v[89:90], v[159:160], v[89:90]
	;; [unrolled: 8-line block ×6, first 2 shown]
	s_waitcnt lgkmcnt(0)
	v_add_f64 v[157:158], v[87:88], v[153:154]
	v_add_f64 v[159:160], v[89:90], v[155:156]
	ds_read_b128 v[87:90], v150 offset:224
	ds_read_b128 v[153:156], v151
	s_waitcnt lgkmcnt(1)
	v_add_f64 v[87:88], v[157:158], v[87:88]
	v_add_f64 v[89:90], v[159:160], v[89:90]
	s_waitcnt lgkmcnt(0)
	v_add_f64 v[87:88], v[87:88], v[153:154]
	v_add_f64 v[89:90], v[89:90], v[155:156]
	v_lshlrev_b64 v[153:154], 4, v[0:1]
	v_add_co_u32 v153, s3, s7, v153
	v_add_co_ci_u32_e64 v154, null, s10, v154, s3
	global_store_dwordx4 v[153:154], v[87:90], off
	s_branch .LBB30_144
.LBB30_149:
	v_mad_u32_u24 v0, 0x430, v2, v142
	s_nor_b32 s0, s0, vcc_lo
	ds_write_b128 v0, v[3:6]
	s_waitcnt lgkmcnt(0)
	s_barrier
	buffer_gl0_inv
	s_and_saveexec_b32 s1, s0
	s_cbranch_execz .LBB30_151
; %bb.150:
	ds_read_b128 v[0:3], v142 offset:1072
	ds_read_b128 v[4:7], v142
	v_ashrrev_i32_e32 v140, 31, v139
	s_waitcnt lgkmcnt(0)
	v_add_f64 v[8:9], v[0:1], v[4:5]
	v_add_f64 v[10:11], v[2:3], v[6:7]
	ds_read_b128 v[0:3], v142 offset:2144
	ds_read_b128 v[4:7], v142 offset:3216
	s_waitcnt lgkmcnt(1)
	v_add_f64 v[0:1], v[8:9], v[0:1]
	v_add_f64 v[2:3], v[10:11], v[2:3]
	s_waitcnt lgkmcnt(0)
	v_add_f64 v[0:1], v[0:1], v[4:5]
	v_add_f64 v[2:3], v[2:3], v[6:7]
	v_lshlrev_b64 v[4:5], 4, v[139:140]
	v_add_co_u32 v4, vcc_lo, s7, v4
	v_add_co_ci_u32_e64 v5, null, s10, v5, vcc_lo
	global_store_dwordx4 v[4:5], v[0:3], off
.LBB30_151:
	s_endpgm
	.section	.rodata,"a",@progbits
	.p2align	6, 0x0
	.amdhsa_kernel _ZL26rocblas_hemvn_kernel_lowerILb1ELi64ELi4ELi33ELi32ELi16Ei19rocblas_complex_numIdEPKS1_PS1_EviT6_lT7_lT5_lS6_lS7_lS5_lT8_i
		.amdhsa_group_segment_fixed_size 19200
		.amdhsa_private_segment_fixed_size 0
		.amdhsa_kernarg_size 392
		.amdhsa_user_sgpr_count 6
		.amdhsa_user_sgpr_private_segment_buffer 1
		.amdhsa_user_sgpr_dispatch_ptr 0
		.amdhsa_user_sgpr_queue_ptr 0
		.amdhsa_user_sgpr_kernarg_segment_ptr 1
		.amdhsa_user_sgpr_dispatch_id 0
		.amdhsa_user_sgpr_flat_scratch_init 0
		.amdhsa_user_sgpr_private_segment_size 0
		.amdhsa_wavefront_size32 1
		.amdhsa_uses_dynamic_stack 0
		.amdhsa_system_sgpr_private_segment_wavefront_offset 0
		.amdhsa_system_sgpr_workgroup_id_x 1
		.amdhsa_system_sgpr_workgroup_id_y 0
		.amdhsa_system_sgpr_workgroup_id_z 1
		.amdhsa_system_sgpr_workgroup_info 0
		.amdhsa_system_vgpr_workitem_id 1
		.amdhsa_next_free_vgpr 209
		.amdhsa_next_free_sgpr 30
		.amdhsa_reserve_vcc 1
		.amdhsa_reserve_flat_scratch 0
		.amdhsa_float_round_mode_32 0
		.amdhsa_float_round_mode_16_64 0
		.amdhsa_float_denorm_mode_32 3
		.amdhsa_float_denorm_mode_16_64 3
		.amdhsa_dx10_clamp 1
		.amdhsa_ieee_mode 1
		.amdhsa_fp16_overflow 0
		.amdhsa_workgroup_processor_mode 1
		.amdhsa_memory_ordered 1
		.amdhsa_forward_progress 1
		.amdhsa_shared_vgpr_count 0
		.amdhsa_exception_fp_ieee_invalid_op 0
		.amdhsa_exception_fp_denorm_src 0
		.amdhsa_exception_fp_ieee_div_zero 0
		.amdhsa_exception_fp_ieee_overflow 0
		.amdhsa_exception_fp_ieee_underflow 0
		.amdhsa_exception_fp_ieee_inexact 0
		.amdhsa_exception_int_div_zero 0
	.end_amdhsa_kernel
	.section	.text._ZL26rocblas_hemvn_kernel_lowerILb1ELi64ELi4ELi33ELi32ELi16Ei19rocblas_complex_numIdEPKS1_PS1_EviT6_lT7_lT5_lS6_lS7_lS5_lT8_i,"axG",@progbits,_ZL26rocblas_hemvn_kernel_lowerILb1ELi64ELi4ELi33ELi32ELi16Ei19rocblas_complex_numIdEPKS1_PS1_EviT6_lT7_lT5_lS6_lS7_lS5_lT8_i,comdat
.Lfunc_end30:
	.size	_ZL26rocblas_hemvn_kernel_lowerILb1ELi64ELi4ELi33ELi32ELi16Ei19rocblas_complex_numIdEPKS1_PS1_EviT6_lT7_lT5_lS6_lS7_lS5_lT8_i, .Lfunc_end30-_ZL26rocblas_hemvn_kernel_lowerILb1ELi64ELi4ELi33ELi32ELi16Ei19rocblas_complex_numIdEPKS1_PS1_EviT6_lT7_lT5_lS6_lS7_lS5_lT8_i
                                        ; -- End function
	.set _ZL26rocblas_hemvn_kernel_lowerILb1ELi64ELi4ELi33ELi32ELi16Ei19rocblas_complex_numIdEPKS1_PS1_EviT6_lT7_lT5_lS6_lS7_lS5_lT8_i.num_vgpr, 209
	.set _ZL26rocblas_hemvn_kernel_lowerILb1ELi64ELi4ELi33ELi32ELi16Ei19rocblas_complex_numIdEPKS1_PS1_EviT6_lT7_lT5_lS6_lS7_lS5_lT8_i.num_agpr, 0
	.set _ZL26rocblas_hemvn_kernel_lowerILb1ELi64ELi4ELi33ELi32ELi16Ei19rocblas_complex_numIdEPKS1_PS1_EviT6_lT7_lT5_lS6_lS7_lS5_lT8_i.numbered_sgpr, 30
	.set _ZL26rocblas_hemvn_kernel_lowerILb1ELi64ELi4ELi33ELi32ELi16Ei19rocblas_complex_numIdEPKS1_PS1_EviT6_lT7_lT5_lS6_lS7_lS5_lT8_i.num_named_barrier, 0
	.set _ZL26rocblas_hemvn_kernel_lowerILb1ELi64ELi4ELi33ELi32ELi16Ei19rocblas_complex_numIdEPKS1_PS1_EviT6_lT7_lT5_lS6_lS7_lS5_lT8_i.private_seg_size, 0
	.set _ZL26rocblas_hemvn_kernel_lowerILb1ELi64ELi4ELi33ELi32ELi16Ei19rocblas_complex_numIdEPKS1_PS1_EviT6_lT7_lT5_lS6_lS7_lS5_lT8_i.uses_vcc, 1
	.set _ZL26rocblas_hemvn_kernel_lowerILb1ELi64ELi4ELi33ELi32ELi16Ei19rocblas_complex_numIdEPKS1_PS1_EviT6_lT7_lT5_lS6_lS7_lS5_lT8_i.uses_flat_scratch, 0
	.set _ZL26rocblas_hemvn_kernel_lowerILb1ELi64ELi4ELi33ELi32ELi16Ei19rocblas_complex_numIdEPKS1_PS1_EviT6_lT7_lT5_lS6_lS7_lS5_lT8_i.has_dyn_sized_stack, 0
	.set _ZL26rocblas_hemvn_kernel_lowerILb1ELi64ELi4ELi33ELi32ELi16Ei19rocblas_complex_numIdEPKS1_PS1_EviT6_lT7_lT5_lS6_lS7_lS5_lT8_i.has_recursion, 0
	.set _ZL26rocblas_hemvn_kernel_lowerILb1ELi64ELi4ELi33ELi32ELi16Ei19rocblas_complex_numIdEPKS1_PS1_EviT6_lT7_lT5_lS6_lS7_lS5_lT8_i.has_indirect_call, 0
	.section	.AMDGPU.csdata,"",@progbits
; Kernel info:
; codeLenInByte = 10524
; TotalNumSgprs: 32
; NumVgprs: 209
; ScratchSize: 0
; MemoryBound: 0
; FloatMode: 240
; IeeeMode: 1
; LDSByteSize: 19200 bytes/workgroup (compile time only)
; SGPRBlocks: 0
; VGPRBlocks: 26
; NumSGPRsForWavesPerEU: 32
; NumVGPRsForWavesPerEU: 209
; Occupancy: 4
; WaveLimiterHint : 1
; COMPUTE_PGM_RSRC2:SCRATCH_EN: 0
; COMPUTE_PGM_RSRC2:USER_SGPR: 6
; COMPUTE_PGM_RSRC2:TRAP_HANDLER: 0
; COMPUTE_PGM_RSRC2:TGID_X_EN: 1
; COMPUTE_PGM_RSRC2:TGID_Y_EN: 0
; COMPUTE_PGM_RSRC2:TGID_Z_EN: 1
; COMPUTE_PGM_RSRC2:TIDIG_COMP_CNT: 1
	.section	.text._ZL36rocblas_hemvn_kernel_lower_block_sumILi64Ei19rocblas_complex_numIdEPS1_S1_EviT1_lS3_lT2_lT0_lPT3_i,"axG",@progbits,_ZL36rocblas_hemvn_kernel_lower_block_sumILi64Ei19rocblas_complex_numIdEPS1_S1_EviT1_lS3_lT2_lT0_lPT3_i,comdat
	.globl	_ZL36rocblas_hemvn_kernel_lower_block_sumILi64Ei19rocblas_complex_numIdEPS1_S1_EviT1_lS3_lT2_lT0_lPT3_i ; -- Begin function _ZL36rocblas_hemvn_kernel_lower_block_sumILi64Ei19rocblas_complex_numIdEPS1_S1_EviT1_lS3_lT2_lT0_lPT3_i
	.p2align	8
	.type	_ZL36rocblas_hemvn_kernel_lower_block_sumILi64Ei19rocblas_complex_numIdEPS1_S1_EviT1_lS3_lT2_lT0_lPT3_i,@function
_ZL36rocblas_hemvn_kernel_lower_block_sumILi64Ei19rocblas_complex_numIdEPS1_S1_EviT1_lS3_lT2_lT0_lPT3_i: ; @_ZL36rocblas_hemvn_kernel_lower_block_sumILi64Ei19rocblas_complex_numIdEPS1_S1_EviT1_lS3_lT2_lT0_lPT3_i
; %bb.0:
	s_clause 0x1
	s_load_dwordx4 s[12:15], s[4:5], 0x8
	s_load_dwordx4 s[8:11], s[4:5], 0x20
	s_waitcnt lgkmcnt(0)
	v_cmp_neq_f64_e64 s0, s[12:13], 0
	v_cmp_neq_f64_e64 s1, s[14:15], 0
	s_or_b32 s0, s0, s1
	s_mov_b32 s1, -1
	s_and_b32 vcc_lo, exec_lo, s0
	s_cbranch_vccnz .LBB31_2
; %bb.1:
	v_cmp_neq_f64_e64 s1, s[8:9], 1.0
	v_cmp_neq_f64_e64 s2, s[10:11], 0
	s_or_b32 s1, s1, s2
.LBB31_2:
	s_andn2_b32 vcc_lo, exec_lo, s1
	s_cbranch_vccnz .LBB31_22
; %bb.3:
	s_clause 0x3
	s_load_dwordx2 s[16:17], s[4:5], 0x50
	s_load_dwordx4 s[20:23], s[4:5], 0x38
	s_load_dword s19, s[4:5], 0x48
	s_load_dword s2, s[4:5], 0x0
	s_xor_b32 s3, s0, -1
	v_lshl_or_b32 v4, s6, 6, v0
	s_waitcnt lgkmcnt(0)
	s_mul_i32 s1, s17, s7
	s_mul_hi_u32 s17, s16, s7
	s_mul_i32 s0, s16, s7
	s_add_i32 s1, s17, s1
	s_lshl_b64 s[0:1], s[0:1], 4
	s_add_u32 s18, s20, s0
	s_addc_u32 s1, s21, s1
	s_lshl_b64 s[16:17], s[22:23], 4
	v_cmp_gt_i32_e64 s0, s2, v4
	s_add_u32 s16, s18, s16
	s_addc_u32 s17, s1, s17
	s_andn2_b32 vcc_lo, exec_lo, s3
	s_mov_b32 s18, 0
	s_cbranch_vccnz .LBB31_8
; %bb.4:
	s_mov_b32 s1, 0
                                        ; implicit-def: $vgpr2_vgpr3
                                        ; implicit-def: $vgpr5_vgpr6
	s_and_saveexec_b32 s3, s0
	s_cbranch_execz .LBB31_9
; %bb.5:
	v_cmp_neq_f64_e64 s0, s[8:9], 0
	v_cmp_neq_f64_e64 s18, s[10:11], 0
	v_mul_lo_u32 v5, s19, v4
	v_mov_b32_e32 v2, 0
	v_mov_b32_e32 v0, 0
	;; [unrolled: 1-line block ×4, first 2 shown]
	v_ashrrev_i32_e32 v6, 31, v5
	s_or_b32 s0, s0, s18
	s_andn2_b32 vcc_lo, exec_lo, s0
	s_cbranch_vccnz .LBB31_7
; %bb.6:
	v_lshlrev_b64 v[0:1], 4, v[5:6]
	v_add_co_u32 v0, vcc_lo, s16, v0
	v_add_co_ci_u32_e64 v1, null, s17, v1, vcc_lo
	global_load_dwordx4 v[7:10], v[0:1], off
	s_waitcnt vmcnt(0)
	v_mul_f64 v[0:1], s[10:11], v[9:10]
	v_mul_f64 v[2:3], s[8:9], v[9:10]
	v_fma_f64 v[0:1], s[8:9], v[7:8], -v[0:1]
	v_fma_f64 v[2:3], s[10:11], v[7:8], v[2:3]
.LBB31_7:
	s_mov_b32 s18, exec_lo
	s_or_b32 exec_lo, exec_lo, s3
	s_and_b32 vcc_lo, exec_lo, s1
	s_cbranch_vccnz .LBB31_10
	s_branch .LBB31_20
.LBB31_8:
                                        ; implicit-def: $vgpr2_vgpr3
                                        ; implicit-def: $vgpr5_vgpr6
	s_cbranch_execnz .LBB31_10
	s_branch .LBB31_20
.LBB31_9:
	s_or_b32 exec_lo, exec_lo, s3
	s_and_b32 vcc_lo, exec_lo, s1
	s_cbranch_vccz .LBB31_20
.LBB31_10:
	s_mov_b32 s20, exec_lo
                                        ; implicit-def: $vgpr2_vgpr3
                                        ; implicit-def: $vgpr5_vgpr6
	v_cmpx_gt_i32_e64 s2, v4
	s_cbranch_execz .LBB31_19
; %bb.11:
	s_load_dword s21, s[4:5], 0x68
	v_mov_b32_e32 v0, 0
	v_mov_b32_e32 v2, 0
	v_mov_b32_e32 v1, 0
	v_mov_b32_e32 v3, 0
	s_waitcnt lgkmcnt(0)
	s_cmp_ge_i32 s6, s21
	s_cbranch_scc1 .LBB31_14
; %bb.12:
	s_load_dwordx2 s[0:1], s[4:5], 0x58
	v_mad_u64_u32 v[0:1], null, s2, s6, v[4:5]
	s_ashr_i32 s3, s2, 31
	s_mul_hi_u32 s4, s2, s7
	s_mul_i32 s5, s3, s7
	s_mul_i32 s7, s2, s7
	s_add_i32 s4, s4, s5
	s_mul_hi_u32 s5, s7, s21
	v_ashrrev_i32_e32 v1, 31, v0
	s_mul_i32 s22, s4, s21
	s_mul_i32 s4, s7, s21
	s_add_i32 s5, s5, s22
	v_lshlrev_b64 v[2:3], 4, v[0:1]
	s_lshl_b64 s[4:5], s[4:5], 4
	v_mov_b32_e32 v0, 0
	v_mov_b32_e32 v1, 0
	s_waitcnt lgkmcnt(0)
	s_add_u32 s0, s0, s4
	s_addc_u32 s1, s1, s5
	v_add_co_u32 v5, vcc_lo, s0, v2
	v_add_co_ci_u32_e64 v6, null, s1, v3, vcc_lo
	v_mov_b32_e32 v2, 0
	v_add_co_u32 v5, vcc_lo, v5, 8
	v_mov_b32_e32 v3, 0
	v_add_co_ci_u32_e64 v6, null, 0, v6, vcc_lo
	s_lshl_b64 s[0:1], s[2:3], 4
.LBB31_13:                              ; =>This Inner Loop Header: Depth=1
	global_load_dwordx4 v[7:10], v[5:6], off offset:-8
	v_add_co_u32 v5, vcc_lo, v5, s0
	v_add_co_ci_u32_e64 v6, null, s1, v6, vcc_lo
	s_add_i32 s6, s6, 1
	s_cmp_ge_i32 s6, s21
	s_waitcnt vmcnt(0)
	v_add_f64 v[2:3], v[2:3], v[7:8]
	v_add_f64 v[0:1], v[0:1], v[9:10]
	s_cbranch_scc0 .LBB31_13
.LBB31_14:
	v_mul_f64 v[5:6], s[14:15], v[0:1]
	v_mul_f64 v[7:8], s[12:13], v[0:1]
	v_cmp_neq_f64_e64 s0, s[8:9], 0
	v_cmp_neq_f64_e64 s1, s[10:11], 0
	v_fma_f64 v[0:1], s[12:13], v[2:3], -v[5:6]
	v_fma_f64 v[2:3], s[14:15], v[2:3], v[7:8]
	v_mul_lo_u32 v5, s19, v4
	s_or_b32 s0, s0, s1
	s_andn2_b32 vcc_lo, exec_lo, s0
	v_ashrrev_i32_e32 v6, 31, v5
	s_cbranch_vccz .LBB31_16
; %bb.15:
	s_cbranch_execz .LBB31_17
	s_branch .LBB31_18
.LBB31_16:
.LBB31_17:
	v_lshlrev_b64 v[7:8], 4, v[5:6]
	v_add_co_u32 v7, vcc_lo, s16, v7
	v_add_co_ci_u32_e64 v8, null, s17, v8, vcc_lo
	global_load_dwordx4 v[7:10], v[7:8], off
	s_waitcnt vmcnt(0)
	v_mul_f64 v[11:12], s[10:11], v[9:10]
	v_mul_f64 v[9:10], s[8:9], v[9:10]
	v_fma_f64 v[11:12], s[8:9], v[7:8], -v[11:12]
	v_fma_f64 v[7:8], s[10:11], v[7:8], v[9:10]
	v_add_f64 v[0:1], v[0:1], v[11:12]
	v_add_f64 v[2:3], v[2:3], v[7:8]
.LBB31_18:
	s_or_b32 s18, s18, exec_lo
.LBB31_19:
	s_or_b32 exec_lo, exec_lo, s20
.LBB31_20:
	s_and_saveexec_b32 s0, s18
	s_cbranch_execz .LBB31_22
; %bb.21:
	v_lshlrev_b64 v[4:5], 4, v[5:6]
	v_add_co_u32 v4, vcc_lo, s16, v4
	v_add_co_ci_u32_e64 v5, null, s17, v5, vcc_lo
	global_store_dwordx4 v[4:5], v[0:3], off
.LBB31_22:
	s_endpgm
	.section	.rodata,"a",@progbits
	.p2align	6, 0x0
	.amdhsa_kernel _ZL36rocblas_hemvn_kernel_lower_block_sumILi64Ei19rocblas_complex_numIdEPS1_S1_EviT1_lS3_lT2_lT0_lPT3_i
		.amdhsa_group_segment_fixed_size 0
		.amdhsa_private_segment_fixed_size 0
		.amdhsa_kernarg_size 360
		.amdhsa_user_sgpr_count 6
		.amdhsa_user_sgpr_private_segment_buffer 1
		.amdhsa_user_sgpr_dispatch_ptr 0
		.amdhsa_user_sgpr_queue_ptr 0
		.amdhsa_user_sgpr_kernarg_segment_ptr 1
		.amdhsa_user_sgpr_dispatch_id 0
		.amdhsa_user_sgpr_flat_scratch_init 0
		.amdhsa_user_sgpr_private_segment_size 0
		.amdhsa_wavefront_size32 1
		.amdhsa_uses_dynamic_stack 0
		.amdhsa_system_sgpr_private_segment_wavefront_offset 0
		.amdhsa_system_sgpr_workgroup_id_x 1
		.amdhsa_system_sgpr_workgroup_id_y 0
		.amdhsa_system_sgpr_workgroup_id_z 1
		.amdhsa_system_sgpr_workgroup_info 0
		.amdhsa_system_vgpr_workitem_id 0
		.amdhsa_next_free_vgpr 13
		.amdhsa_next_free_sgpr 24
		.amdhsa_reserve_vcc 1
		.amdhsa_reserve_flat_scratch 0
		.amdhsa_float_round_mode_32 0
		.amdhsa_float_round_mode_16_64 0
		.amdhsa_float_denorm_mode_32 3
		.amdhsa_float_denorm_mode_16_64 3
		.amdhsa_dx10_clamp 1
		.amdhsa_ieee_mode 1
		.amdhsa_fp16_overflow 0
		.amdhsa_workgroup_processor_mode 1
		.amdhsa_memory_ordered 1
		.amdhsa_forward_progress 1
		.amdhsa_shared_vgpr_count 0
		.amdhsa_exception_fp_ieee_invalid_op 0
		.amdhsa_exception_fp_denorm_src 0
		.amdhsa_exception_fp_ieee_div_zero 0
		.amdhsa_exception_fp_ieee_overflow 0
		.amdhsa_exception_fp_ieee_underflow 0
		.amdhsa_exception_fp_ieee_inexact 0
		.amdhsa_exception_int_div_zero 0
	.end_amdhsa_kernel
	.section	.text._ZL36rocblas_hemvn_kernel_lower_block_sumILi64Ei19rocblas_complex_numIdEPS1_S1_EviT1_lS3_lT2_lT0_lPT3_i,"axG",@progbits,_ZL36rocblas_hemvn_kernel_lower_block_sumILi64Ei19rocblas_complex_numIdEPS1_S1_EviT1_lS3_lT2_lT0_lPT3_i,comdat
.Lfunc_end31:
	.size	_ZL36rocblas_hemvn_kernel_lower_block_sumILi64Ei19rocblas_complex_numIdEPS1_S1_EviT1_lS3_lT2_lT0_lPT3_i, .Lfunc_end31-_ZL36rocblas_hemvn_kernel_lower_block_sumILi64Ei19rocblas_complex_numIdEPS1_S1_EviT1_lS3_lT2_lT0_lPT3_i
                                        ; -- End function
	.set _ZL36rocblas_hemvn_kernel_lower_block_sumILi64Ei19rocblas_complex_numIdEPS1_S1_EviT1_lS3_lT2_lT0_lPT3_i.num_vgpr, 13
	.set _ZL36rocblas_hemvn_kernel_lower_block_sumILi64Ei19rocblas_complex_numIdEPS1_S1_EviT1_lS3_lT2_lT0_lPT3_i.num_agpr, 0
	.set _ZL36rocblas_hemvn_kernel_lower_block_sumILi64Ei19rocblas_complex_numIdEPS1_S1_EviT1_lS3_lT2_lT0_lPT3_i.numbered_sgpr, 24
	.set _ZL36rocblas_hemvn_kernel_lower_block_sumILi64Ei19rocblas_complex_numIdEPS1_S1_EviT1_lS3_lT2_lT0_lPT3_i.num_named_barrier, 0
	.set _ZL36rocblas_hemvn_kernel_lower_block_sumILi64Ei19rocblas_complex_numIdEPS1_S1_EviT1_lS3_lT2_lT0_lPT3_i.private_seg_size, 0
	.set _ZL36rocblas_hemvn_kernel_lower_block_sumILi64Ei19rocblas_complex_numIdEPS1_S1_EviT1_lS3_lT2_lT0_lPT3_i.uses_vcc, 1
	.set _ZL36rocblas_hemvn_kernel_lower_block_sumILi64Ei19rocblas_complex_numIdEPS1_S1_EviT1_lS3_lT2_lT0_lPT3_i.uses_flat_scratch, 0
	.set _ZL36rocblas_hemvn_kernel_lower_block_sumILi64Ei19rocblas_complex_numIdEPS1_S1_EviT1_lS3_lT2_lT0_lPT3_i.has_dyn_sized_stack, 0
	.set _ZL36rocblas_hemvn_kernel_lower_block_sumILi64Ei19rocblas_complex_numIdEPS1_S1_EviT1_lS3_lT2_lT0_lPT3_i.has_recursion, 0
	.set _ZL36rocblas_hemvn_kernel_lower_block_sumILi64Ei19rocblas_complex_numIdEPS1_S1_EviT1_lS3_lT2_lT0_lPT3_i.has_indirect_call, 0
	.section	.AMDGPU.csdata,"",@progbits
; Kernel info:
; codeLenInByte = 828
; TotalNumSgprs: 26
; NumVgprs: 13
; ScratchSize: 0
; MemoryBound: 0
; FloatMode: 240
; IeeeMode: 1
; LDSByteSize: 0 bytes/workgroup (compile time only)
; SGPRBlocks: 0
; VGPRBlocks: 1
; NumSGPRsForWavesPerEU: 26
; NumVGPRsForWavesPerEU: 13
; Occupancy: 16
; WaveLimiterHint : 0
; COMPUTE_PGM_RSRC2:SCRATCH_EN: 0
; COMPUTE_PGM_RSRC2:USER_SGPR: 6
; COMPUTE_PGM_RSRC2:TRAP_HANDLER: 0
; COMPUTE_PGM_RSRC2:TGID_X_EN: 1
; COMPUTE_PGM_RSRC2:TGID_Y_EN: 0
; COMPUTE_PGM_RSRC2:TGID_Z_EN: 1
; COMPUTE_PGM_RSRC2:TIDIG_COMP_CNT: 0
	.section	.text._ZL26rocblas_hemvn_kernel_upperILb1ELi64ELi4ELi33ELi32ELi16ElPK19rocblas_complex_numIfEPKS3_PS1_EviT6_lT7_lT5_lS8_lS9_lS7_lT8_i,"axG",@progbits,_ZL26rocblas_hemvn_kernel_upperILb1ELi64ELi4ELi33ELi32ELi16ElPK19rocblas_complex_numIfEPKS3_PS1_EviT6_lT7_lT5_lS8_lS9_lS7_lT8_i,comdat
	.globl	_ZL26rocblas_hemvn_kernel_upperILb1ELi64ELi4ELi33ELi32ELi16ElPK19rocblas_complex_numIfEPKS3_PS1_EviT6_lT7_lT5_lS8_lS9_lS7_lT8_i ; -- Begin function _ZL26rocblas_hemvn_kernel_upperILb1ELi64ELi4ELi33ELi32ELi16ElPK19rocblas_complex_numIfEPKS3_PS1_EviT6_lT7_lT5_lS8_lS9_lS7_lT8_i
	.p2align	8
	.type	_ZL26rocblas_hemvn_kernel_upperILb1ELi64ELi4ELi33ELi32ELi16ElPK19rocblas_complex_numIfEPKS3_PS1_EviT6_lT7_lT5_lS8_lS9_lS7_lT8_i,@function
_ZL26rocblas_hemvn_kernel_upperILb1ELi64ELi4ELi33ELi32ELi16ElPK19rocblas_complex_numIfEPKS3_PS1_EviT6_lT7_lT5_lS8_lS9_lS7_lT8_i: ; @_ZL26rocblas_hemvn_kernel_upperILb1ELi64ELi4ELi33ELi32ELi16ElPK19rocblas_complex_numIfEPKS3_PS1_EviT6_lT7_lT5_lS8_lS9_lS7_lT8_i
; %bb.0:
	s_load_dwordx2 s[0:1], s[4:5], 0x84
	s_add_u32 s16, s4, 0x78
	s_addc_u32 s17, s5, 0
	s_waitcnt lgkmcnt(0)
	s_lshr_b32 s2, s0, 16
	s_and_b32 s0, s0, 0xffff
	s_and_b32 s1, s1, 0xffff
	s_mul_i32 s0, s2, s0
	s_mul_i32 s0, s0, s1
	s_cmpk_lg_i32 s0, 0x100
	s_cbranch_scc1 .LBB32_201
; %bb.1:
	s_load_dwordx8 s[8:15], s[4:5], 0x8
	s_mov_b32 s18, s7
	s_mov_b32 s19, 0
	s_waitcnt lgkmcnt(0)
	s_mul_i32 s0, s11, s7
	s_mul_hi_u32 s1, s10, s7
	s_add_i32 s1, s1, s0
	s_mul_i32 s0, s10, s7
	s_lshl_b64 s[0:1], s[0:1], 3
	s_add_u32 s0, s8, s0
	s_addc_u32 s1, s9, s1
	s_load_dwordx2 s[8:9], s[0:1], 0x0
	s_clause 0x1
	s_load_dwordx2 s[20:21], s[4:5], 0x68
	s_load_dwordx4 s[0:3], s[4:5], 0x58
	s_waitcnt lgkmcnt(0)
	s_or_b32 s7, s8, s9
	s_bitset0_b32 s7, 31
	s_cmp_lg_u32 s7, 0
	s_mov_b32 s7, -1
	s_cbranch_scc1 .LBB32_3
; %bb.2:
	s_mul_i32 s3, s3, s18
	s_mul_hi_u32 s7, s2, s18
	s_mul_i32 s2, s2, s18
	s_add_i32 s3, s7, s3
	s_mov_b32 s7, 0
	s_lshl_b64 s[2:3], s[2:3], 3
	s_add_u32 s0, s0, s2
	s_addc_u32 s1, s1, s3
	s_load_dwordx2 s[0:1], s[0:1], 0x0
	s_waitcnt lgkmcnt(0)
	v_cmp_eq_f32_e64 s0, s0, 1.0
	v_cmp_eq_f32_e64 s1, s1, 0
	s_and_b32 s0, s0, s1
	s_andn2_b32 vcc_lo, exec_lo, s0
.LBB32_3:
	s_andn2_b32 vcc_lo, exec_lo, s7
	s_cbranch_vccnz .LBB32_201
; %bb.4:
	s_clause 0x1
	s_load_dwordx4 s[0:3], s[4:5], 0x38
	s_load_dword s24, s[4:5], 0x0
	s_lshl_b64 s[10:11], s[18:19], 3
	s_load_dwordx2 s[8:9], s[4:5], 0x48
	s_add_u32 s22, s12, s10
	s_addc_u32 s23, s13, s11
	s_load_dword s19, s[16:17], 0x0
	s_waitcnt lgkmcnt(0)
	s_add_u32 s0, s0, s10
	s_addc_u32 s1, s1, s11
	s_lshl_b64 s[2:3], s[2:3], 3
	s_load_dwordx2 s[0:1], s[0:1], 0x0
	s_waitcnt lgkmcnt(0)
	s_add_u32 s0, s0, s2
	s_addc_u32 s1, s1, s3
	s_lshl_b32 s12, s6, 6
	s_load_dwordx2 s[16:17], s[4:5], 0x28
	s_load_dwordx2 s[2:3], s[22:23], 0x0
	v_add_nc_u32_e32 v58, s12, v0
	s_ashr_i32 s25, s24, 31
	s_add_i32 s5, s19, -1
	s_lshr_b32 s4, s25, 26
	v_ashrrev_i32_e32 v59, 31, v58
	v_mul_lo_u32 v4, s9, v58
	v_mad_u64_u32 v[2:3], null, s8, v58, 0
	s_add_i32 s4, s24, s4
	v_mul_lo_u32 v5, s8, v59
	s_andn2_b32 s4, s4, 63
	s_sub_i32 s22, s24, s4
	s_cmp_eq_u32 s6, s5
	s_mov_b32 s4, -1
	s_cselect_b32 s10, s22, 0
	v_add3_u32 v3, v3, v5, v4
	v_lshlrev_b64 v[2:3], 3, v[2:3]
	v_add_co_u32 v16, vcc_lo, s0, v2
	v_add_co_ci_u32_e64 v17, null, s1, v3, vcc_lo
	v_cmp_eq_u32_e64 s0, 0, v1
	s_and_saveexec_b32 s1, s0
	s_cbranch_execz .LBB32_9
; %bb.5:
	v_cmp_le_i32_e32 vcc_lo, s10, v0
	s_cmp_lg_u32 s10, 0
	v_lshl_add_u32 v2, v0, 3, 0x2380
	s_cselect_b32 s5, -1, 0
	s_and_b32 s5, s5, vcc_lo
	s_and_saveexec_b32 s7, s5
	s_xor_b32 s5, exec_lo, s7
; %bb.6:
	v_mov_b32_e32 v3, 0
	v_mov_b32_e32 v4, v3
	ds_write_b64 v2, v[3:4]
                                        ; implicit-def: $vgpr2
; %bb.7:
	s_andn2_saveexec_b32 s5, s5
	s_cbranch_execz .LBB32_9
; %bb.8:
	flat_load_dwordx2 v[3:4], v[16:17]
	s_waitcnt vmcnt(0) lgkmcnt(0)
	ds_write_b64 v2, v[3:4]
.LBB32_9:
	s_or_b32 exec_lo, exec_lo, s1
	v_lshl_add_u32 v24, v1, 6, v0
	v_and_b32_e32 v2, 31, v0
	v_mov_b32_e32 v3, 0
	s_lshl_b64 s[14:15], s[14:15], 3
	s_waitcnt lgkmcnt(0)
	s_mul_hi_u32 s5, s16, s12
	v_lshrrev_b32_e32 v9, 5, v24
	s_add_u32 s11, s2, s14
	s_addc_u32 s3, s3, s15
	s_ashr_i32 s13, s12, 31
	s_mul_i32 s7, s17, s12
	v_mad_u64_u32 v[3:4], null, s16, v9, v[2:3]
	s_lshl_b64 s[14:15], s[12:13], 3
	s_mul_i32 s23, s16, s13
	s_add_u32 s11, s11, s14
	s_addc_u32 s14, s3, s15
	s_add_i32 s3, s5, s23
	s_mul_i32 s2, s16, s12
	v_mad_u64_u32 v[4:5], null, s17, v9, v[4:5]
	s_add_i32 s3, s3, s7
	v_cmp_gt_i32_e64 s1, s10, v2
	s_lshl_b64 s[2:3], s[2:3], 3
	s_cmp_eq_u32 s10, 0
	v_lshlrev_b32_e32 v10, 3, v2
	s_cselect_b32 s23, -1, 0
	v_lshlrev_b64 v[14:15], 3, v[3:4]
	s_cmp_lg_u32 s10, 0
	v_lshlrev_b32_e32 v11, 3, v2
	v_mul_u32_u24_e32 v12, 0x108, v9
	s_cselect_b32 s26, -1, 0
	v_add_co_u32 v3, vcc_lo, s11, v14
	v_add_co_ci_u32_e64 v4, null, s14, v15, vcc_lo
	s_and_b32 vcc_lo, exec_lo, s26
	v_add_co_u32 v5, s2, v3, s2
	v_add_co_ci_u32_e64 v6, null, s3, v4, s2
                                        ; implicit-def: $vgpr3_vgpr4
	s_cbranch_vccz .LBB32_27
; %bb.10:
	v_sub_co_u32 v3, vcc_lo, v5, v10
	s_ashr_i32 s11, s10, 31
	v_subrev_co_ci_u32_e64 v4, null, 0, v6, vcc_lo
	s_lshl_b64 s[2:3], s[10:11], 3
	v_add_nc_u32_e32 v7, v11, v12
	v_add_co_u32 v3, vcc_lo, v3, s2
	v_add_co_ci_u32_e64 v4, null, s3, v4, vcc_lo
	s_mov_b32 s4, exec_lo
	v_add_co_u32 v3, vcc_lo, v3, -8
	v_add_co_ci_u32_e64 v4, null, -1, v4, vcc_lo
	v_cndmask_b32_e64 v3, v3, v5, s1
	v_cndmask_b32_e64 v4, v4, v6, s1
	v_cmpx_le_i32_e64 s10, v9
	s_xor_b32 s4, exec_lo, s4
; %bb.11:
	v_mov_b32_e32 v18, 0
	v_mov_b32_e32 v19, v18
	ds_write_b64 v7, v[18:19]
; %bb.12:
	s_andn2_saveexec_b32 s4, s4
	s_cbranch_execz .LBB32_14
; %bb.13:
	flat_load_dwordx2 v[18:19], v[3:4]
	s_waitcnt vmcnt(0) lgkmcnt(0)
	ds_write_b64 v7, v[18:19]
.LBB32_14:
	s_or_b32 exec_lo, exec_lo, s4
	v_add_nc_u32_e32 v8, 8, v9
	s_mov_b32 s4, exec_lo
	v_cmpx_le_i32_e64 s10, v8
	s_xor_b32 s4, exec_lo, s4
; %bb.15:
	v_mov_b32_e32 v18, 0
	v_mov_b32_e32 v19, v18
	ds_write_b64 v7, v[18:19] offset:2112
; %bb.16:
	s_andn2_saveexec_b32 s4, s4
	s_cbranch_execz .LBB32_18
; %bb.17:
	s_lshl_b64 s[14:15], s[16:17], 6
	v_add_co_u32 v18, vcc_lo, v3, s14
	v_add_co_ci_u32_e64 v19, null, s15, v4, vcc_lo
	flat_load_dwordx2 v[18:19], v[18:19]
	s_waitcnt vmcnt(0) lgkmcnt(0)
	ds_write_b64 v7, v[18:19] offset:2112
.LBB32_18:
	s_or_b32 exec_lo, exec_lo, s4
	v_add_nc_u32_e32 v8, 16, v9
	s_mov_b32 s4, exec_lo
	v_cmpx_le_i32_e64 s10, v8
	s_xor_b32 s4, exec_lo, s4
; %bb.19:
	v_mov_b32_e32 v18, 0
	v_mov_b32_e32 v19, v18
	ds_write_b64 v7, v[18:19] offset:4224
; %bb.20:
	s_andn2_saveexec_b32 s4, s4
	s_cbranch_execz .LBB32_22
; %bb.21:
	s_lshl_b64 s[14:15], s[16:17], 7
	v_add_co_u32 v18, vcc_lo, v3, s14
	v_add_co_ci_u32_e64 v19, null, s15, v4, vcc_lo
	flat_load_dwordx2 v[18:19], v[18:19]
	s_waitcnt vmcnt(0) lgkmcnt(0)
	ds_write_b64 v7, v[18:19] offset:4224
.LBB32_22:
	s_or_b32 exec_lo, exec_lo, s4
	v_add_nc_u32_e32 v8, 24, v9
	s_mov_b32 s4, exec_lo
	v_cmpx_le_i32_e64 s10, v8
	s_xor_b32 s4, exec_lo, s4
; %bb.23:
	v_mov_b32_e32 v18, 0
	v_mov_b32_e32 v19, v18
	ds_write_b64 v7, v[18:19] offset:6336
                                        ; implicit-def: $vgpr7
; %bb.24:
	s_andn2_saveexec_b32 s4, s4
	s_cbranch_execz .LBB32_26
; %bb.25:
	v_mad_u64_u32 v[18:19], null, 0xc0, s16, v[3:4]
	v_mov_b32_e32 v8, v19
	v_mad_u64_u32 v[19:20], null, 0xc0, s17, v[8:9]
	flat_load_dwordx2 v[18:19], v[18:19]
	s_waitcnt vmcnt(0) lgkmcnt(0)
	ds_write_b64 v7, v[18:19] offset:6336
.LBB32_26:
	s_or_b32 exec_lo, exec_lo, s4
	v_add_co_u32 v3, vcc_lo, v3, v10
	v_add_co_ci_u32_e64 v4, null, 0, v4, vcc_lo
	s_mov_b32 s4, 0
	v_sub_co_u32 v3, vcc_lo, v3, s2
	v_subrev_co_ci_u32_e64 v4, null, s3, v4, vcc_lo
	v_add_co_u32 v3, vcc_lo, v3, 8
	v_add_co_ci_u32_e64 v4, null, 0, v4, vcc_lo
	v_cndmask_b32_e64 v3, v3, v5, s1
	v_cndmask_b32_e64 v4, v4, v6, s1
.LBB32_27:
	s_and_b32 vcc_lo, exec_lo, s4
	s_cbranch_vccz .LBB32_29
; %bb.28:
	s_lshl_b64 s[2:3], s[16:17], 6
	v_lshl_add_u32 v13, v2, 3, v12
	v_add_co_u32 v3, vcc_lo, v5, s2
	v_add_co_ci_u32_e64 v4, null, s3, v6, vcc_lo
	v_add_co_u32 v7, vcc_lo, v3, s2
	v_add_co_ci_u32_e64 v8, null, s3, v4, vcc_lo
	;; [unrolled: 2-line block ×3, first 2 shown]
	s_clause 0x3
	flat_load_dwordx2 v[20:21], v[5:6]
	flat_load_dwordx2 v[22:23], v[3:4]
	;; [unrolled: 1-line block ×4, first 2 shown]
	v_mov_b32_e32 v3, v5
	v_mov_b32_e32 v4, v6
	s_waitcnt vmcnt(3) lgkmcnt(3)
	ds_write_b64 v13, v[20:21]
	s_waitcnt vmcnt(2) lgkmcnt(3)
	ds_write_b64 v13, v[22:23] offset:2112
	s_waitcnt vmcnt(1) lgkmcnt(3)
	ds_write_b64 v13, v[7:8] offset:4224
	;; [unrolled: 2-line block ×3, first 2 shown]
.LBB32_29:
	v_lshlrev_b32_e32 v18, 2, v9
	v_mul_u32_u24_e32 v13, 0x108, v2
	s_mov_b32 s1, 0
	s_waitcnt lgkmcnt(0)
	s_barrier
	v_cmp_le_u32_e64 s2, v18, v2
	buffer_gl0_inv
                                        ; implicit-def: $vgpr6
	s_and_saveexec_b32 s3, s2
	s_xor_b32 s3, exec_lo, s3
	s_cbranch_execz .LBB32_33
; %bb.30:
	s_mov_b32 s4, exec_lo
                                        ; implicit-def: $vgpr6
	v_cmpx_eq_u32_e64 v18, v2
	s_xor_b32 s4, exec_lo, s4
; %bb.31:
	s_mov_b32 s1, exec_lo
	v_add_nc_u32_e32 v6, v11, v13
; %bb.32:
	s_or_b32 exec_lo, exec_lo, s4
	s_and_b32 s1, s1, exec_lo
.LBB32_33:
	s_or_saveexec_b32 s3, s3
	v_lshl_or_b32 v7, v2, 8, v11
	v_mov_b32_e32 v8, 0
	v_mad_u32_u24 v5, 0x420, v9, v11
	v_lshl_add_u32 v7, v18, 3, v7
	s_xor_b32 exec_lo, exec_lo, s3
	s_cbranch_execz .LBB32_35
; %bb.34:
	ds_read_b64 v[19:20], v5
	v_mov_b32_e32 v6, v7
	s_or_b32 s1, s1, exec_lo
	s_waitcnt lgkmcnt(0)
	v_xor_b32_e32 v8, 0x80000000, v20
	ds_write_b32 v7, v19
.LBB32_35:
	s_or_b32 exec_lo, exec_lo, s3
	s_and_saveexec_b32 s3, s1
; %bb.36:
	ds_write_b32 v6, v8 offset:4
; %bb.37:
	s_or_b32 exec_lo, exec_lo, s3
	v_or_b32_e32 v19, 1, v18
	v_cmp_ge_u32_e64 s3, v18, v2
	s_mov_b32 s1, 0
                                        ; implicit-def: $vgpr20
                                        ; implicit-def: $vgpr8
	v_mad_u32_u24 v6, 0x108, v19, v11
	s_and_saveexec_b32 s4, s3
	s_xor_b32 s4, exec_lo, s4
	s_cbranch_execz .LBB32_73
; %bb.38:
	ds_read_b64 v[21:22], v6
	s_mov_b32 s1, exec_lo
	v_add_nc_u32_e32 v8, 8, v7
	s_waitcnt lgkmcnt(0)
	v_xor_b32_e32 v20, 0x80000000, v22
	ds_write_b32 v7, v21 offset:8
	s_andn2_saveexec_b32 s4, s4
	s_cbranch_execnz .LBB32_74
.LBB32_39:
	s_or_b32 exec_lo, exec_lo, s4
	s_and_saveexec_b32 s4, s1
.LBB32_40:
	ds_write_b32 v8, v20 offset:4
.LBB32_41:
	s_or_b32 exec_lo, exec_lo, s4
	v_or_b32_e32 v21, 2, v18
	s_mov_b32 s1, 0
                                        ; implicit-def: $vgpr8
	v_cmp_le_u32_e64 s4, v21, v2
	s_and_saveexec_b32 s5, s4
	s_xor_b32 s5, exec_lo, s5
	s_cbranch_execz .LBB32_77
; %bb.42:
	s_mov_b32 s7, exec_lo
                                        ; implicit-def: $vgpr8
	v_cmpx_eq_u32_e64 v21, v2
; %bb.43:
	v_add_nc_u32_e32 v8, v11, v13
	s_mov_b32 s1, exec_lo
; %bb.44:
	s_or_b32 exec_lo, exec_lo, s7
	s_and_b32 s1, s1, exec_lo
	s_or_saveexec_b32 s5, s5
	v_mov_b32_e32 v20, 0
	s_xor_b32 exec_lo, exec_lo, s5
	s_cbranch_execnz .LBB32_78
.LBB32_45:
	s_or_b32 exec_lo, exec_lo, s5
	s_and_saveexec_b32 s5, s1
.LBB32_46:
	ds_write_b32 v8, v20 offset:4
.LBB32_47:
	s_or_b32 exec_lo, exec_lo, s5
	v_or_b32_e32 v22, 3, v18
	s_mov_b32 s1, 0
                                        ; implicit-def: $vgpr8
	v_cmp_le_u32_e64 s5, v22, v2
	s_and_saveexec_b32 s7, s5
	s_xor_b32 s7, exec_lo, s7
	s_cbranch_execz .LBB32_79
; %bb.48:
	s_mov_b32 s11, exec_lo
                                        ; implicit-def: $vgpr8
	v_cmpx_eq_u32_e64 v22, v2
; %bb.49:
	v_add_nc_u32_e32 v8, v11, v13
	s_mov_b32 s1, exec_lo
; %bb.50:
	s_or_b32 exec_lo, exec_lo, s11
	s_and_b32 s1, s1, exec_lo
                                        ; implicit-def: $vgpr7
	s_or_saveexec_b32 s7, s7
	v_mov_b32_e32 v20, 0
	s_xor_b32 exec_lo, exec_lo, s7
	s_cbranch_execnz .LBB32_80
.LBB32_51:
	s_or_b32 exec_lo, exec_lo, s7
	s_and_saveexec_b32 s7, s1
.LBB32_52:
	ds_write_b32 v8, v20 offset:4
.LBB32_53:
	s_or_b32 exec_lo, exec_lo, s7
	v_lshlrev_b32_e32 v27, 3, v18
	s_waitcnt lgkmcnt(0)
	s_barrier
	buffer_gl0_inv
	ds_read_b64 v[7:8], v5
	ds_read_b128 v[28:31], v27 offset:9088
	ds_read2_b64 v[32:35], v6 offset1:33
	ds_read_b128 v[36:39], v27 offset:9104
	ds_read_b64 v[5:6], v6 offset:528
	v_mul_u32_u24_e32 v20, 33, v2
	v_mov_b32_e32 v60, 0
	v_cmp_gt_u32_e64 s1, 32, v24
	v_mov_b32_e32 v61, 0
	s_waitcnt lgkmcnt(0)
	s_barrier
	buffer_gl0_inv
	v_mul_f32_e32 v23, v29, v8
	v_mul_f32_e32 v8, v28, v8
	;; [unrolled: 1-line block ×5, first 2 shown]
	v_fma_f32 v23, v28, v7, -v23
	v_fmac_f32_e32 v8, v29, v7
	v_mul_f32_e32 v35, v36, v35
	v_fma_f32 v25, v30, v32, -v25
	v_fmac_f32_e32 v26, v31, v32
	v_add_f32_e32 v23, 0, v23
	v_add_f32_e32 v8, 0, v8
	v_mul_f32_e32 v7, v39, v6
	v_mul_f32_e32 v6, v38, v6
	v_fma_f32 v28, v36, v34, -v33
	v_fmac_f32_e32 v35, v37, v34
	v_add_f32_e32 v23, v23, v25
	v_add_f32_e32 v8, v8, v26
	v_lshlrev_b32_e32 v25, 3, v20
	v_fma_f32 v7, v38, v5, -v7
	v_fmac_f32_e32 v6, v39, v5
	v_add_f32_e32 v5, v23, v28
	v_add_f32_e32 v8, v8, v35
	v_lshl_add_u32 v26, v9, 3, v25
	v_add_f32_e32 v5, v5, v7
	v_add_f32_e32 v6, v8, v6
	ds_write_b64 v26, v[5:6]
	s_waitcnt lgkmcnt(0)
	s_barrier
	buffer_gl0_inv
	s_and_saveexec_b32 s7, s1
	s_cbranch_execz .LBB32_55
; %bb.54:
	ds_read2_b64 v[5:8], v25 offset1:7
	ds_read2_b64 v[28:31], v25 offset0:1 offset1:2
	ds_read2_b64 v[32:35], v25 offset0:3 offset1:4
	;; [unrolled: 1-line block ×3, first 2 shown]
	s_waitcnt lgkmcnt(2)
	v_add_f32_e32 v5, v28, v5
	v_add_f32_e32 v6, v29, v6
	v_add_f32_e32 v5, v30, v5
	v_add_f32_e32 v6, v31, v6
	s_waitcnt lgkmcnt(1)
	v_add_f32_e32 v5, v5, v32
	v_add_f32_e32 v6, v6, v33
	v_add_f32_e32 v5, v5, v34
	v_add_f32_e32 v6, v6, v35
	;; [unrolled: 5-line block ×3, first 2 shown]
	v_add_f32_e32 v60, v5, v7
	v_add_f32_e32 v61, v6, v8
.LBB32_55:
	s_or_b32 exec_lo, exec_lo, s7
	s_lshl_b64 s[14:15], s[16:17], 8
	v_add_co_u32 v7, vcc_lo, v3, s14
	v_add_co_ci_u32_e64 v8, null, s15, v4, vcc_lo
	s_barrier
	v_add_co_u32 v5, vcc_lo, 0x100, v7
	v_add_co_ci_u32_e64 v6, null, 0, v8, vcc_lo
	s_and_b32 vcc_lo, exec_lo, s26
	buffer_gl0_inv
	s_cbranch_vccz .LBB32_81
; %bb.56:
	v_sub_co_u32 v3, vcc_lo, v7, v10
	s_ashr_i32 s11, s10, 31
	v_subrev_co_ci_u32_e64 v4, null, 0, v8, vcc_lo
	s_lshl_b64 s[14:15], s[10:11], 3
	v_or_b32_e32 v20, 32, v2
	v_add_co_u32 v3, vcc_lo, v3, s14
	v_add_co_ci_u32_e64 v4, null, s15, v4, vcc_lo
	s_sub_i32 s11, s10, 32
	v_add_co_u32 v3, vcc_lo, v3, -8
	v_add_co_ci_u32_e64 v4, null, -1, v4, vcc_lo
	v_cmp_gt_i32_e32 vcc_lo, s10, v20
	v_cmp_le_i32_e64 s7, s11, v9
	v_add_nc_u32_e32 v20, v11, v12
	v_cndmask_b32_e32 v4, v4, v6, vcc_lo
	v_cndmask_b32_e32 v3, v3, v5, vcc_lo
	s_and_saveexec_b32 s27, s7
	s_xor_b32 s7, exec_lo, s27
; %bb.57:
	v_mov_b32_e32 v28, 0
	v_mov_b32_e32 v29, v28
	ds_write_b64 v20, v[28:29]
; %bb.58:
	s_andn2_saveexec_b32 s7, s7
	s_cbranch_execz .LBB32_60
; %bb.59:
	flat_load_dwordx2 v[28:29], v[3:4]
	s_waitcnt vmcnt(0) lgkmcnt(0)
	ds_write_b64 v20, v[28:29]
.LBB32_60:
	s_or_b32 exec_lo, exec_lo, s7
	v_add_nc_u32_e32 v23, 8, v9
	v_cmp_le_i32_e64 s7, s11, v23
	s_and_saveexec_b32 s27, s7
	s_xor_b32 s7, exec_lo, s27
; %bb.61:
	v_mov_b32_e32 v28, 0
	v_mov_b32_e32 v29, v28
	ds_write_b64 v20, v[28:29] offset:2112
; %bb.62:
	s_andn2_saveexec_b32 s27, s7
	s_cbranch_execz .LBB32_64
; %bb.63:
	s_lshl_b64 s[28:29], s[16:17], 6
	v_add_co_u32 v28, s7, v3, s28
	v_add_co_ci_u32_e64 v29, null, s29, v4, s7
	flat_load_dwordx2 v[28:29], v[28:29]
	s_waitcnt vmcnt(0) lgkmcnt(0)
	ds_write_b64 v20, v[28:29] offset:2112
.LBB32_64:
	s_or_b32 exec_lo, exec_lo, s27
	v_add_nc_u32_e32 v23, 16, v9
	v_cmp_le_i32_e64 s7, s11, v23
	s_and_saveexec_b32 s27, s7
	s_xor_b32 s7, exec_lo, s27
; %bb.65:
	v_mov_b32_e32 v28, 0
	v_mov_b32_e32 v29, v28
	ds_write_b64 v20, v[28:29] offset:4224
; %bb.66:
	s_andn2_saveexec_b32 s27, s7
	s_cbranch_execz .LBB32_68
; %bb.67:
	s_lshl_b64 s[28:29], s[16:17], 7
	v_add_co_u32 v28, s7, v3, s28
	v_add_co_ci_u32_e64 v29, null, s29, v4, s7
	flat_load_dwordx2 v[28:29], v[28:29]
	s_waitcnt vmcnt(0) lgkmcnt(0)
	ds_write_b64 v20, v[28:29] offset:4224
.LBB32_68:
	s_or_b32 exec_lo, exec_lo, s27
	v_add_nc_u32_e32 v23, 24, v9
	v_cmp_le_i32_e64 s7, s11, v23
	s_and_saveexec_b32 s11, s7
	s_xor_b32 s7, exec_lo, s11
; %bb.69:
	v_mov_b32_e32 v28, 0
	v_mov_b32_e32 v29, v28
	ds_write_b64 v20, v[28:29] offset:6336
                                        ; implicit-def: $vgpr20
; %bb.70:
	s_andn2_saveexec_b32 s7, s7
	s_cbranch_execz .LBB32_72
; %bb.71:
	v_mad_u64_u32 v[28:29], null, 0xc0, s16, v[3:4]
	v_mov_b32_e32 v23, v29
	v_mad_u64_u32 v[29:30], null, 0xc0, s17, v[23:24]
	flat_load_dwordx2 v[28:29], v[28:29]
	s_waitcnt vmcnt(0) lgkmcnt(0)
	ds_write_b64 v20, v[28:29] offset:6336
.LBB32_72:
	s_or_b32 exec_lo, exec_lo, s7
	v_add_co_u32 v3, s7, v3, v10
	v_add_co_ci_u32_e64 v4, null, 0, v4, s7
	v_sub_co_u32 v3, s7, v3, s14
	v_subrev_co_ci_u32_e64 v4, null, s15, v4, s7
	v_add_co_u32 v3, s7, 0x108, v3
	v_add_co_ci_u32_e64 v4, null, 0, v4, s7
	v_cndmask_b32_e32 v3, v3, v5, vcc_lo
	v_cndmask_b32_e32 v4, v4, v6, vcc_lo
	v_mad_u32_u24 v20, 0x108, v9, v11
	s_branch .LBB32_83
.LBB32_73:
	s_andn2_saveexec_b32 s4, s4
	s_cbranch_execz .LBB32_39
.LBB32_74:
	s_mov_b32 s5, s1
	s_mov_b32 s7, exec_lo
                                        ; implicit-def: $vgpr8
	v_cmpx_eq_u32_e64 v19, v2
; %bb.75:
	v_add_nc_u32_e32 v8, v11, v13
	s_or_b32 s5, s1, exec_lo
; %bb.76:
	s_or_b32 exec_lo, exec_lo, s7
	v_mov_b32_e32 v20, 0
	s_andn2_b32 s1, s1, exec_lo
	s_and_b32 s5, s5, exec_lo
	s_or_b32 s1, s1, s5
	s_or_b32 exec_lo, exec_lo, s4
	s_and_saveexec_b32 s4, s1
	s_cbranch_execnz .LBB32_40
	s_branch .LBB32_41
.LBB32_77:
	s_or_saveexec_b32 s5, s5
	v_mov_b32_e32 v20, 0
	s_xor_b32 exec_lo, exec_lo, s5
	s_cbranch_execz .LBB32_45
.LBB32_78:
	v_mad_u32_u24 v8, 0x108, v21, v11
	s_or_b32 s1, s1, exec_lo
	ds_read_b64 v[22:23], v8
	v_add_nc_u32_e32 v8, 16, v7
	s_waitcnt lgkmcnt(0)
	v_xor_b32_e32 v20, 0x80000000, v23
	ds_write_b32 v7, v22 offset:16
	s_or_b32 exec_lo, exec_lo, s5
	s_and_saveexec_b32 s5, s1
	s_cbranch_execnz .LBB32_46
	s_branch .LBB32_47
.LBB32_79:
	s_or_saveexec_b32 s7, s7
	v_mov_b32_e32 v20, 0
	s_xor_b32 exec_lo, exec_lo, s7
	s_cbranch_execz .LBB32_51
.LBB32_80:
	v_mad_u32_u24 v8, 0x108, v22, v11
	s_or_b32 s1, s1, exec_lo
	ds_read_b64 v[25:26], v8
	v_add_nc_u32_e32 v8, 24, v7
	s_waitcnt lgkmcnt(0)
	v_xor_b32_e32 v20, 0x80000000, v26
	ds_write_b32 v7, v25 offset:24
	s_or_b32 exec_lo, exec_lo, s7
	s_and_saveexec_b32 s7, s1
	s_cbranch_execnz .LBB32_52
	s_branch .LBB32_53
.LBB32_81:
                                        ; implicit-def: $vgpr3_vgpr4
	v_mad_u32_u24 v20, 0x108, v9, v11
	s_cbranch_execz .LBB32_83
; %bb.82:
	s_lshl_b64 s[14:15], s[16:17], 6
	v_add_co_u32 v3, vcc_lo, v7, s14
	v_add_co_ci_u32_e64 v4, null, s15, v8, vcc_lo
	v_add_co_u32 v28, vcc_lo, v3, s14
	v_add_co_ci_u32_e64 v29, null, s15, v4, vcc_lo
	;; [unrolled: 2-line block ×3, first 2 shown]
	s_clause 0x3
	flat_load_dwordx2 v[7:8], v[7:8] offset:256
	flat_load_dwordx2 v[32:33], v[3:4] offset:256
	;; [unrolled: 1-line block ×4, first 2 shown]
	v_mov_b32_e32 v3, v5
	v_mov_b32_e32 v4, v6
	s_waitcnt vmcnt(3) lgkmcnt(3)
	ds_write_b64 v20, v[7:8]
	s_waitcnt vmcnt(2) lgkmcnt(3)
	ds_write_b64 v20, v[32:33] offset:2112
	s_waitcnt vmcnt(1) lgkmcnt(3)
	ds_write_b64 v20, v[28:29] offset:4224
	s_waitcnt vmcnt(0) lgkmcnt(3)
	ds_write_b64 v20, v[30:31] offset:6336
.LBB32_83:
	v_mul_u32_u24_e32 v5, 0x420, v9
	s_mov_b32 s7, 0
	s_waitcnt lgkmcnt(0)
	s_barrier
	buffer_gl0_inv
                                        ; implicit-def: $vgpr6
	s_and_saveexec_b32 s11, s2
	s_xor_b32 s2, exec_lo, s11
	s_cbranch_execz .LBB32_87
; %bb.84:
	s_mov_b32 s11, exec_lo
                                        ; implicit-def: $vgpr6
	v_cmpx_eq_u32_e64 v18, v2
	s_xor_b32 s11, exec_lo, s11
; %bb.85:
	v_add_nc_u32_e32 v6, v11, v13
	s_mov_b32 s7, exec_lo
; %bb.86:
	s_or_b32 exec_lo, exec_lo, s11
	s_and_b32 s7, s7, exec_lo
.LBB32_87:
	s_or_saveexec_b32 s2, s2
	v_mov_b32_e32 v7, 0
	v_add_nc_u32_e32 v23, v11, v5
	v_lshl_add_u32 v5, v18, 3, v25
	s_xor_b32 exec_lo, exec_lo, s2
	s_cbranch_execz .LBB32_89
; %bb.88:
	ds_read_b64 v[28:29], v23
	v_mov_b32_e32 v6, v5
	s_or_b32 s7, s7, exec_lo
	s_waitcnt lgkmcnt(0)
	v_xor_b32_e32 v7, 0x80000000, v29
	ds_write_b32 v5, v28
.LBB32_89:
	s_or_b32 exec_lo, exec_lo, s2
	v_mul_u32_u24_e32 v8, 0x108, v19
	s_and_saveexec_b32 s2, s7
; %bb.90:
	ds_write_b32 v6, v7 offset:4
; %bb.91:
	s_or_b32 exec_lo, exec_lo, s2
	v_add_nc_u32_e32 v28, v11, v8
	s_mov_b32 s2, 0
                                        ; implicit-def: $vgpr7
                                        ; implicit-def: $vgpr6
	s_and_saveexec_b32 s7, s3
	s_xor_b32 s3, exec_lo, s7
	s_cbranch_execz .LBB32_127
; %bb.92:
	ds_read_b64 v[18:19], v28
	s_mov_b32 s2, exec_lo
	v_add_nc_u32_e32 v6, 8, v5
	s_waitcnt lgkmcnt(0)
	v_xor_b32_e32 v7, 0x80000000, v19
	ds_write_b32 v5, v18 offset:8
                                        ; implicit-def: $vgpr19
	s_andn2_saveexec_b32 s3, s3
	s_cbranch_execnz .LBB32_128
.LBB32_93:
	s_or_b32 exec_lo, exec_lo, s3
	s_and_saveexec_b32 s3, s2
.LBB32_94:
	ds_write_b32 v6, v7 offset:4
.LBB32_95:
	s_or_b32 exec_lo, exec_lo, s3
	s_mov_b32 s2, 0
                                        ; implicit-def: $vgpr6
	s_and_saveexec_b32 s3, s4
	s_xor_b32 s3, exec_lo, s3
	s_cbranch_execz .LBB32_131
; %bb.96:
	s_mov_b32 s4, exec_lo
                                        ; implicit-def: $vgpr6
	v_cmpx_eq_u32_e64 v21, v2
; %bb.97:
	v_add_nc_u32_e32 v6, v11, v13
	s_mov_b32 s2, exec_lo
; %bb.98:
	s_or_b32 exec_lo, exec_lo, s4
	s_and_b32 s2, s2, exec_lo
	s_or_saveexec_b32 s3, s3
	v_mov_b32_e32 v7, 0
	s_xor_b32 exec_lo, exec_lo, s3
	s_cbranch_execnz .LBB32_132
.LBB32_99:
	s_or_b32 exec_lo, exec_lo, s3
	s_and_saveexec_b32 s3, s2
.LBB32_100:
	ds_write_b32 v6, v7 offset:4
.LBB32_101:
	s_or_b32 exec_lo, exec_lo, s3
	s_mov_b32 s2, 0
                                        ; implicit-def: $vgpr6
	s_and_saveexec_b32 s3, s5
	s_xor_b32 s3, exec_lo, s3
	s_cbranch_execz .LBB32_133
; %bb.102:
	s_mov_b32 s4, exec_lo
                                        ; implicit-def: $vgpr6
	v_cmpx_eq_u32_e64 v22, v2
; %bb.103:
	v_add_nc_u32_e32 v6, v11, v13
	s_mov_b32 s2, exec_lo
; %bb.104:
	s_or_b32 exec_lo, exec_lo, s4
	s_and_b32 s2, s2, exec_lo
                                        ; implicit-def: $vgpr5
	s_or_saveexec_b32 s3, s3
	v_mov_b32_e32 v8, 0
	s_xor_b32 exec_lo, exec_lo, s3
	s_cbranch_execnz .LBB32_134
.LBB32_105:
	s_or_b32 exec_lo, exec_lo, s3
	v_add_nc_u32_e32 v7, 0x2380, v27
	s_and_saveexec_b32 s3, s2
.LBB32_106:
	ds_write_b32 v6, v8 offset:4
.LBB32_107:
	s_or_b32 exec_lo, exec_lo, s3
	s_waitcnt lgkmcnt(0)
	s_barrier
	buffer_gl0_inv
	ds_read_b64 v[5:6], v23
	ds_read_b128 v[29:32], v7 offset:256
	ds_read2_b64 v[33:36], v28 offset1:33
	ds_read_b128 v[37:40], v7 offset:272
	ds_read_b64 v[18:19], v28 offset:528
	v_cmp_eq_u32_e64 s2, 1, v9
	s_waitcnt lgkmcnt(0)
	s_barrier
	buffer_gl0_inv
	v_mul_f32_e32 v8, v30, v6
	v_mul_f32_e32 v6, v29, v6
	;; [unrolled: 1-line block ×5, first 2 shown]
	v_fma_f32 v8, v29, v5, -v8
	v_fmac_f32_e32 v6, v30, v5
	v_mul_f32_e32 v27, v37, v36
	v_fma_f32 v13, v31, v33, -v13
	v_fmac_f32_e32 v21, v32, v33
	v_add_f32_e32 v8, 0, v8
	v_add_f32_e32 v6, 0, v6
	v_mul_f32_e32 v5, v40, v19
	v_mul_f32_e32 v19, v39, v19
	v_fma_f32 v22, v37, v35, -v22
	v_fmac_f32_e32 v27, v38, v35
	v_add_f32_e32 v8, v8, v13
	v_add_f32_e32 v6, v6, v21
	v_fma_f32 v5, v39, v18, -v5
	v_fmac_f32_e32 v19, v40, v18
	v_add_f32_e32 v8, v8, v22
	v_add_f32_e32 v6, v6, v27
	;; [unrolled: 1-line block ×4, first 2 shown]
	ds_write_b64 v26, v[5:6]
	s_waitcnt lgkmcnt(0)
	s_barrier
	buffer_gl0_inv
	s_and_saveexec_b32 s3, s2
	s_cbranch_execz .LBB32_109
; %bb.108:
	ds_read2_b64 v[29:32], v25 offset1:7
	ds_read2_b64 v[33:36], v25 offset0:1 offset1:2
	ds_read2_b64 v[37:40], v25 offset0:3 offset1:4
	;; [unrolled: 1-line block ×3, first 2 shown]
	s_waitcnt lgkmcnt(2)
	v_add_f32_e32 v5, v33, v29
	v_add_f32_e32 v6, v34, v30
	v_add_f32_e32 v5, v35, v5
	v_add_f32_e32 v6, v36, v6
	s_waitcnt lgkmcnt(1)
	v_add_f32_e32 v5, v5, v37
	v_add_f32_e32 v6, v6, v38
	v_add_f32_e32 v5, v5, v39
	v_add_f32_e32 v6, v6, v40
	;; [unrolled: 5-line block ×3, first 2 shown]
	v_add_f32_e32 v60, v5, v31
	v_add_f32_e32 v61, v6, v32
.LBB32_109:
	s_or_b32 exec_lo, exec_lo, s3
	v_add_co_u32 v3, vcc_lo, 0xffffff00, v3
	v_add_co_ci_u32_e64 v4, null, -1, v4, vcc_lo
	s_and_b32 vcc_lo, exec_lo, s26
	s_barrier
	buffer_gl0_inv
	s_cbranch_vccz .LBB32_135
; %bb.110:
	v_sub_co_u32 v5, vcc_lo, v3, v10
	s_ashr_i32 s11, s10, 31
	v_subrev_co_ci_u32_e64 v6, null, 0, v4, vcc_lo
	s_lshl_b64 s[4:5], s[10:11], 3
	s_sub_i32 s7, s10, 32
	v_add_co_u32 v5, vcc_lo, v5, s4
	v_add_co_ci_u32_e64 v6, null, s5, v6, vcc_lo
	v_cmp_le_i32_e64 s3, s7, v9
	v_add_co_u32 v5, vcc_lo, v5, -8
	v_add_co_ci_u32_e64 v6, null, -1, v6, vcc_lo
	v_cmp_gt_i32_e32 vcc_lo, s10, v2
	v_add_nc_u32_e32 v12, v11, v12
	v_cndmask_b32_e32 v6, v6, v4, vcc_lo
	v_cndmask_b32_e32 v5, v5, v3, vcc_lo
	s_and_saveexec_b32 s11, s3
	s_xor_b32 s3, exec_lo, s11
; %bb.111:
	v_mov_b32_e32 v18, 0
	v_mov_b32_e32 v19, v18
	ds_write_b64 v12, v[18:19]
; %bb.112:
	s_andn2_saveexec_b32 s3, s3
	s_cbranch_execz .LBB32_114
; %bb.113:
	flat_load_dwordx2 v[18:19], v[5:6]
	s_waitcnt vmcnt(0) lgkmcnt(0)
	ds_write_b64 v12, v[18:19]
.LBB32_114:
	s_or_b32 exec_lo, exec_lo, s3
	v_add_nc_u32_e32 v2, 8, v9
	v_cmp_le_i32_e64 s3, s7, v2
	s_and_saveexec_b32 s11, s3
	s_xor_b32 s3, exec_lo, s11
; %bb.115:
	v_mov_b32_e32 v18, 0
	v_mov_b32_e32 v19, v18
	ds_write_b64 v12, v[18:19] offset:2112
; %bb.116:
	s_andn2_saveexec_b32 s11, s3
	s_cbranch_execz .LBB32_118
; %bb.117:
	s_lshl_b64 s[14:15], s[16:17], 6
	v_add_co_u32 v18, s3, v5, s14
	v_add_co_ci_u32_e64 v19, null, s15, v6, s3
	flat_load_dwordx2 v[18:19], v[18:19]
	s_waitcnt vmcnt(0) lgkmcnt(0)
	ds_write_b64 v12, v[18:19] offset:2112
.LBB32_118:
	s_or_b32 exec_lo, exec_lo, s11
	v_add_nc_u32_e32 v8, 16, v9
	v_cmp_le_i32_e64 s3, s7, v8
	s_and_saveexec_b32 s11, s3
	s_xor_b32 s3, exec_lo, s11
; %bb.119:
	v_mov_b32_e32 v18, 0
	v_mov_b32_e32 v19, v18
	ds_write_b64 v12, v[18:19] offset:4224
; %bb.120:
	s_andn2_saveexec_b32 s11, s3
	s_cbranch_execz .LBB32_122
; %bb.121:
	s_lshl_b64 s[14:15], s[16:17], 7
	v_add_co_u32 v18, s3, v5, s14
	v_add_co_ci_u32_e64 v19, null, s15, v6, s3
	flat_load_dwordx2 v[18:19], v[18:19]
	s_waitcnt vmcnt(0) lgkmcnt(0)
	ds_write_b64 v12, v[18:19] offset:4224
.LBB32_122:
	s_or_b32 exec_lo, exec_lo, s11
	v_add_nc_u32_e32 v11, 24, v9
	v_cmp_le_i32_e64 s3, s7, v11
	s_and_saveexec_b32 s7, s3
	s_xor_b32 s3, exec_lo, s7
; %bb.123:
	v_mov_b32_e32 v18, 0
	v_mov_b32_e32 v19, v18
	ds_write_b64 v12, v[18:19] offset:6336
                                        ; implicit-def: $vgpr12
; %bb.124:
	s_andn2_saveexec_b32 s3, s3
	s_cbranch_execz .LBB32_126
; %bb.125:
	v_mad_u64_u32 v[18:19], null, 0xc0, s16, v[5:6]
	v_mov_b32_e32 v13, v19
	v_mad_u64_u32 v[21:22], null, 0xc0, s17, v[13:14]
	v_mov_b32_e32 v19, v21
	flat_load_dwordx2 v[18:19], v[18:19]
	s_waitcnt vmcnt(0) lgkmcnt(0)
	ds_write_b64 v12, v[18:19] offset:6336
.LBB32_126:
	s_or_b32 exec_lo, exec_lo, s3
	v_add_co_u32 v5, s3, v5, v10
	v_add_co_ci_u32_e64 v6, null, 0, v6, s3
	v_sub_co_u32 v5, s3, v5, s4
	v_subrev_co_ci_u32_e64 v6, null, s5, v6, s3
	v_add_co_u32 v5, s3, v5, 8
	v_add_co_ci_u32_e64 v6, null, 0, v6, s3
	v_cndmask_b32_e32 v18, v5, v3, vcc_lo
	v_cndmask_b32_e32 v19, v6, v4, vcc_lo
	s_branch .LBB32_137
.LBB32_127:
	s_andn2_saveexec_b32 s3, s3
	s_cbranch_execz .LBB32_93
.LBB32_128:
	s_mov_b32 s7, s2
	s_mov_b32 s11, exec_lo
                                        ; implicit-def: $vgpr6
	v_cmpx_eq_u32_e64 v19, v2
; %bb.129:
	v_add_nc_u32_e32 v6, v11, v13
	s_or_b32 s7, s2, exec_lo
; %bb.130:
	s_or_b32 exec_lo, exec_lo, s11
	v_mov_b32_e32 v7, 0
	s_andn2_b32 s2, s2, exec_lo
	s_and_b32 s7, s7, exec_lo
	s_or_b32 s2, s2, s7
	s_or_b32 exec_lo, exec_lo, s3
	s_and_saveexec_b32 s3, s2
	s_cbranch_execnz .LBB32_94
	s_branch .LBB32_95
.LBB32_131:
	s_or_saveexec_b32 s3, s3
	v_mov_b32_e32 v7, 0
	s_xor_b32 exec_lo, exec_lo, s3
	s_cbranch_execz .LBB32_99
.LBB32_132:
	ds_read_b64 v[18:19], v28 offset:264
	v_add_nc_u32_e32 v6, 16, v5
	s_or_b32 s2, s2, exec_lo
	s_waitcnt lgkmcnt(0)
	v_xor_b32_e32 v7, 0x80000000, v19
	ds_write_b32 v5, v18 offset:16
	s_or_b32 exec_lo, exec_lo, s3
	s_and_saveexec_b32 s3, s2
	s_cbranch_execnz .LBB32_100
	s_branch .LBB32_101
.LBB32_133:
	s_or_saveexec_b32 s3, s3
	v_mov_b32_e32 v8, 0
	s_xor_b32 exec_lo, exec_lo, s3
	s_cbranch_execz .LBB32_105
.LBB32_134:
	ds_read_b64 v[7:8], v28 offset:528
	v_add_nc_u32_e32 v6, 24, v5
	s_or_b32 s2, s2, exec_lo
	s_waitcnt lgkmcnt(0)
	v_xor_b32_e32 v8, 0x80000000, v8
	ds_write_b32 v5, v7 offset:24
	s_or_b32 exec_lo, exec_lo, s3
	v_add_nc_u32_e32 v7, 0x2380, v27
	s_and_saveexec_b32 s3, s2
	s_cbranch_execnz .LBB32_106
	s_branch .LBB32_107
.LBB32_135:
                                        ; implicit-def: $vgpr18_vgpr19
                                        ; implicit-def: $vgpr2
                                        ; implicit-def: $vgpr8
                                        ; implicit-def: $vgpr11
	s_cbranch_execz .LBB32_137
; %bb.136:
	s_lshl_b64 s[4:5], s[16:17], 6
	v_mov_b32_e32 v19, v4
	v_add_co_u32 v5, vcc_lo, v3, s4
	v_add_co_ci_u32_e64 v6, null, s5, v4, vcc_lo
	v_add_nc_u32_e32 v2, 8, v9
	v_add_co_u32 v10, vcc_lo, v5, s4
	v_add_co_ci_u32_e64 v11, null, s5, v6, vcc_lo
	v_add_nc_u32_e32 v8, 16, v9
	v_add_co_u32 v12, vcc_lo, v10, s4
	v_add_co_ci_u32_e64 v13, null, s5, v11, vcc_lo
	s_clause 0x3
	flat_load_dwordx2 v[21:22], v[3:4]
	flat_load_dwordx2 v[5:6], v[5:6]
	;; [unrolled: 1-line block ×4, first 2 shown]
	v_add_nc_u32_e32 v11, 24, v9
	v_mov_b32_e32 v18, v3
	s_waitcnt vmcnt(3) lgkmcnt(3)
	ds_write_b64 v20, v[21:22]
	s_waitcnt vmcnt(2) lgkmcnt(3)
	ds_write_b64 v20, v[5:6] offset:2112
	s_waitcnt vmcnt(1) lgkmcnt(3)
	ds_write_b64 v20, v[29:30] offset:4224
	s_waitcnt vmcnt(0) lgkmcnt(3)
	ds_write_b64 v20, v[12:13] offset:6336
.LBB32_137:
	v_lshlrev_b32_e32 v3, 3, v9
	v_lshlrev_b32_e32 v2, 3, v2
	s_waitcnt lgkmcnt(0)
	s_barrier
	buffer_gl0_inv
	v_add_nc_u32_e32 v5, v25, v3
	v_add_nc_u32_e32 v6, v25, v2
	v_lshlrev_b32_e32 v4, 3, v8
	v_lshlrev_b32_e32 v8, 3, v11
	ds_read_b64 v[29:30], v5
	ds_read_b64 v[31:32], v6
	ds_read_b64 v[33:34], v2 offset:9088
	ds_read_b64 v[35:36], v3 offset:9088
	v_add_nc_u32_e32 v9, v25, v4
	v_add_nc_u32_e32 v2, v25, v8
	ds_read_b64 v[37:38], v9
	ds_read_b64 v[39:40], v8 offset:9088
	ds_read_b64 v[41:42], v4 offset:9088
	ds_read_b64 v[43:44], v2
	ds_read_b128 v[10:13], v7 offset:256
	ds_read_b128 v[2:5], v7 offset:272
	ds_read2_b64 v[6:9], v28 offset1:33
	ds_read_b64 v[22:23], v23
	ds_read_b64 v[20:21], v28 offset:528
	s_waitcnt lgkmcnt(0)
	s_barrier
	buffer_gl0_inv
	v_mul_f32_e32 v27, v30, v36
	v_mul_f32_e32 v28, v30, v35
	;; [unrolled: 1-line block ×5, first 2 shown]
	v_fmac_f32_e32 v27, v29, v35
	v_fma_f32 v28, v29, v36, -v28
	v_mul_f32_e32 v38, v38, v41
	v_fmac_f32_e32 v30, v31, v33
	v_fma_f32 v31, v31, v34, -v32
	v_add_f32_e32 v27, 0, v27
	v_add_f32_e32 v28, 0, v28
	v_mul_f32_e32 v29, v44, v40
	v_mul_f32_e32 v32, v44, v39
	v_fmac_f32_e32 v45, v37, v41
	v_fma_f32 v33, v37, v42, -v38
	v_add_f32_e32 v27, v27, v30
	v_add_f32_e32 v28, v28, v31
	v_fmac_f32_e32 v29, v43, v39
	v_fma_f32 v30, v43, v40, -v32
	v_add_f32_e32 v27, v27, v45
	v_add_f32_e32 v28, v28, v33
	;; [unrolled: 1-line block ×4, first 2 shown]
	ds_write_b64 v26, v[27:28]
	s_waitcnt lgkmcnt(0)
	s_barrier
	buffer_gl0_inv
	s_and_saveexec_b32 s3, s2
	s_cbranch_execz .LBB32_139
; %bb.138:
	ds_read2_b64 v[27:30], v25 offset1:1
	ds_read2_b64 v[31:34], v25 offset0:2 offset1:3
	ds_read2_b64 v[35:38], v25 offset0:4 offset1:5
	s_waitcnt lgkmcnt(2)
	v_add_f32_e32 v27, v60, v27
	v_add_f32_e32 v28, v61, v28
	;; [unrolled: 1-line block ×4, first 2 shown]
	ds_read2_b64 v[27:30], v25 offset0:6 offset1:7
	s_waitcnt lgkmcnt(2)
	v_add_f32_e32 v31, v39, v31
	v_add_f32_e32 v32, v40, v32
	v_add_f32_e32 v31, v31, v33
	v_add_f32_e32 v32, v32, v34
	s_waitcnt lgkmcnt(1)
	v_add_f32_e32 v31, v31, v35
	v_add_f32_e32 v32, v32, v36
	v_add_f32_e32 v31, v31, v37
	v_add_f32_e32 v32, v32, v38
	;; [unrolled: 5-line block ×3, first 2 shown]
.LBB32_139:
	s_or_b32 exec_lo, exec_lo, s3
	v_mul_f32_e32 v27, v11, v23
	v_mul_f32_e32 v23, v10, v23
	;; [unrolled: 1-line block ×5, first 2 shown]
	v_fma_f32 v10, v10, v22, -v27
	v_fmac_f32_e32 v23, v11, v22
	v_mul_f32_e32 v9, v2, v9
	v_fma_f32 v12, v12, v6, -v28
	v_fmac_f32_e32 v7, v13, v6
	v_add_f32_e32 v10, 0, v10
	v_add_f32_e32 v6, 0, v23
	v_mul_f32_e32 v11, v5, v21
	v_mul_f32_e32 v13, v4, v21
	v_fma_f32 v2, v2, v8, -v29
	v_add_f32_e32 v10, v10, v12
	v_fmac_f32_e32 v9, v3, v8
	v_add_f32_e32 v3, v6, v7
	v_fma_f32 v4, v4, v20, -v11
	v_fmac_f32_e32 v13, v5, v20
	v_add_f32_e32 v2, v10, v2
	v_add_f32_e32 v3, v3, v9
	s_barrier
	buffer_gl0_inv
	v_add_f32_e32 v2, v2, v4
	v_add_f32_e32 v3, v3, v13
	ds_write_b64 v26, v[2:3]
	s_waitcnt lgkmcnt(0)
	s_barrier
	buffer_gl0_inv
	s_and_saveexec_b32 s2, s1
	s_cbranch_execz .LBB32_141
; %bb.140:
	ds_read2_b64 v[2:5], v25 offset1:1
	ds_read2_b64 v[6:9], v25 offset0:2 offset1:3
	ds_read2_b64 v[10:13], v25 offset0:4 offset1:5
	s_waitcnt lgkmcnt(2)
	v_add_f32_e32 v2, v60, v2
	v_add_f32_e32 v3, v61, v3
	;; [unrolled: 1-line block ×4, first 2 shown]
	ds_read2_b64 v[2:5], v25 offset0:6 offset1:7
	s_waitcnt lgkmcnt(2)
	v_add_f32_e32 v6, v20, v6
	v_add_f32_e32 v7, v21, v7
	v_add_f32_e32 v6, v6, v8
	v_add_f32_e32 v7, v7, v9
	s_waitcnt lgkmcnt(1)
	v_add_f32_e32 v6, v6, v10
	v_add_f32_e32 v7, v7, v11
	v_add_f32_e32 v6, v6, v12
	v_add_f32_e32 v7, v7, v13
	;; [unrolled: 5-line block ×3, first 2 shown]
.LBB32_141:
	s_or_b32 exec_lo, exec_lo, s2
	s_mul_hi_u32 s1, s24, s18
	s_mul_i32 s25, s25, s18
	s_mul_i32 s2, s24, s18
	s_add_i32 s1, s1, s25
	s_mul_hi_u32 s3, s2, s19
	s_mul_i32 s1, s1, s19
	s_mul_i32 s2, s2, s19
	s_add_i32 s3, s3, s1
	s_mul_hi_i32 s5, s24, s6
	s_lshl_b64 s[2:3], s[2:3], 3
	s_mul_i32 s4, s24, s6
	s_add_u32 s1, s20, s2
	s_addc_u32 s2, s21, s3
	s_lshl_b64 s[4:5], s[4:5], 3
	v_lshlrev_b32_e32 v95, 3, v0
	s_add_u32 s3, s1, s4
	s_addc_u32 s7, s2, s5
	s_add_i32 s1, s6, 1
	s_cmp_ge_u32 s1, s19
	s_barrier
	buffer_gl0_inv
	s_cbranch_scc1 .LBB32_199
; %bb.142:
	v_lshrrev_b32_e32 v2, 4, v24
	v_lshlrev_b32_e32 v12, 5, v1
	v_and_b32_e32 v4, 48, v0
	v_and_b32_e32 v6, 15, v0
	s_mul_i32 s1, s8, s13
	v_lshlrev_b32_e32 v3, 5, v2
	v_add_nc_u32_e32 v7, 0x110, v12
	v_lshlrev_b32_e32 v4, 3, v4
	v_add_nc_u32_e32 v9, 0x298, v12
	s_mul_hi_u32 s2, s8, s12
	v_mad_u32_u24 v103, 0x218, v6, v3
	v_mul_i32_i24_e32 v13, 0xffffffe8, v2
	v_mad_u64_u32 v[2:3], null, s16, v7, 0
	v_mad_u32_u24 v104, 0x218, v6, v4
	v_mad_u64_u32 v[4:5], null, s16, v9, 0
	s_mul_i32 s4, s9, s12
	s_add_i32 s1, s2, s1
	v_or_b32_e32 v8, 0x78, v95
	s_add_i32 s5, s1, s4
	s_mul_i32 s4, s8, s12
	v_cmp_gt_u32_e64 s1, 64, v24
	s_lshl_b64 s[4:5], s[4:5], 3
	v_mad_u32_u24 v105, 0x218, v6, v8
	v_sub_co_u32 v97, vcc_lo, v16, s4
	v_mad_u64_u32 v[6:7], null, s17, v7, v[3:4]
	v_mov_b32_e32 v3, v5
	v_subrev_co_ci_u32_e64 v98, null, s5, v17, vcc_lo
	v_add_nc_u32_e32 v16, 0x108, v12
	v_add_nc_u32_e32 v17, 0x280, v12
	v_mad_u64_u32 v[9:10], null, s17, v9, v[3:4]
	v_sub_co_u32 v20, vcc_lo, v2, v14
	v_mad_u64_u32 v[7:8], null, s16, v16, 0
	v_mad_u64_u32 v[10:11], null, s16, v17, 0
	v_sub_co_ci_u32_e64 v21, null, v6, v15, vcc_lo
	v_sub_co_u32 v22, vcc_lo, v4, v14
	v_mov_b32_e32 v2, v8
	v_add_nc_u32_e32 v8, 0x100, v12
	v_mov_b32_e32 v3, v11
	v_sub_co_ci_u32_e64 v23, null, v9, v15, vcc_lo
	v_add_nc_u32_e32 v9, 0x288, v12
	v_sub_co_u32 v11, vcc_lo, v7, v14
	v_mad_u64_u32 v[4:5], null, s17, v16, v[2:3]
	v_mad_u64_u32 v[5:6], null, s16, v8, 0
	v_add_nc_u32_e32 v25, 0x118, v12
	v_add_nc_u32_e32 v26, 0x190, v12
	;; [unrolled: 1-line block ×4, first 2 shown]
	v_mad_u64_u32 v[2:3], null, s17, v17, v[3:4]
	v_mov_b32_e32 v3, v6
	v_mad_u64_u32 v[6:7], null, s16, v9, 0
	v_sub_co_ci_u32_e64 v16, null, v4, v15, vcc_lo
	v_sub_co_u32 v17, vcc_lo, v10, v14
	v_sub_co_ci_u32_e64 v24, null, v2, v15, vcc_lo
	v_mad_u64_u32 v[2:3], null, s17, v8, v[3:4]
	v_mov_b32_e32 v3, v7
	v_mad_u64_u32 v[7:8], null, s16, v25, 0
	v_sub_co_u32 v27, vcc_lo, v5, v14
	v_mad_u64_u32 v[3:4], null, s17, v9, v[3:4]
	v_mad_u64_u32 v[9:10], null, s16, v26, 0
	v_sub_co_ci_u32_e64 v28, null, v2, v15, vcc_lo
	v_sub_co_u32 v29, vcc_lo, v6, v14
	v_mov_b32_e32 v2, v8
	v_sub_co_ci_u32_e64 v30, null, v3, v15, vcc_lo
	v_mov_b32_e32 v3, v10
	v_add_nc_u32_e32 v8, 0x290, v12
	v_add_nc_u32_e32 v10, 0x218, v12
	;; [unrolled: 1-line block ×4, first 2 shown]
	v_mad_u64_u32 v[4:5], null, s17, v25, v[2:3]
	v_mad_u64_u32 v[5:6], null, s16, v8, 0
	v_sub_co_u32 v25, vcc_lo, v7, v14
	v_lshlrev_b32_e32 v96, 2, v1
	v_add_nc_u32_e32 v99, 0x2180, v95
	v_mad_u64_u32 v[2:3], null, s17, v26, v[3:4]
	v_mov_b32_e32 v3, v6
	v_mad_u64_u32 v[6:7], null, s16, v10, 0
	v_sub_co_ci_u32_e64 v26, null, v4, v15, vcc_lo
	v_sub_co_u32 v31, vcc_lo, v9, v14
	v_sub_co_ci_u32_e64 v32, null, v2, v15, vcc_lo
	v_mad_u64_u32 v[2:3], null, s17, v8, v[3:4]
	v_mov_b32_e32 v3, v7
	v_mad_u64_u32 v[7:8], null, s16, v33, 0
	v_sub_co_u32 v35, vcc_lo, v5, v14
	v_mad_u64_u32 v[3:4], null, s17, v10, v[3:4]
	v_mad_u64_u32 v[9:10], null, s16, v34, 0
	v_sub_co_ci_u32_e64 v36, null, v2, v15, vcc_lo
	v_sub_co_u32 v37, vcc_lo, v6, v14
	v_mov_b32_e32 v2, v8
	v_sub_co_ci_u32_e64 v38, null, v3, v15, vcc_lo
	v_mov_b32_e32 v3, v10
	v_add_nc_u32_e32 v8, 0x180, v12
	v_add_nc_u32_e32 v10, 0x208, v12
	;; [unrolled: 1-line block ×4, first 2 shown]
	v_mad_u64_u32 v[4:5], null, s17, v33, v[2:3]
	v_mad_u64_u32 v[5:6], null, s16, v8, 0
	v_sub_co_u32 v33, vcc_lo, v7, v14
	v_mad_u32_u24 v102, 0x860, v1, v95
	v_or_b32_e32 v106, 3, v96
	v_mad_u64_u32 v[2:3], null, s17, v34, v[3:4]
	v_mov_b32_e32 v3, v6
	v_mad_u64_u32 v[6:7], null, s16, v10, 0
	v_sub_co_ci_u32_e64 v34, null, v4, v15, vcc_lo
	v_sub_co_u32 v39, vcc_lo, v9, v14
	v_sub_co_ci_u32_e64 v40, null, v2, v15, vcc_lo
	v_mad_u64_u32 v[2:3], null, s17, v8, v[3:4]
	v_mov_b32_e32 v3, v7
	v_mad_u64_u32 v[7:8], null, s16, v41, 0
	v_sub_co_u32 v42, vcc_lo, v5, v14
	v_mad_u64_u32 v[3:4], null, s17, v10, v[3:4]
	v_mad_u64_u32 v[9:10], null, s16, v12, 0
	v_sub_co_ci_u32_e64 v43, null, v2, v15, vcc_lo
	v_sub_co_u32 v6, vcc_lo, v6, v14
	v_mov_b32_e32 v2, v8
	v_sub_co_ci_u32_e64 v8, null, v3, v15, vcc_lo
	v_mov_b32_e32 v3, v10
	v_add_nc_u32_e32 v107, 16, v96
	v_add_nc_u32_e32 v108, 17, v96
	v_add_nc_u32_e32 v109, 18, v96
	v_add_nc_u32_e32 v110, 19, v96
	v_mad_u64_u32 v[4:5], null, s17, v41, v[2:3]
	v_add_nc_u32_e32 v111, 32, v96
	v_add_nc_u32_e32 v112, 33, v96
	;; [unrolled: 1-line block ×6, first 2 shown]
	v_mad_u64_u32 v[2:3], null, s17, v12, v[3:4]
	v_sub_co_u32 v3, vcc_lo, v7, v14
	v_sub_co_ci_u32_e64 v4, null, v4, v15, vcc_lo
	v_sub_co_u32 v5, vcc_lo, v9, v14
	v_sub_co_ci_u32_e64 v2, null, v2, v15, vcc_lo
	v_add_co_u32 v116, vcc_lo, v18, v20
	v_add_co_ci_u32_e64 v117, null, v19, v21, vcc_lo
	v_add_co_u32 v118, vcc_lo, v18, v22
	v_add_co_ci_u32_e64 v119, null, v19, v23, vcc_lo
	;; [unrolled: 2-line block ×16, first 2 shown]
	v_add_nc_u32_e32 v149, 50, v96
	v_add_nc_u32_e32 v150, v103, v13
	;; [unrolled: 1-line block ×3, first 2 shown]
	v_mov_b32_e32 v62, 0
	s_add_i32 s11, s19, -2
	s_add_i32 s12, s12, 64
	s_lshl_b64 s[4:5], s[16:17], 9
	s_cmp_eq_u32 s11, s6
	s_cselect_b32 s13, s22, 0
	s_and_saveexec_b32 s2, s0
	s_cbranch_execz .LBB32_148
	s_branch .LBB32_144
.LBB32_143:                             ;   in Loop: Header=BB32_148 Depth=1
	s_mov_b32 s6, s2
	s_cmp_eq_u32 s11, s6
	s_cselect_b32 s13, s22, 0
	s_and_saveexec_b32 s2, s0
	s_cbranch_execz .LBB32_148
.LBB32_144:
	v_cmp_le_i32_e32 vcc_lo, s13, v0
	s_cmp_lg_u32 s13, 0
	s_cselect_b32 s14, -1, 0
	s_and_b32 s14, s14, vcc_lo
	s_and_saveexec_b32 s15, s14
	s_xor_b32 s14, exec_lo, s15
; %bb.145:
	v_mov_b32_e32 v63, v62
	ds_write_b64 v99, v[62:63]
; %bb.146:
	s_andn2_saveexec_b32 s14, s14
	s_cbranch_execz .LBB32_148
; %bb.147:
	s_ashr_i32 s14, s12, 31
	s_mul_hi_u32 s15, s8, s12
	s_mul_i32 s14, s8, s14
	s_mul_i32 s16, s9, s12
	s_add_i32 s15, s15, s14
	s_mul_i32 s14, s8, s12
	s_add_i32 s15, s15, s16
	s_lshl_b64 s[14:15], s[14:15], 3
	v_add_co_u32 v2, vcc_lo, v97, s14
	v_add_co_ci_u32_e64 v3, null, s15, v98, vcc_lo
	flat_load_dwordx2 v[2:3], v[2:3]
	s_waitcnt vmcnt(0) lgkmcnt(0)
	ds_write_b64 v99, v[2:3]
.LBB32_148:                             ; =>This Inner Loop Header: Depth=1
	s_or_b32 exec_lo, exec_lo, s2
	s_cmp_eq_u32 s13, 0
	v_add_co_u32 v2, vcc_lo, v124, v95
	s_cselect_b32 s14, -1, 0
	s_cmp_lg_u32 s13, 0
	v_add_co_ci_u32_e64 v3, null, 0, v125, vcc_lo
	s_cselect_b32 s2, -1, 0
	s_waitcnt lgkmcnt(0)
	s_and_b32 vcc_lo, exec_lo, s2
	s_barrier
	buffer_gl0_inv
	s_cbranch_vccz .LBB32_156
; %bb.149:                              ;   in Loop: Header=BB32_148 Depth=1
	v_mov_b32_e32 v65, 0
	v_mov_b32_e32 v63, 0
	;; [unrolled: 1-line block ×3, first 2 shown]
	s_mov_b32 s15, exec_lo
	v_cmpx_gt_i32_e64 s13, v96
	s_cbranch_execz .LBB32_151
; %bb.150:                              ;   in Loop: Header=BB32_148 Depth=1
	flat_load_dwordx2 v[63:64], v[2:3]
.LBB32_151:                             ;   in Loop: Header=BB32_148 Depth=1
	s_or_b32 exec_lo, exec_lo, s15
	v_or_b32_e32 v4, 1, v96
	v_mov_b32_e32 v66, 0
	s_mov_b32 s15, exec_lo
	v_cmpx_gt_i32_e64 s13, v4
	s_cbranch_execz .LBB32_153
; %bb.152:                              ;   in Loop: Header=BB32_148 Depth=1
	v_add_co_u32 v4, vcc_lo, v120, v95
	v_add_co_ci_u32_e64 v5, null, 0, v121, vcc_lo
	flat_load_dwordx2 v[65:66], v[4:5]
.LBB32_153:                             ;   in Loop: Header=BB32_148 Depth=1
	s_or_b32 exec_lo, exec_lo, s15
	v_or_b32_e32 v4, 2, v96
	v_mov_b32_e32 v67, 0
	v_mov_b32_e32 v68, 0
	s_mov_b32 s15, exec_lo
	v_cmpx_gt_i32_e64 s13, v4
	s_cbranch_execz .LBB32_155
; %bb.154:                              ;   in Loop: Header=BB32_148 Depth=1
	v_add_co_u32 v4, vcc_lo, v116, v95
	v_add_co_ci_u32_e64 v5, null, 0, v117, vcc_lo
	flat_load_dwordx2 v[67:68], v[4:5]
.LBB32_155:                             ;   in Loop: Header=BB32_148 Depth=1
	s_or_b32 exec_lo, exec_lo, s15
	v_cmp_gt_i32_e64 s15, s13, v106
	s_branch .LBB32_158
.LBB32_156:                             ;   in Loop: Header=BB32_148 Depth=1
	s_mov_b32 s15, 0
                                        ; implicit-def: $vgpr64
                                        ; implicit-def: $vgpr66
                                        ; implicit-def: $vgpr68
	s_cbranch_execz .LBB32_158
; %bb.157:                              ;   in Loop: Header=BB32_148 Depth=1
	v_add_co_u32 v4, vcc_lo, v120, v95
	v_add_co_ci_u32_e64 v5, null, 0, v121, vcc_lo
	v_add_co_u32 v6, vcc_lo, v116, v95
	v_add_co_ci_u32_e64 v7, null, 0, v117, vcc_lo
	s_waitcnt vmcnt(0) lgkmcnt(0)
	flat_load_dwordx2 v[63:64], v[2:3]
	flat_load_dwordx2 v[65:66], v[4:5]
	;; [unrolled: 1-line block ×3, first 2 shown]
	s_or_b32 s15, s15, exec_lo
.LBB32_158:                             ;   in Loop: Header=BB32_148 Depth=1
	v_mov_b32_e32 v69, 0
	v_mov_b32_e32 v70, 0
	s_and_saveexec_b32 s16, s15
	s_cbranch_execz .LBB32_160
; %bb.159:                              ;   in Loop: Header=BB32_148 Depth=1
	v_add_co_u32 v2, vcc_lo, v128, v95
	v_add_co_ci_u32_e64 v3, null, 0, v129, vcc_lo
	flat_load_dwordx2 v[69:70], v[2:3]
.LBB32_160:                             ;   in Loop: Header=BB32_148 Depth=1
	s_or_b32 exec_lo, exec_lo, s16
	ds_read_b64 v[2:3], v101
	v_add_co_u32 v18, vcc_lo, v140, v95
	v_cndmask_b32_e64 v42, 0, 1, s2
	v_add_co_ci_u32_e64 v19, null, 0, v141, vcc_lo
	s_andn2_b32 vcc_lo, exec_lo, s2
	s_waitcnt vmcnt(0) lgkmcnt(0)
	v_mul_f32_e32 v10, v64, v3
	v_mul_f32_e32 v4, v64, v2
	;; [unrolled: 1-line block ×8, first 2 shown]
	v_fmac_f32_e32 v10, v63, v2
	v_fma_f32 v11, v63, v3, -v4
	v_fmac_f32_e32 v12, v65, v2
	v_fma_f32 v13, v65, v3, -v5
	;; [unrolled: 2-line block ×4, first 2 shown]
	ds_read_b128 v[6:9], v100
	ds_read_b128 v[2:5], v100 offset:16
	ds_write2_b64 v102, v[10:11], v[12:13] offset1:67
	ds_write2_b64 v102, v[14:15], v[16:17] offset0:134 offset1:201
	s_waitcnt lgkmcnt(0)
	s_barrier
	buffer_gl0_inv
	ds_read2_b64 v[14:17], v103 offset1:1
	ds_read2_b64 v[10:13], v103 offset0:2 offset1:3
	s_waitcnt lgkmcnt(0)
	s_barrier
	buffer_gl0_inv
	s_cbranch_vccnz .LBB32_168
; %bb.161:                              ;   in Loop: Header=BB32_148 Depth=1
	v_mov_b32_e32 v71, 0
	v_mov_b32_e32 v73, 0
	;; [unrolled: 1-line block ×3, first 2 shown]
	s_mov_b32 s2, exec_lo
	v_cmpx_gt_i32_e64 s13, v107
	s_cbranch_execz .LBB32_163
; %bb.162:                              ;   in Loop: Header=BB32_148 Depth=1
	flat_load_dwordx2 v[73:74], v[18:19]
.LBB32_163:                             ;   in Loop: Header=BB32_148 Depth=1
	s_or_b32 exec_lo, exec_lo, s2
	v_mov_b32_e32 v72, 0
	s_mov_b32 s2, exec_lo
	v_cmpx_gt_i32_e64 s13, v108
	s_cbranch_execz .LBB32_165
; %bb.164:                              ;   in Loop: Header=BB32_148 Depth=1
	v_add_co_u32 v20, vcc_lo, v136, v95
	v_add_co_ci_u32_e64 v21, null, 0, v137, vcc_lo
	flat_load_dwordx2 v[71:72], v[20:21]
.LBB32_165:                             ;   in Loop: Header=BB32_148 Depth=1
	s_or_b32 exec_lo, exec_lo, s2
	v_mov_b32_e32 v75, 0
	v_mov_b32_e32 v76, 0
	s_mov_b32 s2, exec_lo
	v_cmpx_gt_i32_e64 s13, v109
	s_cbranch_execz .LBB32_167
; %bb.166:                              ;   in Loop: Header=BB32_148 Depth=1
	v_add_co_u32 v20, vcc_lo, v130, v95
	v_add_co_ci_u32_e64 v21, null, 0, v131, vcc_lo
	flat_load_dwordx2 v[75:76], v[20:21]
.LBB32_167:                             ;   in Loop: Header=BB32_148 Depth=1
	s_or_b32 exec_lo, exec_lo, s2
	v_cmp_gt_i32_e64 s2, s13, v110
	s_branch .LBB32_170
.LBB32_168:                             ;   in Loop: Header=BB32_148 Depth=1
	s_mov_b32 s2, 0
                                        ; implicit-def: $vgpr74
                                        ; implicit-def: $vgpr72
                                        ; implicit-def: $vgpr76
	s_cbranch_execz .LBB32_170
; %bb.169:                              ;   in Loop: Header=BB32_148 Depth=1
	v_add_co_u32 v20, vcc_lo, v136, v95
	v_add_co_ci_u32_e64 v21, null, 0, v137, vcc_lo
	v_add_co_u32 v22, vcc_lo, v130, v95
	v_add_co_ci_u32_e64 v23, null, 0, v131, vcc_lo
	s_waitcnt vmcnt(0) lgkmcnt(0)
	flat_load_dwordx2 v[73:74], v[18:19]
	flat_load_dwordx2 v[71:72], v[20:21]
	;; [unrolled: 1-line block ×3, first 2 shown]
	s_or_b32 s2, s2, exec_lo
.LBB32_170:                             ;   in Loop: Header=BB32_148 Depth=1
	v_mov_b32_e32 v77, 0
	v_mov_b32_e32 v78, 0
	s_and_saveexec_b32 s15, s2
	s_cbranch_execz .LBB32_172
; %bb.171:                              ;   in Loop: Header=BB32_148 Depth=1
	v_add_co_u32 v18, vcc_lo, v144, v95
	v_add_co_ci_u32_e64 v19, null, 0, v145, vcc_lo
	flat_load_dwordx2 v[77:78], v[18:19]
.LBB32_172:                             ;   in Loop: Header=BB32_148 Depth=1
	s_or_b32 exec_lo, exec_lo, s15
	ds_read_b64 v[18:19], v101
	v_cmp_ne_u32_e32 vcc_lo, 1, v42
	s_and_b32 vcc_lo, exec_lo, vcc_lo
	s_waitcnt vmcnt(0) lgkmcnt(0)
	v_mul_f32_e32 v26, v74, v19
	v_mul_f32_e32 v20, v74, v18
	;; [unrolled: 1-line block ×8, first 2 shown]
	v_fmac_f32_e32 v26, v73, v18
	v_fma_f32 v27, v73, v19, -v20
	v_fmac_f32_e32 v28, v71, v18
	v_fma_f32 v29, v71, v19, -v21
	;; [unrolled: 2-line block ×4, first 2 shown]
	ds_read_b128 v[22:25], v100 offset:128
	ds_read_b128 v[18:21], v100 offset:144
	ds_write2_b64 v102, v[26:27], v[28:29] offset1:67
	ds_write2_b64 v102, v[30:31], v[32:33] offset0:134 offset1:201
	s_waitcnt lgkmcnt(0)
	s_barrier
	buffer_gl0_inv
	ds_read2_b64 v[38:41], v103 offset1:1
	ds_read2_b64 v[30:33], v103 offset0:2 offset1:3
	v_add_co_u32 v26, s2, v138, v95
	v_add_co_ci_u32_e64 v27, null, 0, v139, s2
	s_waitcnt lgkmcnt(0)
	s_barrier
	buffer_gl0_inv
	s_cbranch_vccnz .LBB32_180
; %bb.173:                              ;   in Loop: Header=BB32_148 Depth=1
	v_mov_b32_e32 v79, 0
	v_mov_b32_e32 v81, 0
	;; [unrolled: 1-line block ×3, first 2 shown]
	s_mov_b32 s2, exec_lo
	v_cmpx_gt_i32_e64 s13, v111
	s_cbranch_execz .LBB32_175
; %bb.174:                              ;   in Loop: Header=BB32_148 Depth=1
	flat_load_dwordx2 v[81:82], v[26:27]
.LBB32_175:                             ;   in Loop: Header=BB32_148 Depth=1
	s_or_b32 exec_lo, exec_lo, s2
	v_mov_b32_e32 v80, 0
	s_mov_b32 s2, exec_lo
	v_cmpx_gt_i32_e64 s13, v112
	s_cbranch_execz .LBB32_177
; %bb.176:                              ;   in Loop: Header=BB32_148 Depth=1
	v_add_co_u32 v28, vcc_lo, v142, v95
	v_add_co_ci_u32_e64 v29, null, 0, v143, vcc_lo
	flat_load_dwordx2 v[79:80], v[28:29]
.LBB32_177:                             ;   in Loop: Header=BB32_148 Depth=1
	s_or_b32 exec_lo, exec_lo, s2
	v_mov_b32_e32 v83, 0
	v_mov_b32_e32 v84, 0
	s_mov_b32 s2, exec_lo
	v_cmpx_gt_i32_e64 s13, v113
	s_cbranch_execz .LBB32_179
; %bb.178:                              ;   in Loop: Header=BB32_148 Depth=1
	v_add_co_u32 v28, vcc_lo, v146, v95
	v_add_co_ci_u32_e64 v29, null, 0, v147, vcc_lo
	flat_load_dwordx2 v[83:84], v[28:29]
.LBB32_179:                             ;   in Loop: Header=BB32_148 Depth=1
	s_or_b32 exec_lo, exec_lo, s2
	v_cmp_gt_i32_e64 s2, s13, v114
	s_branch .LBB32_182
.LBB32_180:                             ;   in Loop: Header=BB32_148 Depth=1
	s_mov_b32 s2, 0
                                        ; implicit-def: $vgpr82
                                        ; implicit-def: $vgpr80
                                        ; implicit-def: $vgpr84
	s_cbranch_execz .LBB32_182
; %bb.181:                              ;   in Loop: Header=BB32_148 Depth=1
	v_add_co_u32 v28, vcc_lo, v142, v95
	v_add_co_ci_u32_e64 v29, null, 0, v143, vcc_lo
	v_add_co_u32 v34, vcc_lo, v146, v95
	v_add_co_ci_u32_e64 v35, null, 0, v147, vcc_lo
	s_waitcnt vmcnt(0) lgkmcnt(0)
	flat_load_dwordx2 v[81:82], v[26:27]
	flat_load_dwordx2 v[79:80], v[28:29]
	;; [unrolled: 1-line block ×3, first 2 shown]
	s_or_b32 s2, s2, exec_lo
.LBB32_182:                             ;   in Loop: Header=BB32_148 Depth=1
	v_mov_b32_e32 v85, 0
	v_mov_b32_e32 v86, 0
	s_and_saveexec_b32 s15, s2
	s_cbranch_execz .LBB32_184
; %bb.183:                              ;   in Loop: Header=BB32_148 Depth=1
	v_add_co_u32 v26, vcc_lo, v134, v95
	v_add_co_ci_u32_e64 v27, null, 0, v135, vcc_lo
	flat_load_dwordx2 v[85:86], v[26:27]
.LBB32_184:                             ;   in Loop: Header=BB32_148 Depth=1
	s_or_b32 exec_lo, exec_lo, s15
	ds_read_b64 v[26:27], v101
	v_cmp_ne_u32_e32 vcc_lo, 1, v42
	v_add_co_u32 v42, s2, v122, v95
	s_and_b32 vcc_lo, exec_lo, vcc_lo
	s_waitcnt vmcnt(0) lgkmcnt(0)
	v_mul_f32_e32 v43, v82, v27
	v_mul_f32_e32 v28, v82, v26
	;; [unrolled: 1-line block ×8, first 2 shown]
	v_fmac_f32_e32 v43, v81, v26
	v_fma_f32 v44, v81, v27, -v28
	v_fmac_f32_e32 v45, v79, v26
	v_fma_f32 v46, v79, v27, -v29
	;; [unrolled: 2-line block ×4, first 2 shown]
	ds_read_b128 v[34:37], v100 offset:256
	ds_read_b128 v[26:29], v100 offset:272
	ds_write2_b64 v102, v[43:44], v[45:46] offset1:67
	ds_write2_b64 v102, v[47:48], v[49:50] offset0:134 offset1:201
	s_waitcnt lgkmcnt(0)
	s_barrier
	buffer_gl0_inv
	ds_read2_b64 v[54:57], v103 offset1:1
	ds_read2_b64 v[50:53], v103 offset0:2 offset1:3
	v_add_co_ci_u32_e64 v43, null, 0, v123, s2
	s_waitcnt lgkmcnt(0)
	s_barrier
	buffer_gl0_inv
	s_cbranch_vccnz .LBB32_192
; %bb.185:                              ;   in Loop: Header=BB32_148 Depth=1
	v_mov_b32_e32 v89, 0
	v_mov_b32_e32 v87, 0
	;; [unrolled: 1-line block ×3, first 2 shown]
	s_mov_b32 s2, exec_lo
	v_cmpx_gt_i32_e64 s13, v115
	s_cbranch_execz .LBB32_187
; %bb.186:                              ;   in Loop: Header=BB32_148 Depth=1
	flat_load_dwordx2 v[87:88], v[42:43]
.LBB32_187:                             ;   in Loop: Header=BB32_148 Depth=1
	s_or_b32 exec_lo, exec_lo, s2
	v_mov_b32_e32 v90, 0
	s_mov_b32 s2, exec_lo
	v_cmpx_gt_i32_e64 s13, v148
	s_cbranch_execz .LBB32_189
; %bb.188:                              ;   in Loop: Header=BB32_148 Depth=1
	v_add_co_u32 v44, vcc_lo, v126, v95
	v_add_co_ci_u32_e64 v45, null, 0, v127, vcc_lo
	flat_load_dwordx2 v[89:90], v[44:45]
.LBB32_189:                             ;   in Loop: Header=BB32_148 Depth=1
	s_or_b32 exec_lo, exec_lo, s2
	v_mov_b32_e32 v91, 0
	v_mov_b32_e32 v92, 0
	s_mov_b32 s2, exec_lo
	v_cmpx_gt_i32_e64 s13, v149
	s_cbranch_execz .LBB32_191
; %bb.190:                              ;   in Loop: Header=BB32_148 Depth=1
	v_add_co_u32 v44, vcc_lo, v132, v95
	v_add_co_ci_u32_e64 v45, null, 0, v133, vcc_lo
	flat_load_dwordx2 v[91:92], v[44:45]
.LBB32_191:                             ;   in Loop: Header=BB32_148 Depth=1
	s_or_b32 exec_lo, exec_lo, s2
	v_cmp_gt_i32_e64 s2, s13, v151
	s_branch .LBB32_194
.LBB32_192:                             ;   in Loop: Header=BB32_148 Depth=1
	s_mov_b32 s2, 0
                                        ; implicit-def: $vgpr88
                                        ; implicit-def: $vgpr90
                                        ; implicit-def: $vgpr92
	s_cbranch_execz .LBB32_194
; %bb.193:                              ;   in Loop: Header=BB32_148 Depth=1
	v_add_co_u32 v44, vcc_lo, v126, v95
	v_add_co_ci_u32_e64 v45, null, 0, v127, vcc_lo
	v_add_co_u32 v46, vcc_lo, v132, v95
	v_add_co_ci_u32_e64 v47, null, 0, v133, vcc_lo
	s_waitcnt vmcnt(0) lgkmcnt(0)
	flat_load_dwordx2 v[87:88], v[42:43]
	flat_load_dwordx2 v[89:90], v[44:45]
	;; [unrolled: 1-line block ×3, first 2 shown]
	s_or_b32 s2, s2, exec_lo
.LBB32_194:                             ;   in Loop: Header=BB32_148 Depth=1
	v_mov_b32_e32 v93, 0
	v_mov_b32_e32 v94, 0
	s_and_saveexec_b32 s15, s2
	s_cbranch_execz .LBB32_196
; %bb.195:                              ;   in Loop: Header=BB32_148 Depth=1
	v_add_co_u32 v42, vcc_lo, v118, v95
	v_add_co_ci_u32_e64 v43, null, 0, v119, vcc_lo
	flat_load_dwordx2 v[93:94], v[42:43]
.LBB32_196:                             ;   in Loop: Header=BB32_148 Depth=1
	s_or_b32 exec_lo, exec_lo, s15
	ds_read_b64 v[42:43], v101
	v_add_f32_e32 v54, 0, v54
	v_add_f32_e32 v55, 0, v55
	;; [unrolled: 1-line block ×6, first 2 shown]
	v_cmp_gt_i32_e32 vcc_lo, s13, v0
	v_add_f32_e32 v38, v38, v40
	v_add_f32_e32 v15, v15, v17
	;; [unrolled: 1-line block ×4, first 2 shown]
	s_or_b32 s2, s14, vcc_lo
	v_add_f32_e32 v30, v38, v30
	v_add_f32_e32 v41, v15, v11
	;; [unrolled: 1-line block ×4, first 2 shown]
	s_and_b32 s13, s1, s2
	v_add_f32_e32 v14, v30, v32
	v_add_f32_e32 v13, v41, v13
	s_waitcnt vmcnt(0) lgkmcnt(0)
	v_mul_f32_e32 v152, v88, v43
	v_mul_f32_e32 v44, v88, v42
	;; [unrolled: 1-line block ×8, first 2 shown]
	v_fmac_f32_e32 v152, v87, v42
	v_fma_f32 v153, v87, v43, -v44
	v_fmac_f32_e32 v154, v89, v42
	v_fma_f32 v155, v89, v43, -v45
	;; [unrolled: 2-line block ×4, first 2 shown]
	ds_read_b128 v[46:49], v100 offset:384
	ds_read_b128 v[42:45], v100 offset:400
	ds_write2_b64 v102, v[152:153], v[154:155] offset1:67
	ds_write2_b64 v102, v[156:157], v[158:159] offset0:134 offset1:201
	s_waitcnt lgkmcnt(0)
	s_barrier
	buffer_gl0_inv
	ds_read2_b64 v[152:155], v103 offset1:1
	v_add_f32_e32 v156, v54, v56
	v_add_f32_e32 v157, v55, v57
	ds_read2_b64 v[54:57], v103 offset0:2 offset1:3
	v_add_f32_e32 v12, v39, v12
	s_waitcnt lgkmcnt(0)
	v_add_f32_e32 v16, v156, v50
	v_add_f32_e32 v17, v157, v51
	s_barrier
	buffer_gl0_inv
	v_add_f32_e32 v10, v16, v52
	v_add_f32_e32 v11, v17, v53
	;; [unrolled: 1-line block ×11, first 2 shown]
	ds_write2_b64 v150, v[12:13], v[14:15] offset1:16
	ds_write2_b64 v150, v[10:11], v[16:17] offset0:32 offset1:48
	s_waitcnt lgkmcnt(0)
	s_barrier
	buffer_gl0_inv
	s_and_saveexec_b32 s2, s13
	s_cbranch_execz .LBB32_198
; %bb.197:                              ;   in Loop: Header=BB32_148 Depth=1
	ds_read_b64 v[38:39], v104
	ds_read2_b64 v[10:13], v104 offset0:1 offset1:2
	ds_read2_b64 v[14:17], v104 offset0:3 offset1:4
	;; [unrolled: 1-line block ×3, first 2 shown]
	s_waitcnt lgkmcnt(2)
	v_add_f32_e32 v10, v10, v38
	v_add_f32_e32 v11, v11, v39
	v_add_f32_e32 v38, v12, v10
	v_add_f32_e32 v39, v13, v11
	ds_read2_b64 v[10:13], v104 offset0:7 offset1:8
	s_waitcnt lgkmcnt(2)
	v_add_f32_e32 v14, v38, v14
	v_add_f32_e32 v15, v39, v15
	v_add_f32_e32 v38, v14, v16
	v_add_f32_e32 v39, v15, v17
	ds_read2_b64 v[14:17], v104 offset0:9 offset1:10
	;; [unrolled: 6-line block ×4, first 2 shown]
	s_waitcnt lgkmcnt(2)
	v_add_f32_e32 v14, v38, v14
	v_add_f32_e32 v15, v39, v15
	;; [unrolled: 1-line block ×4, first 2 shown]
	ds_read_b64 v[14:15], v105
	s_waitcnt lgkmcnt(2)
	v_add_f32_e32 v16, v16, v30
	v_add_f32_e32 v17, v17, v31
	v_add_f32_e32 v30, v16, v32
	v_add_f32_e32 v17, v17, v33
	v_add_nc_u32_e32 v16, s12, v0
	s_waitcnt lgkmcnt(1)
	v_add_f32_e32 v10, v30, v10
	v_add_f32_e32 v11, v17, v11
	v_ashrrev_i32_e32 v17, 31, v16
	v_add_f32_e32 v12, v10, v12
	v_add_f32_e32 v13, v11, v13
	v_lshlrev_b64 v[10:11], 3, v[16:17]
	s_waitcnt lgkmcnt(0)
	v_add_f32_e32 v12, v12, v14
	v_add_f32_e32 v13, v13, v15
	v_add_co_u32 v10, vcc_lo, s3, v10
	v_add_co_ci_u32_e64 v11, null, s7, v11, vcc_lo
	global_store_dwordx2 v[10:11], v[12:13], off
.LBB32_198:                             ;   in Loop: Header=BB32_148 Depth=1
	s_or_b32 exec_lo, exec_lo, s2
	v_mul_f32_e32 v10, v64, v7
	v_mul_f32_e32 v7, v63, v7
	;; [unrolled: 1-line block ×5, first 2 shown]
	v_fma_f32 v10, v63, v6, -v10
	v_fmac_f32_e32 v7, v64, v6
	v_fma_f32 v11, v65, v8, -v11
	v_mul_f32_e32 v3, v67, v3
	v_mul_f32_e32 v13, v70, v5
	v_add_f32_e32 v10, v60, v10
	v_fma_f32 v6, v67, v2, -v12
	v_fmac_f32_e32 v9, v66, v8
	v_add_f32_e32 v7, v61, v7
	v_mul_f32_e32 v5, v69, v5
	v_add_f32_e32 v10, v10, v11
	v_mul_f32_e32 v14, v74, v23
	v_fma_f32 v8, v69, v4, -v13
	v_fmac_f32_e32 v3, v68, v2
	v_add_f32_e32 v2, v7, v9
	v_add_f32_e32 v6, v10, v6
	v_mul_f32_e32 v15, v73, v23
	v_mul_f32_e32 v11, v72, v25
	v_fma_f32 v7, v73, v22, -v14
	v_fmac_f32_e32 v5, v70, v4
	v_add_f32_e32 v6, v6, v8
	v_add_f32_e32 v2, v2, v3
	v_mul_f32_e32 v10, v71, v25
	v_mul_f32_e32 v8, v76, v19
	v_fma_f32 v3, v71, v24, -v11
	v_add_f32_e32 v4, v6, v7
	v_fmac_f32_e32 v15, v74, v22
	v_add_f32_e32 v2, v2, v5
	v_mul_f32_e32 v6, v78, v21
	v_fma_f32 v5, v75, v18, -v8
	v_add_f32_e32 v3, v4, v3
	v_mul_f32_e32 v4, v75, v19
	v_fmac_f32_e32 v10, v72, v24
	v_add_f32_e32 v2, v2, v15
	v_fma_f32 v6, v77, v20, -v6
	v_add_f32_e32 v3, v3, v5
	v_mul_f32_e32 v5, v82, v35
	v_fmac_f32_e32 v4, v76, v18
	v_add_f32_e32 v2, v2, v10
	v_mul_f32_e32 v7, v77, v21
	v_add_f32_e32 v3, v3, v6
	v_fma_f32 v5, v81, v34, -v5
	v_mul_f32_e32 v6, v80, v37
	v_add_f32_e32 v2, v2, v4
	v_fmac_f32_e32 v7, v78, v20
	v_mul_f32_e32 v4, v81, v35
	v_add_f32_e32 v3, v3, v5
	v_fma_f32 v5, v79, v36, -v6
	v_mul_f32_e32 v6, v84, v27
	v_add_f32_e32 v2, v2, v7
	v_fmac_f32_e32 v4, v82, v34
	;; [unrolled: 6-line block ×3, first 2 shown]
	v_mul_f32_e32 v4, v83, v27
	v_add_co_u32 v116, vcc_lo, v116, s4
	v_add_f32_e32 v3, v3, v5
	v_fma_f32 v5, v85, v28, -v6
	v_add_f32_e32 v2, v2, v7
	v_fmac_f32_e32 v4, v84, v26
	v_mul_f32_e32 v6, v88, v47
	v_mul_f32_e32 v7, v85, v29
	v_add_co_ci_u32_e64 v117, null, s5, v117, vcc_lo
	v_add_co_u32 v118, vcc_lo, v118, s4
	v_add_co_ci_u32_e64 v119, null, s5, v119, vcc_lo
	v_add_co_u32 v120, vcc_lo, v120, s4
	;; [unrolled: 2-line block ×3, first 2 shown]
	v_add_f32_e32 v3, v3, v5
	v_add_f32_e32 v2, v2, v4
	v_fma_f32 v4, v87, v46, -v6
	v_mul_f32_e32 v5, v90, v49
	v_fmac_f32_e32 v7, v86, v28
	v_mul_f32_e32 v6, v87, v47
	v_add_co_ci_u32_e64 v123, null, s5, v123, vcc_lo
	v_add_co_u32 v124, vcc_lo, v124, s4
	v_add_co_ci_u32_e64 v125, null, s5, v125, vcc_lo
	v_add_co_u32 v126, vcc_lo, v126, s4
	v_add_f32_e32 v3, v3, v4
	v_fma_f32 v4, v89, v48, -v5
	v_add_f32_e32 v2, v2, v7
	v_mul_f32_e32 v5, v89, v49
	v_fmac_f32_e32 v6, v88, v46
	v_add_co_ci_u32_e64 v127, null, s5, v127, vcc_lo
	v_add_co_u32 v128, vcc_lo, v128, s4
	v_add_co_ci_u32_e64 v129, null, s5, v129, vcc_lo
	v_add_co_u32 v130, vcc_lo, v130, s4
	;; [unrolled: 2-line block ×3, first 2 shown]
	v_mul_f32_e32 v7, v92, v43
	v_add_f32_e32 v3, v3, v4
	v_mul_f32_e32 v4, v91, v43
	v_fmac_f32_e32 v5, v90, v48
	v_add_f32_e32 v2, v2, v6
	v_add_co_ci_u32_e64 v133, null, s5, v133, vcc_lo
	v_add_co_u32 v134, vcc_lo, v134, s4
	v_add_co_ci_u32_e64 v135, null, s5, v135, vcc_lo
	v_add_co_u32 v136, vcc_lo, v136, s4
	v_fma_f32 v6, v91, v42, -v7
	v_mul_f32_e32 v7, v94, v45
	v_mul_f32_e32 v8, v93, v45
	v_fmac_f32_e32 v4, v92, v42
	v_add_f32_e32 v2, v2, v5
	v_add_co_ci_u32_e64 v137, null, s5, v137, vcc_lo
	v_add_co_u32 v138, vcc_lo, v138, s4
	v_add_co_ci_u32_e64 v139, null, s5, v139, vcc_lo
	v_add_co_u32 v140, vcc_lo, v140, s4
	;; [unrolled: 2-line block ×3, first 2 shown]
	v_add_f32_e32 v3, v3, v6
	v_fma_f32 v5, v93, v44, -v7
	v_fmac_f32_e32 v8, v94, v44
	v_add_f32_e32 v2, v2, v4
	v_add_co_ci_u32_e64 v143, null, s5, v143, vcc_lo
	v_add_co_u32 v144, vcc_lo, v144, s4
	v_add_co_ci_u32_e64 v145, null, s5, v145, vcc_lo
	v_add_co_u32 v146, vcc_lo, v146, s4
	v_add_f32_e32 v60, v3, v5
	v_add_f32_e32 v61, v2, v8
	v_add_co_ci_u32_e64 v147, null, s5, v147, vcc_lo
	s_add_i32 s2, s6, 1
	s_add_i32 s6, s6, 2
	;; [unrolled: 1-line block ×3, first 2 shown]
	s_cmp_ge_u32 s6, s19
	s_waitcnt_vscnt null, 0x0
	s_barrier
	buffer_gl0_inv
	s_cbranch_scc0 .LBB32_143
.LBB32_199:
	v_cmp_gt_i32_e32 vcc_lo, s10, v0
	v_mad_u32_u24 v1, 0x218, v1, v95
	s_or_b32 s1, s23, vcc_lo
	ds_write_b64 v1, v[60:61]
	s_and_b32 s0, s0, s1
	s_waitcnt lgkmcnt(0)
	s_barrier
	buffer_gl0_inv
	s_and_saveexec_b32 s1, s0
	s_cbranch_execz .LBB32_201
; %bb.200:
	ds_read2_b64 v[0:3], v95 offset1:67
	ds_read2_b64 v[4:7], v95 offset0:134 offset1:201
	s_waitcnt lgkmcnt(1)
	v_add_f32_e32 v0, v2, v0
	v_add_f32_e32 v1, v3, v1
	s_waitcnt lgkmcnt(0)
	v_add_f32_e32 v2, v4, v0
	v_add_f32_e32 v3, v5, v1
	v_lshlrev_b64 v[0:1], 3, v[58:59]
	v_add_f32_e32 v2, v2, v6
	v_add_f32_e32 v3, v3, v7
	v_add_co_u32 v0, vcc_lo, s3, v0
	v_add_co_ci_u32_e64 v1, null, s7, v1, vcc_lo
	global_store_dwordx2 v[0:1], v[2:3], off
.LBB32_201:
	s_endpgm
	.section	.rodata,"a",@progbits
	.p2align	6, 0x0
	.amdhsa_kernel _ZL26rocblas_hemvn_kernel_upperILb1ELi64ELi4ELi33ELi32ELi16ElPK19rocblas_complex_numIfEPKS3_PS1_EviT6_lT7_lT5_lS8_lS9_lS7_lT8_i
		.amdhsa_group_segment_fixed_size 9600
		.amdhsa_private_segment_fixed_size 0
		.amdhsa_kernarg_size 376
		.amdhsa_user_sgpr_count 6
		.amdhsa_user_sgpr_private_segment_buffer 1
		.amdhsa_user_sgpr_dispatch_ptr 0
		.amdhsa_user_sgpr_queue_ptr 0
		.amdhsa_user_sgpr_kernarg_segment_ptr 1
		.amdhsa_user_sgpr_dispatch_id 0
		.amdhsa_user_sgpr_flat_scratch_init 0
		.amdhsa_user_sgpr_private_segment_size 0
		.amdhsa_wavefront_size32 1
		.amdhsa_uses_dynamic_stack 0
		.amdhsa_system_sgpr_private_segment_wavefront_offset 0
		.amdhsa_system_sgpr_workgroup_id_x 1
		.amdhsa_system_sgpr_workgroup_id_y 0
		.amdhsa_system_sgpr_workgroup_id_z 1
		.amdhsa_system_sgpr_workgroup_info 0
		.amdhsa_system_vgpr_workitem_id 1
		.amdhsa_next_free_vgpr 160
		.amdhsa_next_free_sgpr 30
		.amdhsa_reserve_vcc 1
		.amdhsa_reserve_flat_scratch 1
		.amdhsa_float_round_mode_32 0
		.amdhsa_float_round_mode_16_64 0
		.amdhsa_float_denorm_mode_32 3
		.amdhsa_float_denorm_mode_16_64 3
		.amdhsa_dx10_clamp 1
		.amdhsa_ieee_mode 1
		.amdhsa_fp16_overflow 0
		.amdhsa_workgroup_processor_mode 1
		.amdhsa_memory_ordered 1
		.amdhsa_forward_progress 1
		.amdhsa_shared_vgpr_count 0
		.amdhsa_exception_fp_ieee_invalid_op 0
		.amdhsa_exception_fp_denorm_src 0
		.amdhsa_exception_fp_ieee_div_zero 0
		.amdhsa_exception_fp_ieee_overflow 0
		.amdhsa_exception_fp_ieee_underflow 0
		.amdhsa_exception_fp_ieee_inexact 0
		.amdhsa_exception_int_div_zero 0
	.end_amdhsa_kernel
	.section	.text._ZL26rocblas_hemvn_kernel_upperILb1ELi64ELi4ELi33ELi32ELi16ElPK19rocblas_complex_numIfEPKS3_PS1_EviT6_lT7_lT5_lS8_lS9_lS7_lT8_i,"axG",@progbits,_ZL26rocblas_hemvn_kernel_upperILb1ELi64ELi4ELi33ELi32ELi16ElPK19rocblas_complex_numIfEPKS3_PS1_EviT6_lT7_lT5_lS8_lS9_lS7_lT8_i,comdat
.Lfunc_end32:
	.size	_ZL26rocblas_hemvn_kernel_upperILb1ELi64ELi4ELi33ELi32ELi16ElPK19rocblas_complex_numIfEPKS3_PS1_EviT6_lT7_lT5_lS8_lS9_lS7_lT8_i, .Lfunc_end32-_ZL26rocblas_hemvn_kernel_upperILb1ELi64ELi4ELi33ELi32ELi16ElPK19rocblas_complex_numIfEPKS3_PS1_EviT6_lT7_lT5_lS8_lS9_lS7_lT8_i
                                        ; -- End function
	.set _ZL26rocblas_hemvn_kernel_upperILb1ELi64ELi4ELi33ELi32ELi16ElPK19rocblas_complex_numIfEPKS3_PS1_EviT6_lT7_lT5_lS8_lS9_lS7_lT8_i.num_vgpr, 160
	.set _ZL26rocblas_hemvn_kernel_upperILb1ELi64ELi4ELi33ELi32ELi16ElPK19rocblas_complex_numIfEPKS3_PS1_EviT6_lT7_lT5_lS8_lS9_lS7_lT8_i.num_agpr, 0
	.set _ZL26rocblas_hemvn_kernel_upperILb1ELi64ELi4ELi33ELi32ELi16ElPK19rocblas_complex_numIfEPKS3_PS1_EviT6_lT7_lT5_lS8_lS9_lS7_lT8_i.numbered_sgpr, 30
	.set _ZL26rocblas_hemvn_kernel_upperILb1ELi64ELi4ELi33ELi32ELi16ElPK19rocblas_complex_numIfEPKS3_PS1_EviT6_lT7_lT5_lS8_lS9_lS7_lT8_i.num_named_barrier, 0
	.set _ZL26rocblas_hemvn_kernel_upperILb1ELi64ELi4ELi33ELi32ELi16ElPK19rocblas_complex_numIfEPKS3_PS1_EviT6_lT7_lT5_lS8_lS9_lS7_lT8_i.private_seg_size, 0
	.set _ZL26rocblas_hemvn_kernel_upperILb1ELi64ELi4ELi33ELi32ELi16ElPK19rocblas_complex_numIfEPKS3_PS1_EviT6_lT7_lT5_lS8_lS9_lS7_lT8_i.uses_vcc, 1
	.set _ZL26rocblas_hemvn_kernel_upperILb1ELi64ELi4ELi33ELi32ELi16ElPK19rocblas_complex_numIfEPKS3_PS1_EviT6_lT7_lT5_lS8_lS9_lS7_lT8_i.uses_flat_scratch, 1
	.set _ZL26rocblas_hemvn_kernel_upperILb1ELi64ELi4ELi33ELi32ELi16ElPK19rocblas_complex_numIfEPKS3_PS1_EviT6_lT7_lT5_lS8_lS9_lS7_lT8_i.has_dyn_sized_stack, 0
	.set _ZL26rocblas_hemvn_kernel_upperILb1ELi64ELi4ELi33ELi32ELi16ElPK19rocblas_complex_numIfEPKS3_PS1_EviT6_lT7_lT5_lS8_lS9_lS7_lT8_i.has_recursion, 0
	.set _ZL26rocblas_hemvn_kernel_upperILb1ELi64ELi4ELi33ELi32ELi16ElPK19rocblas_complex_numIfEPKS3_PS1_EviT6_lT7_lT5_lS8_lS9_lS7_lT8_i.has_indirect_call, 0
	.section	.AMDGPU.csdata,"",@progbits
; Kernel info:
; codeLenInByte = 10148
; TotalNumSgprs: 32
; NumVgprs: 160
; ScratchSize: 0
; MemoryBound: 1
; FloatMode: 240
; IeeeMode: 1
; LDSByteSize: 9600 bytes/workgroup (compile time only)
; SGPRBlocks: 0
; VGPRBlocks: 19
; NumSGPRsForWavesPerEU: 32
; NumVGPRsForWavesPerEU: 160
; Occupancy: 6
; WaveLimiterHint : 1
; COMPUTE_PGM_RSRC2:SCRATCH_EN: 0
; COMPUTE_PGM_RSRC2:USER_SGPR: 6
; COMPUTE_PGM_RSRC2:TRAP_HANDLER: 0
; COMPUTE_PGM_RSRC2:TGID_X_EN: 1
; COMPUTE_PGM_RSRC2:TGID_Y_EN: 0
; COMPUTE_PGM_RSRC2:TGID_Z_EN: 1
; COMPUTE_PGM_RSRC2:TIDIG_COMP_CNT: 1
	.section	.text._ZL36rocblas_hemvn_kernel_upper_block_sumILi64ElPK19rocblas_complex_numIfEPKPS1_S1_EviT1_lS7_lT2_lT0_lPT3_i,"axG",@progbits,_ZL36rocblas_hemvn_kernel_upper_block_sumILi64ElPK19rocblas_complex_numIfEPKPS1_S1_EviT1_lS7_lT2_lT0_lPT3_i,comdat
	.globl	_ZL36rocblas_hemvn_kernel_upper_block_sumILi64ElPK19rocblas_complex_numIfEPKPS1_S1_EviT1_lS7_lT2_lT0_lPT3_i ; -- Begin function _ZL36rocblas_hemvn_kernel_upper_block_sumILi64ElPK19rocblas_complex_numIfEPKPS1_S1_EviT1_lS7_lT2_lT0_lPT3_i
	.p2align	8
	.type	_ZL36rocblas_hemvn_kernel_upper_block_sumILi64ElPK19rocblas_complex_numIfEPKPS1_S1_EviT1_lS7_lT2_lT0_lPT3_i,@function
_ZL36rocblas_hemvn_kernel_upper_block_sumILi64ElPK19rocblas_complex_numIfEPKPS1_S1_EviT1_lS7_lT2_lT0_lPT3_i: ; @_ZL36rocblas_hemvn_kernel_upper_block_sumILi64ElPK19rocblas_complex_numIfEPKPS1_S1_EviT1_lS7_lT2_lT0_lPT3_i
; %bb.0:
	s_load_dwordx8 s[16:23], s[4:5], 0x8
	s_mov_b32 s12, s7
	s_mov_b32 s13, 0
	s_waitcnt lgkmcnt(0)
	s_mul_i32 s1, s19, s7
	s_mul_hi_u32 s2, s18, s7
	s_mul_i32 s0, s18, s7
	s_add_i32 s1, s2, s1
	s_mul_i32 s2, s23, s7
	s_lshl_b64 s[0:1], s[0:1], 3
	s_add_u32 s0, s16, s0
	s_addc_u32 s1, s17, s1
	s_load_dwordx2 s[10:11], s[0:1], 0x0
	s_mul_hi_u32 s1, s22, s7
	s_mul_i32 s0, s22, s7
	s_add_i32 s1, s1, s2
	s_lshl_b64 s[0:1], s[0:1], 3
	s_add_u32 s0, s20, s0
	s_addc_u32 s1, s21, s1
	s_load_dwordx2 s[8:9], s[0:1], 0x0
	s_waitcnt lgkmcnt(0)
	s_or_b32 s0, s10, s11
	s_bitset0_b32 s0, 31
	s_cmp_eq_u32 s0, 0
	s_cselect_b32 s15, -1, 0
	s_cmp_lg_u32 s0, 0
	s_mov_b32 s0, -1
	s_cbranch_scc1 .LBB33_2
; %bb.1:
	v_cmp_neq_f32_e64 s0, s8, 1.0
	v_cmp_neq_f32_e64 s1, s9, 0
	s_or_b32 s0, s0, s1
.LBB33_2:
	s_andn2_b32 vcc_lo, exec_lo, s0
	s_cbranch_vccnz .LBB33_19
; %bb.3:
	s_clause 0x1
	s_load_dwordx2 s[16:17], s[4:5], 0x28
	s_load_dword s14, s[4:5], 0x0
	s_lshl_b64 s[18:19], s[12:13], 3
	s_load_dwordx4 s[0:3], s[4:5], 0x30
	v_lshl_or_b32 v0, s6, 6, v0
	s_waitcnt lgkmcnt(0)
	s_add_u32 s16, s16, s18
	s_addc_u32 s17, s17, s19
	s_lshl_b64 s[18:19], s[0:1], 3
	s_load_dwordx2 s[16:17], s[16:17], 0x0
	v_cmp_gt_i32_e64 s0, s14, v0
	s_mov_b32 s1, -1
	s_waitcnt lgkmcnt(0)
	s_add_u32 s7, s16, s18
	s_addc_u32 s13, s17, s19
	s_andn2_b32 vcc_lo, exec_lo, s15
	s_cbranch_vccnz .LBB33_9
; %bb.4:
	s_and_saveexec_b32 s1, s0
	s_cbranch_execz .LBB33_8
; %bb.5:
	v_ashrrev_i32_e32 v1, 31, v0
	v_mul_lo_u32 v3, s3, v0
	v_cmp_neq_f32_e64 s0, s8, 0
	v_cmp_neq_f32_e64 s15, s9, 0
	v_mul_lo_u32 v4, s2, v1
	v_mad_u64_u32 v[1:2], null, s2, v0, 0
	s_or_b32 s0, s0, s15
	s_andn2_b32 vcc_lo, exec_lo, s0
	v_add3_u32 v2, v2, v4, v3
	v_mov_b32_e32 v3, 0
	v_mov_b32_e32 v4, 0
	v_lshlrev_b64 v[1:2], 3, v[1:2]
	s_cbranch_vccnz .LBB33_7
; %bb.6:
	v_add_co_u32 v3, vcc_lo, s7, v1
	v_add_co_ci_u32_e64 v4, null, s13, v2, vcc_lo
	flat_load_dwordx2 v[5:6], v[3:4]
	s_waitcnt vmcnt(0) lgkmcnt(0)
	v_mul_f32_e32 v3, s9, v6
	v_mul_f32_e32 v4, s8, v6
	v_fma_f32 v3, v5, s8, -v3
	v_fmac_f32_e32 v4, s9, v5
.LBB33_7:
	v_add_co_u32 v1, vcc_lo, s7, v1
	v_add_co_ci_u32_e64 v2, null, s13, v2, vcc_lo
	flat_store_dwordx2 v[1:2], v[3:4]
.LBB33_8:
	s_or_b32 exec_lo, exec_lo, s1
	s_mov_b32 s1, 0
.LBB33_9:
	s_andn2_b32 vcc_lo, exec_lo, s1
	s_cbranch_vccnz .LBB33_19
; %bb.10:
	s_mov_b32 s0, exec_lo
	v_cmpx_gt_i32_e64 s14, v0
	s_cbranch_execz .LBB33_19
; %bb.11:
	v_ashrrev_i32_e32 v1, 31, v0
	v_mov_b32_e32 v4, 0
	v_mov_b32_e32 v5, 0
	s_cmp_lt_i32 s6, 0
	s_cbranch_scc1 .LBB33_14
; %bb.12:
	s_clause 0x1
	s_load_dword s16, s[4:5], 0x58
	s_load_dwordx2 s[0:1], s[4:5], 0x48
	s_ashr_i32 s15, s14, 31
	s_mul_hi_u32 s4, s14, s12
	s_mul_i32 s5, s15, s12
	v_lshlrev_b64 v[2:3], 3, v[0:1]
	s_add_i32 s4, s4, s5
	s_mul_i32 s5, s14, s12
	v_mov_b32_e32 v4, 0
	v_mov_b32_e32 v5, 0
	s_waitcnt lgkmcnt(0)
	s_mul_i32 s12, s4, s16
	s_mul_hi_u32 s17, s5, s16
	s_mul_i32 s4, s5, s16
	s_add_i32 s5, s17, s12
	s_lshl_b64 s[16:17], s[4:5], 3
	s_add_i32 s4, s6, 1
	s_add_u32 s0, s0, s16
	s_addc_u32 s1, s1, s17
	v_add_co_u32 v2, vcc_lo, s0, v2
	v_add_co_ci_u32_e64 v3, null, s1, v3, vcc_lo
	s_lshl_b64 s[0:1], s[14:15], 3
	v_add_co_u32 v2, vcc_lo, v2, 4
	v_add_co_ci_u32_e64 v3, null, 0, v3, vcc_lo
.LBB33_13:                              ; =>This Inner Loop Header: Depth=1
	global_load_dwordx2 v[6:7], v[2:3], off offset:-4
	v_add_co_u32 v2, vcc_lo, v2, s0
	v_add_co_ci_u32_e64 v3, null, s1, v3, vcc_lo
	s_add_i32 s4, s4, -1
	s_cmp_eq_u32 s4, 0
	s_waitcnt vmcnt(0)
	v_add_f32_e32 v5, v5, v6
	v_add_f32_e32 v4, v4, v7
	s_cbranch_scc0 .LBB33_13
.LBB33_14:
	v_mul_f32_e32 v3, s11, v4
	v_mul_f32_e32 v2, s10, v4
	v_cmp_neq_f32_e64 s0, s8, 0
	v_cmp_neq_f32_e64 s1, s9, 0
	v_mul_lo_u32 v6, s3, v0
	v_mul_lo_u32 v7, s2, v1
	v_fma_f32 v1, v5, s10, -v3
	v_fmac_f32_e32 v2, s11, v5
	s_or_b32 s0, s0, s1
	s_andn2_b32 vcc_lo, exec_lo, s0
	s_mov_b32 s0, 0
	s_cbranch_vccz .LBB33_16
; %bb.15:
	v_mad_u64_u32 v[3:4], null, s2, v0, 0
	v_add3_u32 v4, v4, v7, v6
	s_andn2_b32 vcc_lo, exec_lo, s0
	s_cbranch_vccz .LBB33_17
	s_branch .LBB33_18
.LBB33_16:
                                        ; implicit-def: $vgpr3_vgpr4
.LBB33_17:
	v_mad_u64_u32 v[3:4], null, s2, v0, 0
	v_add3_u32 v4, v4, v7, v6
	v_lshlrev_b64 v[5:6], 3, v[3:4]
	v_add_co_u32 v5, vcc_lo, s7, v5
	v_add_co_ci_u32_e64 v6, null, s13, v6, vcc_lo
	flat_load_dwordx2 v[5:6], v[5:6]
	s_waitcnt vmcnt(0) lgkmcnt(0)
	v_mul_f32_e32 v0, s9, v6
	v_mul_f32_e32 v6, s8, v6
	v_fma_f32 v0, v5, s8, -v0
	v_fmac_f32_e32 v6, s9, v5
	v_add_f32_e32 v1, v1, v0
	v_add_f32_e32 v2, v2, v6
.LBB33_18:
	v_lshlrev_b64 v[3:4], 3, v[3:4]
	v_add_co_u32 v3, vcc_lo, s7, v3
	v_add_co_ci_u32_e64 v4, null, s13, v4, vcc_lo
	flat_store_dwordx2 v[3:4], v[1:2]
.LBB33_19:
	s_endpgm
	.section	.rodata,"a",@progbits
	.p2align	6, 0x0
	.amdhsa_kernel _ZL36rocblas_hemvn_kernel_upper_block_sumILi64ElPK19rocblas_complex_numIfEPKPS1_S1_EviT1_lS7_lT2_lT0_lPT3_i
		.amdhsa_group_segment_fixed_size 0
		.amdhsa_private_segment_fixed_size 0
		.amdhsa_kernarg_size 344
		.amdhsa_user_sgpr_count 6
		.amdhsa_user_sgpr_private_segment_buffer 1
		.amdhsa_user_sgpr_dispatch_ptr 0
		.amdhsa_user_sgpr_queue_ptr 0
		.amdhsa_user_sgpr_kernarg_segment_ptr 1
		.amdhsa_user_sgpr_dispatch_id 0
		.amdhsa_user_sgpr_flat_scratch_init 0
		.amdhsa_user_sgpr_private_segment_size 0
		.amdhsa_wavefront_size32 1
		.amdhsa_uses_dynamic_stack 0
		.amdhsa_system_sgpr_private_segment_wavefront_offset 0
		.amdhsa_system_sgpr_workgroup_id_x 1
		.amdhsa_system_sgpr_workgroup_id_y 0
		.amdhsa_system_sgpr_workgroup_id_z 1
		.amdhsa_system_sgpr_workgroup_info 0
		.amdhsa_system_vgpr_workitem_id 0
		.amdhsa_next_free_vgpr 8
		.amdhsa_next_free_sgpr 24
		.amdhsa_reserve_vcc 1
		.amdhsa_reserve_flat_scratch 0
		.amdhsa_float_round_mode_32 0
		.amdhsa_float_round_mode_16_64 0
		.amdhsa_float_denorm_mode_32 3
		.amdhsa_float_denorm_mode_16_64 3
		.amdhsa_dx10_clamp 1
		.amdhsa_ieee_mode 1
		.amdhsa_fp16_overflow 0
		.amdhsa_workgroup_processor_mode 1
		.amdhsa_memory_ordered 1
		.amdhsa_forward_progress 1
		.amdhsa_shared_vgpr_count 0
		.amdhsa_exception_fp_ieee_invalid_op 0
		.amdhsa_exception_fp_denorm_src 0
		.amdhsa_exception_fp_ieee_div_zero 0
		.amdhsa_exception_fp_ieee_overflow 0
		.amdhsa_exception_fp_ieee_underflow 0
		.amdhsa_exception_fp_ieee_inexact 0
		.amdhsa_exception_int_div_zero 0
	.end_amdhsa_kernel
	.section	.text._ZL36rocblas_hemvn_kernel_upper_block_sumILi64ElPK19rocblas_complex_numIfEPKPS1_S1_EviT1_lS7_lT2_lT0_lPT3_i,"axG",@progbits,_ZL36rocblas_hemvn_kernel_upper_block_sumILi64ElPK19rocblas_complex_numIfEPKPS1_S1_EviT1_lS7_lT2_lT0_lPT3_i,comdat
.Lfunc_end33:
	.size	_ZL36rocblas_hemvn_kernel_upper_block_sumILi64ElPK19rocblas_complex_numIfEPKPS1_S1_EviT1_lS7_lT2_lT0_lPT3_i, .Lfunc_end33-_ZL36rocblas_hemvn_kernel_upper_block_sumILi64ElPK19rocblas_complex_numIfEPKPS1_S1_EviT1_lS7_lT2_lT0_lPT3_i
                                        ; -- End function
	.set _ZL36rocblas_hemvn_kernel_upper_block_sumILi64ElPK19rocblas_complex_numIfEPKPS1_S1_EviT1_lS7_lT2_lT0_lPT3_i.num_vgpr, 8
	.set _ZL36rocblas_hemvn_kernel_upper_block_sumILi64ElPK19rocblas_complex_numIfEPKPS1_S1_EviT1_lS7_lT2_lT0_lPT3_i.num_agpr, 0
	.set _ZL36rocblas_hemvn_kernel_upper_block_sumILi64ElPK19rocblas_complex_numIfEPKPS1_S1_EviT1_lS7_lT2_lT0_lPT3_i.numbered_sgpr, 24
	.set _ZL36rocblas_hemvn_kernel_upper_block_sumILi64ElPK19rocblas_complex_numIfEPKPS1_S1_EviT1_lS7_lT2_lT0_lPT3_i.num_named_barrier, 0
	.set _ZL36rocblas_hemvn_kernel_upper_block_sumILi64ElPK19rocblas_complex_numIfEPKPS1_S1_EviT1_lS7_lT2_lT0_lPT3_i.private_seg_size, 0
	.set _ZL36rocblas_hemvn_kernel_upper_block_sumILi64ElPK19rocblas_complex_numIfEPKPS1_S1_EviT1_lS7_lT2_lT0_lPT3_i.uses_vcc, 1
	.set _ZL36rocblas_hemvn_kernel_upper_block_sumILi64ElPK19rocblas_complex_numIfEPKPS1_S1_EviT1_lS7_lT2_lT0_lPT3_i.uses_flat_scratch, 0
	.set _ZL36rocblas_hemvn_kernel_upper_block_sumILi64ElPK19rocblas_complex_numIfEPKPS1_S1_EviT1_lS7_lT2_lT0_lPT3_i.has_dyn_sized_stack, 0
	.set _ZL36rocblas_hemvn_kernel_upper_block_sumILi64ElPK19rocblas_complex_numIfEPKPS1_S1_EviT1_lS7_lT2_lT0_lPT3_i.has_recursion, 0
	.set _ZL36rocblas_hemvn_kernel_upper_block_sumILi64ElPK19rocblas_complex_numIfEPKPS1_S1_EviT1_lS7_lT2_lT0_lPT3_i.has_indirect_call, 0
	.section	.AMDGPU.csdata,"",@progbits
; Kernel info:
; codeLenInByte = 848
; TotalNumSgprs: 26
; NumVgprs: 8
; ScratchSize: 0
; MemoryBound: 0
; FloatMode: 240
; IeeeMode: 1
; LDSByteSize: 0 bytes/workgroup (compile time only)
; SGPRBlocks: 0
; VGPRBlocks: 0
; NumSGPRsForWavesPerEU: 26
; NumVGPRsForWavesPerEU: 8
; Occupancy: 16
; WaveLimiterHint : 1
; COMPUTE_PGM_RSRC2:SCRATCH_EN: 0
; COMPUTE_PGM_RSRC2:USER_SGPR: 6
; COMPUTE_PGM_RSRC2:TRAP_HANDLER: 0
; COMPUTE_PGM_RSRC2:TGID_X_EN: 1
; COMPUTE_PGM_RSRC2:TGID_Y_EN: 0
; COMPUTE_PGM_RSRC2:TGID_Z_EN: 1
; COMPUTE_PGM_RSRC2:TIDIG_COMP_CNT: 0
	.section	.text._ZL26rocblas_hemvn_kernel_upperILb1ELi64ELi4ELi33ELi32ELi16EiPK19rocblas_complex_numIfEPKS3_PS1_EviT6_lT7_lT5_lS8_lS9_lS7_lT8_i,"axG",@progbits,_ZL26rocblas_hemvn_kernel_upperILb1ELi64ELi4ELi33ELi32ELi16EiPK19rocblas_complex_numIfEPKS3_PS1_EviT6_lT7_lT5_lS8_lS9_lS7_lT8_i,comdat
	.globl	_ZL26rocblas_hemvn_kernel_upperILb1ELi64ELi4ELi33ELi32ELi16EiPK19rocblas_complex_numIfEPKS3_PS1_EviT6_lT7_lT5_lS8_lS9_lS7_lT8_i ; -- Begin function _ZL26rocblas_hemvn_kernel_upperILb1ELi64ELi4ELi33ELi32ELi16EiPK19rocblas_complex_numIfEPKS3_PS1_EviT6_lT7_lT5_lS8_lS9_lS7_lT8_i
	.p2align	8
	.type	_ZL26rocblas_hemvn_kernel_upperILb1ELi64ELi4ELi33ELi32ELi16EiPK19rocblas_complex_numIfEPKS3_PS1_EviT6_lT7_lT5_lS8_lS9_lS7_lT8_i,@function
_ZL26rocblas_hemvn_kernel_upperILb1ELi64ELi4ELi33ELi32ELi16EiPK19rocblas_complex_numIfEPKS3_PS1_EviT6_lT7_lT5_lS8_lS9_lS7_lT8_i: ; @_ZL26rocblas_hemvn_kernel_upperILb1ELi64ELi4ELi33ELi32ELi16EiPK19rocblas_complex_numIfEPKS3_PS1_EviT6_lT7_lT5_lS8_lS9_lS7_lT8_i
; %bb.0:
	s_load_dwordx2 s[0:1], s[4:5], 0x84
	s_add_u32 s20, s4, 0x78
	s_addc_u32 s21, s5, 0
	s_waitcnt lgkmcnt(0)
	s_lshr_b32 s2, s0, 16
	s_and_b32 s0, s0, 0xffff
	s_and_b32 s1, s1, 0xffff
	s_mul_i32 s0, s2, s0
	s_mul_i32 s0, s0, s1
	s_cmpk_lg_i32 s0, 0x100
	s_cbranch_scc1 .LBB34_201
; %bb.1:
	s_load_dwordx8 s[8:15], s[4:5], 0x8
	s_mov_b32 s16, s7
	s_mov_b32 s17, 0
	s_waitcnt lgkmcnt(0)
	s_mul_i32 s0, s11, s7
	s_mul_hi_u32 s1, s10, s7
	s_add_i32 s1, s1, s0
	s_mul_i32 s0, s10, s7
	s_lshl_b64 s[0:1], s[0:1], 3
	s_add_u32 s0, s8, s0
	s_addc_u32 s1, s9, s1
	s_load_dwordx2 s[8:9], s[0:1], 0x0
	s_clause 0x1
	s_load_dwordx2 s[10:11], s[4:5], 0x68
	s_load_dwordx4 s[0:3], s[4:5], 0x58
	s_waitcnt lgkmcnt(0)
	s_or_b32 s7, s8, s9
	s_bitset0_b32 s7, 31
	s_cmp_lg_u32 s7, 0
	s_mov_b32 s7, -1
	s_cbranch_scc1 .LBB34_3
; %bb.2:
	s_mul_i32 s3, s3, s16
	s_mul_hi_u32 s7, s2, s16
	s_mul_i32 s2, s2, s16
	s_add_i32 s3, s7, s3
	s_mov_b32 s7, 0
	s_lshl_b64 s[2:3], s[2:3], 3
	s_add_u32 s0, s0, s2
	s_addc_u32 s1, s1, s3
	s_load_dwordx2 s[0:1], s[0:1], 0x0
	s_waitcnt lgkmcnt(0)
	v_cmp_eq_f32_e64 s0, s0, 1.0
	v_cmp_eq_f32_e64 s1, s1, 0
	s_and_b32 s0, s0, s1
	s_andn2_b32 vcc_lo, exec_lo, s0
.LBB34_3:
	s_andn2_b32 vcc_lo, exec_lo, s7
	s_cbranch_vccnz .LBB34_201
; %bb.4:
	s_load_dwordx4 s[0:3], s[4:5], 0x38
	s_lshl_b64 s[8:9], s[16:17], 3
	s_load_dword s17, s[4:5], 0x48
	s_add_u32 s12, s12, s8
	s_addc_u32 s13, s13, s9
	s_waitcnt lgkmcnt(0)
	s_add_u32 s0, s0, s8
	s_addc_u32 s1, s1, s9
	s_lshl_b64 s[2:3], s[2:3], 3
	s_load_dwordx2 s[0:1], s[0:1], 0x0
	s_load_dword s27, s[4:5], 0x0
	s_load_dword s24, s[20:21], 0x0
	s_waitcnt lgkmcnt(0)
	s_add_u32 s0, s0, s2
	s_addc_u32 s1, s1, s3
	s_lshl_b32 s18, s6, 6
	s_load_dwordx2 s[2:3], s[12:13], 0x0
	v_add_nc_u32_e32 v58, s18, v0
	s_ashr_i32 s28, s27, 31
	s_add_i32 s8, s24, -1
	s_lshr_b32 s7, s28, 26
	v_mul_lo_u32 v2, s17, v58
	s_add_i32 s7, s27, s7
	s_andn2_b32 s7, s7, 63
	s_sub_i32 s25, s27, s7
	s_cmp_eq_u32 s6, s8
	s_mov_b32 s7, -1
	v_ashrrev_i32_e32 v3, 31, v2
	s_cselect_b32 s8, s25, 0
	v_lshlrev_b64 v[2:3], 3, v[2:3]
	v_add_co_u32 v16, vcc_lo, s0, v2
	v_add_co_ci_u32_e64 v17, null, s1, v3, vcc_lo
	v_cmp_eq_u32_e64 s0, 0, v1
	s_and_saveexec_b32 s1, s0
	s_cbranch_execz .LBB34_9
; %bb.5:
	v_cmp_le_i32_e32 vcc_lo, s8, v0
	s_cmp_lg_u32 s8, 0
	v_lshl_add_u32 v2, v0, 3, 0x2380
	s_cselect_b32 s9, -1, 0
	s_and_b32 s9, s9, vcc_lo
	s_and_saveexec_b32 s12, s9
	s_xor_b32 s9, exec_lo, s12
; %bb.6:
	v_mov_b32_e32 v3, 0
	v_mov_b32_e32 v4, v3
	ds_write_b64 v2, v[3:4]
                                        ; implicit-def: $vgpr2
; %bb.7:
	s_andn2_saveexec_b32 s9, s9
	s_cbranch_execz .LBB34_9
; %bb.8:
	flat_load_dwordx2 v[3:4], v[16:17]
	s_waitcnt vmcnt(0) lgkmcnt(0)
	ds_write_b64 v2, v[3:4]
.LBB34_9:
	s_or_b32 exec_lo, exec_lo, s1
	s_load_dword s12, s[4:5], 0x28
	v_lshl_add_u32 v24, v1, 6, v0
	v_and_b32_e32 v2, 31, v0
	s_lshl_b64 s[4:5], s[14:15], 3
	s_waitcnt lgkmcnt(0)
	s_add_u32 s1, s2, s4
	v_lshrrev_b32_e32 v9, 5, v24
	s_addc_u32 s4, s3, s5
	s_ashr_i32 s19, s18, 31
	v_lshlrev_b32_e32 v10, 3, v2
	s_lshl_b64 s[2:3], s[18:19], 3
	v_mul_u32_u24_e32 v11, 0x108, v9
	s_add_u32 s5, s1, s2
	s_addc_u32 s4, s4, s3
	v_cmp_gt_i32_e64 s1, s8, v2
	v_mad_u64_u32 v[3:4], null, s12, v9, v[2:3]
	s_mul_i32 s2, s12, s18
	s_ashr_i32 s3, s2, 31
	s_lshl_b64 s[2:3], s[2:3], 3
	s_cmp_eq_u32 s8, 0
	v_ashrrev_i32_e32 v4, 31, v3
	s_cselect_b32 s26, -1, 0
	s_cmp_lg_u32 s8, 0
	s_cselect_b32 s19, -1, 0
	v_lshlrev_b64 v[14:15], 3, v[3:4]
	v_add_co_u32 v3, vcc_lo, s5, v14
	v_add_co_ci_u32_e64 v4, null, s4, v15, vcc_lo
	s_and_b32 vcc_lo, exec_lo, s19
	v_add_co_u32 v5, s2, v3, s2
	v_add_co_ci_u32_e64 v6, null, s3, v4, s2
                                        ; implicit-def: $vgpr3_vgpr4
	s_cbranch_vccz .LBB34_27
; %bb.10:
	v_sub_co_u32 v3, vcc_lo, v5, v10
	s_ashr_i32 s9, s8, 31
	v_subrev_co_ci_u32_e64 v4, null, 0, v6, vcc_lo
	s_lshl_b64 s[2:3], s[8:9], 3
	v_add_nc_u32_e32 v7, v10, v11
	v_add_co_u32 v3, vcc_lo, v3, s2
	v_add_co_ci_u32_e64 v4, null, s3, v4, vcc_lo
	s_mov_b32 s4, exec_lo
	v_add_co_u32 v3, vcc_lo, v3, -8
	v_add_co_ci_u32_e64 v4, null, -1, v4, vcc_lo
	v_cndmask_b32_e64 v3, v3, v5, s1
	v_cndmask_b32_e64 v4, v4, v6, s1
	v_cmpx_le_i32_e64 s8, v9
	s_xor_b32 s4, exec_lo, s4
; %bb.11:
	v_mov_b32_e32 v12, 0
	v_mov_b32_e32 v13, v12
	ds_write_b64 v7, v[12:13]
; %bb.12:
	s_andn2_saveexec_b32 s4, s4
	s_cbranch_execz .LBB34_14
; %bb.13:
	flat_load_dwordx2 v[12:13], v[3:4]
	s_waitcnt vmcnt(0) lgkmcnt(0)
	ds_write_b64 v7, v[12:13]
.LBB34_14:
	s_or_b32 exec_lo, exec_lo, s4
	v_add_nc_u32_e32 v8, 8, v9
	s_mov_b32 s4, exec_lo
	v_cmpx_le_i32_e64 s8, v8
	s_xor_b32 s4, exec_lo, s4
; %bb.15:
	v_mov_b32_e32 v12, 0
	v_mov_b32_e32 v13, v12
	ds_write_b64 v7, v[12:13] offset:2112
; %bb.16:
	s_andn2_saveexec_b32 s4, s4
	s_cbranch_execz .LBB34_18
; %bb.17:
	s_lshl_b32 s14, s12, 3
	s_ashr_i32 s15, s14, 31
	s_lshl_b64 s[14:15], s[14:15], 3
	v_add_co_u32 v12, vcc_lo, v3, s14
	v_add_co_ci_u32_e64 v13, null, s15, v4, vcc_lo
	flat_load_dwordx2 v[12:13], v[12:13]
	s_waitcnt vmcnt(0) lgkmcnt(0)
	ds_write_b64 v7, v[12:13] offset:2112
.LBB34_18:
	s_or_b32 exec_lo, exec_lo, s4
	v_add_nc_u32_e32 v8, 16, v9
	s_mov_b32 s4, exec_lo
	v_cmpx_le_i32_e64 s8, v8
	s_xor_b32 s4, exec_lo, s4
; %bb.19:
	v_mov_b32_e32 v12, 0
	v_mov_b32_e32 v13, v12
	ds_write_b64 v7, v[12:13] offset:4224
; %bb.20:
	s_andn2_saveexec_b32 s4, s4
	s_cbranch_execz .LBB34_22
; %bb.21:
	s_lshl_b32 s14, s12, 4
	s_ashr_i32 s15, s14, 31
	s_lshl_b64 s[14:15], s[14:15], 3
	v_add_co_u32 v12, vcc_lo, v3, s14
	v_add_co_ci_u32_e64 v13, null, s15, v4, vcc_lo
	flat_load_dwordx2 v[12:13], v[12:13]
	s_waitcnt vmcnt(0) lgkmcnt(0)
	ds_write_b64 v7, v[12:13] offset:4224
.LBB34_22:
	s_or_b32 exec_lo, exec_lo, s4
	v_add_nc_u32_e32 v8, 24, v9
	s_mov_b32 s4, exec_lo
	v_cmpx_le_i32_e64 s8, v8
	s_xor_b32 s4, exec_lo, s4
; %bb.23:
	v_mov_b32_e32 v12, 0
	v_mov_b32_e32 v13, v12
	ds_write_b64 v7, v[12:13] offset:6336
                                        ; implicit-def: $vgpr7
; %bb.24:
	s_andn2_saveexec_b32 s4, s4
	s_cbranch_execz .LBB34_26
; %bb.25:
	s_mul_i32 s14, s12, 24
	s_ashr_i32 s15, s14, 31
	s_lshl_b64 s[14:15], s[14:15], 3
	v_add_co_u32 v12, vcc_lo, v3, s14
	v_add_co_ci_u32_e64 v13, null, s15, v4, vcc_lo
	flat_load_dwordx2 v[12:13], v[12:13]
	s_waitcnt vmcnt(0) lgkmcnt(0)
	ds_write_b64 v7, v[12:13] offset:6336
.LBB34_26:
	s_or_b32 exec_lo, exec_lo, s4
	v_add_co_u32 v3, vcc_lo, v3, v10
	v_add_co_ci_u32_e64 v4, null, 0, v4, vcc_lo
	s_mov_b32 s7, 0
	v_sub_co_u32 v3, vcc_lo, v3, s2
	v_subrev_co_ci_u32_e64 v4, null, s3, v4, vcc_lo
	v_add_co_u32 v3, vcc_lo, v3, 8
	v_add_co_ci_u32_e64 v4, null, 0, v4, vcc_lo
	v_cndmask_b32_e64 v3, v3, v5, s1
	v_cndmask_b32_e64 v4, v4, v6, s1
.LBB34_27:
	s_and_b32 vcc_lo, exec_lo, s7
	s_cbranch_vccz .LBB34_29
; %bb.28:
	s_lshl_b32 s2, s12, 3
	s_ashr_i32 s13, s12, 31
	s_ashr_i32 s3, s2, 31
	v_lshl_add_u32 v22, v2, 3, v11
	s_lshl_b64 s[2:3], s[2:3], 3
	v_add_co_u32 v3, vcc_lo, v5, s2
	v_add_co_ci_u32_e64 v4, null, s3, v6, vcc_lo
	s_lshl_b64 s[2:3], s[12:13], 6
	v_add_co_u32 v7, vcc_lo, v3, s2
	v_add_co_ci_u32_e64 v8, null, s3, v4, vcc_lo
	v_add_co_u32 v12, vcc_lo, v7, s2
	v_add_co_ci_u32_e64 v13, null, s3, v8, vcc_lo
	s_clause 0x3
	flat_load_dwordx2 v[18:19], v[5:6]
	flat_load_dwordx2 v[20:21], v[3:4]
	;; [unrolled: 1-line block ×4, first 2 shown]
	v_mov_b32_e32 v3, v5
	v_mov_b32_e32 v4, v6
	s_waitcnt vmcnt(3) lgkmcnt(3)
	ds_write_b64 v22, v[18:19]
	s_waitcnt vmcnt(2) lgkmcnt(3)
	ds_write_b64 v22, v[20:21] offset:2112
	s_waitcnt vmcnt(1) lgkmcnt(3)
	ds_write_b64 v22, v[7:8] offset:4224
	;; [unrolled: 2-line block ×3, first 2 shown]
.LBB34_29:
	v_lshlrev_b32_e32 v13, 2, v9
	v_mul_u32_u24_e32 v12, 0x108, v2
	s_mov_b32 s1, 0
	s_waitcnt lgkmcnt(0)
	s_barrier
	v_cmp_le_u32_e64 s2, v13, v2
	buffer_gl0_inv
                                        ; implicit-def: $vgpr6
	s_and_saveexec_b32 s3, s2
	s_xor_b32 s3, exec_lo, s3
	s_cbranch_execz .LBB34_33
; %bb.30:
	s_mov_b32 s4, exec_lo
                                        ; implicit-def: $vgpr6
	v_cmpx_eq_u32_e64 v13, v2
	s_xor_b32 s4, exec_lo, s4
; %bb.31:
	s_mov_b32 s1, exec_lo
	v_add_nc_u32_e32 v6, v10, v12
; %bb.32:
	s_or_b32 exec_lo, exec_lo, s4
	s_and_b32 s1, s1, exec_lo
.LBB34_33:
	s_or_saveexec_b32 s3, s3
	v_lshl_or_b32 v7, v2, 8, v10
	v_mov_b32_e32 v8, 0
	v_mad_u32_u24 v5, 0x420, v9, v10
	v_lshl_add_u32 v7, v13, 3, v7
	s_xor_b32 exec_lo, exec_lo, s3
	s_cbranch_execz .LBB34_35
; %bb.34:
	ds_read_b64 v[18:19], v5
	v_mov_b32_e32 v6, v7
	s_or_b32 s1, s1, exec_lo
	s_waitcnt lgkmcnt(0)
	v_xor_b32_e32 v8, 0x80000000, v19
	ds_write_b32 v7, v18
.LBB34_35:
	s_or_b32 exec_lo, exec_lo, s3
	s_and_saveexec_b32 s3, s1
; %bb.36:
	ds_write_b32 v6, v8 offset:4
; %bb.37:
	s_or_b32 exec_lo, exec_lo, s3
	v_or_b32_e32 v18, 1, v13
	v_cmp_ge_u32_e64 s3, v13, v2
	s_mov_b32 s1, 0
                                        ; implicit-def: $vgpr19
                                        ; implicit-def: $vgpr8
	v_mad_u32_u24 v6, 0x108, v18, v10
	s_and_saveexec_b32 s4, s3
	s_xor_b32 s4, exec_lo, s4
	s_cbranch_execz .LBB34_73
; %bb.38:
	ds_read_b64 v[20:21], v6
	s_mov_b32 s1, exec_lo
	v_add_nc_u32_e32 v8, 8, v7
	s_waitcnt lgkmcnt(0)
	v_xor_b32_e32 v19, 0x80000000, v21
	ds_write_b32 v7, v20 offset:8
	s_andn2_saveexec_b32 s4, s4
	s_cbranch_execnz .LBB34_74
.LBB34_39:
	s_or_b32 exec_lo, exec_lo, s4
	s_and_saveexec_b32 s4, s1
.LBB34_40:
	ds_write_b32 v8, v19 offset:4
.LBB34_41:
	s_or_b32 exec_lo, exec_lo, s4
	v_or_b32_e32 v19, 2, v13
	s_mov_b32 s1, 0
                                        ; implicit-def: $vgpr8
	v_cmp_le_u32_e64 s4, v19, v2
	s_and_saveexec_b32 s5, s4
	s_xor_b32 s5, exec_lo, s5
	s_cbranch_execz .LBB34_77
; %bb.42:
	s_mov_b32 s7, exec_lo
                                        ; implicit-def: $vgpr8
	v_cmpx_eq_u32_e64 v19, v2
; %bb.43:
	v_add_nc_u32_e32 v8, v10, v12
	s_mov_b32 s1, exec_lo
; %bb.44:
	s_or_b32 exec_lo, exec_lo, s7
	s_and_b32 s1, s1, exec_lo
	s_or_saveexec_b32 s5, s5
	v_mov_b32_e32 v20, 0
	s_xor_b32 exec_lo, exec_lo, s5
	s_cbranch_execnz .LBB34_78
.LBB34_45:
	s_or_b32 exec_lo, exec_lo, s5
	s_and_saveexec_b32 s5, s1
.LBB34_46:
	ds_write_b32 v8, v20 offset:4
.LBB34_47:
	s_or_b32 exec_lo, exec_lo, s5
	v_or_b32_e32 v21, 3, v13
	s_mov_b32 s1, 0
                                        ; implicit-def: $vgpr8
	v_cmp_le_u32_e64 s5, v21, v2
	s_and_saveexec_b32 s7, s5
	s_xor_b32 s7, exec_lo, s7
	s_cbranch_execz .LBB34_79
; %bb.48:
	s_mov_b32 s9, exec_lo
                                        ; implicit-def: $vgpr8
	v_cmpx_eq_u32_e64 v21, v2
; %bb.49:
	v_add_nc_u32_e32 v8, v10, v12
	s_mov_b32 s1, exec_lo
; %bb.50:
	s_or_b32 exec_lo, exec_lo, s9
	s_and_b32 s1, s1, exec_lo
                                        ; implicit-def: $vgpr7
	s_or_saveexec_b32 s7, s7
	v_mov_b32_e32 v20, 0
	s_xor_b32 exec_lo, exec_lo, s7
	s_cbranch_execnz .LBB34_80
.LBB34_51:
	s_or_b32 exec_lo, exec_lo, s7
	s_and_saveexec_b32 s7, s1
.LBB34_52:
	ds_write_b32 v8, v20 offset:4
.LBB34_53:
	s_or_b32 exec_lo, exec_lo, s7
	v_lshlrev_b32_e32 v23, 3, v13
	s_waitcnt lgkmcnt(0)
	s_barrier
	buffer_gl0_inv
	ds_read_b64 v[7:8], v5
	ds_read_b128 v[25:28], v23 offset:9088
	ds_read2_b64 v[29:32], v6 offset1:33
	ds_read_b128 v[33:36], v23 offset:9104
	ds_read_b64 v[5:6], v6 offset:528
	v_mul_u32_u24_e32 v20, 33, v2
	v_mov_b32_e32 v59, 0
	v_cmp_gt_u32_e64 s1, 32, v24
	v_mov_b32_e32 v60, 0
	s_waitcnt lgkmcnt(0)
	s_barrier
	buffer_gl0_inv
	v_mul_f32_e32 v22, v26, v8
	v_mul_f32_e32 v8, v25, v8
	v_mul_f32_e32 v37, v28, v30
	v_mul_f32_e32 v30, v27, v30
	v_mul_f32_e32 v38, v34, v32
	v_fma_f32 v22, v25, v7, -v22
	v_fmac_f32_e32 v8, v26, v7
	v_mul_f32_e32 v32, v33, v32
	v_fma_f32 v25, v27, v29, -v37
	v_fmac_f32_e32 v30, v28, v29
	v_add_f32_e32 v22, 0, v22
	v_add_f32_e32 v8, 0, v8
	v_mul_f32_e32 v7, v36, v6
	v_mul_f32_e32 v6, v35, v6
	v_fma_f32 v26, v33, v31, -v38
	v_fmac_f32_e32 v32, v34, v31
	v_add_f32_e32 v22, v22, v25
	v_add_f32_e32 v8, v8, v30
	v_lshlrev_b32_e32 v25, 3, v20
	v_fma_f32 v7, v35, v5, -v7
	v_fmac_f32_e32 v6, v36, v5
	v_add_f32_e32 v5, v22, v26
	v_add_f32_e32 v8, v8, v32
	v_lshl_add_u32 v26, v9, 3, v25
	v_add_f32_e32 v5, v5, v7
	v_add_f32_e32 v6, v8, v6
	ds_write_b64 v26, v[5:6]
	s_waitcnt lgkmcnt(0)
	s_barrier
	buffer_gl0_inv
	s_and_saveexec_b32 s7, s1
	s_cbranch_execz .LBB34_55
; %bb.54:
	ds_read2_b64 v[5:8], v25 offset1:7
	ds_read2_b64 v[27:30], v25 offset0:1 offset1:2
	ds_read2_b64 v[31:34], v25 offset0:3 offset1:4
	;; [unrolled: 1-line block ×3, first 2 shown]
	s_waitcnt lgkmcnt(2)
	v_add_f32_e32 v5, v27, v5
	v_add_f32_e32 v6, v28, v6
	v_add_f32_e32 v5, v29, v5
	v_add_f32_e32 v6, v30, v6
	s_waitcnt lgkmcnt(1)
	v_add_f32_e32 v5, v5, v31
	v_add_f32_e32 v6, v6, v32
	v_add_f32_e32 v5, v5, v33
	v_add_f32_e32 v6, v6, v34
	;; [unrolled: 5-line block ×3, first 2 shown]
	v_add_f32_e32 v59, v5, v7
	v_add_f32_e32 v60, v6, v8
.LBB34_55:
	s_or_b32 exec_lo, exec_lo, s7
	s_lshl_b32 s20, s12, 5
	s_ashr_i32 s21, s20, 31
	s_barrier
	s_lshl_b64 s[14:15], s[20:21], 3
	buffer_gl0_inv
	v_add_co_u32 v7, vcc_lo, v3, s14
	v_add_co_ci_u32_e64 v8, null, s15, v4, vcc_lo
	v_add_co_u32 v5, vcc_lo, 0x100, v7
	v_add_co_ci_u32_e64 v6, null, 0, v8, vcc_lo
	s_and_b32 vcc_lo, exec_lo, s19
	s_cbranch_vccz .LBB34_81
; %bb.56:
	v_sub_co_u32 v3, vcc_lo, v7, v10
	s_ashr_i32 s9, s8, 31
	v_subrev_co_ci_u32_e64 v4, null, 0, v8, vcc_lo
	s_lshl_b64 s[22:23], s[8:9], 3
	v_or_b32_e32 v20, 32, v2
	v_add_co_u32 v3, vcc_lo, v3, s22
	v_add_co_ci_u32_e64 v4, null, s23, v4, vcc_lo
	s_sub_i32 s9, s8, 32
	v_add_co_u32 v3, vcc_lo, v3, -8
	v_add_co_ci_u32_e64 v4, null, -1, v4, vcc_lo
	v_cmp_gt_i32_e32 vcc_lo, s8, v20
	v_cmp_le_i32_e64 s7, s9, v9
	v_add_nc_u32_e32 v20, v10, v11
	v_cndmask_b32_e32 v4, v4, v6, vcc_lo
	v_cndmask_b32_e32 v3, v3, v5, vcc_lo
	s_and_saveexec_b32 s13, s7
	s_xor_b32 s7, exec_lo, s13
; %bb.57:
	v_mov_b32_e32 v27, 0
	v_mov_b32_e32 v28, v27
	ds_write_b64 v20, v[27:28]
; %bb.58:
	s_andn2_saveexec_b32 s7, s7
	s_cbranch_execz .LBB34_60
; %bb.59:
	flat_load_dwordx2 v[27:28], v[3:4]
	s_waitcnt vmcnt(0) lgkmcnt(0)
	ds_write_b64 v20, v[27:28]
.LBB34_60:
	s_or_b32 exec_lo, exec_lo, s7
	v_add_nc_u32_e32 v22, 8, v9
	v_cmp_le_i32_e64 s7, s9, v22
	s_and_saveexec_b32 s13, s7
	s_xor_b32 s7, exec_lo, s13
; %bb.61:
	v_mov_b32_e32 v27, 0
	v_mov_b32_e32 v28, v27
	ds_write_b64 v20, v[27:28] offset:2112
; %bb.62:
	s_andn2_saveexec_b32 s13, s7
	s_cbranch_execz .LBB34_64
; %bb.63:
	s_lshl_b32 s30, s12, 3
	s_ashr_i32 s31, s30, 31
	s_lshl_b64 s[30:31], s[30:31], 3
	v_add_co_u32 v27, s7, v3, s30
	v_add_co_ci_u32_e64 v28, null, s31, v4, s7
	flat_load_dwordx2 v[27:28], v[27:28]
	s_waitcnt vmcnt(0) lgkmcnt(0)
	ds_write_b64 v20, v[27:28] offset:2112
.LBB34_64:
	s_or_b32 exec_lo, exec_lo, s13
	v_add_nc_u32_e32 v22, 16, v9
	v_cmp_le_i32_e64 s7, s9, v22
	s_and_saveexec_b32 s13, s7
	s_xor_b32 s7, exec_lo, s13
; %bb.65:
	v_mov_b32_e32 v27, 0
	v_mov_b32_e32 v28, v27
	ds_write_b64 v20, v[27:28] offset:4224
; %bb.66:
	s_andn2_saveexec_b32 s13, s7
	s_cbranch_execz .LBB34_68
; %bb.67:
	s_lshl_b32 s30, s12, 4
	s_ashr_i32 s31, s30, 31
	s_lshl_b64 s[30:31], s[30:31], 3
	v_add_co_u32 v27, s7, v3, s30
	v_add_co_ci_u32_e64 v28, null, s31, v4, s7
	flat_load_dwordx2 v[27:28], v[27:28]
	s_waitcnt vmcnt(0) lgkmcnt(0)
	ds_write_b64 v20, v[27:28] offset:4224
.LBB34_68:
	s_or_b32 exec_lo, exec_lo, s13
	v_add_nc_u32_e32 v22, 24, v9
	v_cmp_le_i32_e64 s7, s9, v22
	s_and_saveexec_b32 s9, s7
	s_xor_b32 s7, exec_lo, s9
; %bb.69:
	v_mov_b32_e32 v27, 0
	v_mov_b32_e32 v28, v27
	ds_write_b64 v20, v[27:28] offset:6336
                                        ; implicit-def: $vgpr20
; %bb.70:
	s_andn2_saveexec_b32 s9, s7
	s_cbranch_execz .LBB34_72
; %bb.71:
	s_mul_i32 s30, s12, 24
	s_ashr_i32 s31, s30, 31
	s_lshl_b64 s[30:31], s[30:31], 3
	v_add_co_u32 v27, s7, v3, s30
	v_add_co_ci_u32_e64 v28, null, s31, v4, s7
	flat_load_dwordx2 v[27:28], v[27:28]
	s_waitcnt vmcnt(0) lgkmcnt(0)
	ds_write_b64 v20, v[27:28] offset:6336
.LBB34_72:
	s_or_b32 exec_lo, exec_lo, s9
	v_add_co_u32 v3, s7, v3, v10
	v_add_co_ci_u32_e64 v4, null, 0, v4, s7
	v_sub_co_u32 v3, s7, v3, s22
	v_subrev_co_ci_u32_e64 v4, null, s23, v4, s7
	v_add_co_u32 v3, s7, 0x108, v3
	v_add_co_ci_u32_e64 v4, null, 0, v4, s7
	v_cndmask_b32_e32 v3, v3, v5, vcc_lo
	v_cndmask_b32_e32 v4, v4, v6, vcc_lo
	v_mad_u32_u24 v20, 0x108, v9, v10
	s_branch .LBB34_83
.LBB34_73:
	s_andn2_saveexec_b32 s4, s4
	s_cbranch_execz .LBB34_39
.LBB34_74:
	s_mov_b32 s5, s1
	s_mov_b32 s7, exec_lo
                                        ; implicit-def: $vgpr8
	v_cmpx_eq_u32_e64 v18, v2
; %bb.75:
	v_add_nc_u32_e32 v8, v10, v12
	s_or_b32 s5, s1, exec_lo
; %bb.76:
	s_or_b32 exec_lo, exec_lo, s7
	v_mov_b32_e32 v19, 0
	s_andn2_b32 s1, s1, exec_lo
	s_and_b32 s5, s5, exec_lo
	s_or_b32 s1, s1, s5
	s_or_b32 exec_lo, exec_lo, s4
	s_and_saveexec_b32 s4, s1
	s_cbranch_execnz .LBB34_40
	s_branch .LBB34_41
.LBB34_77:
	s_or_saveexec_b32 s5, s5
	v_mov_b32_e32 v20, 0
	s_xor_b32 exec_lo, exec_lo, s5
	s_cbranch_execz .LBB34_45
.LBB34_78:
	v_mad_u32_u24 v8, 0x108, v19, v10
	s_or_b32 s1, s1, exec_lo
	ds_read_b64 v[21:22], v8
	v_add_nc_u32_e32 v8, 16, v7
	s_waitcnt lgkmcnt(0)
	v_xor_b32_e32 v20, 0x80000000, v22
	ds_write_b32 v7, v21 offset:16
	s_or_b32 exec_lo, exec_lo, s5
	s_and_saveexec_b32 s5, s1
	s_cbranch_execnz .LBB34_46
	s_branch .LBB34_47
.LBB34_79:
	s_or_saveexec_b32 s7, s7
	v_mov_b32_e32 v20, 0
	s_xor_b32 exec_lo, exec_lo, s7
	s_cbranch_execz .LBB34_51
.LBB34_80:
	v_mad_u32_u24 v8, 0x108, v21, v10
	s_or_b32 s1, s1, exec_lo
	ds_read_b64 v[22:23], v8
	v_add_nc_u32_e32 v8, 24, v7
	s_waitcnt lgkmcnt(0)
	v_xor_b32_e32 v20, 0x80000000, v23
	ds_write_b32 v7, v22 offset:24
	s_or_b32 exec_lo, exec_lo, s7
	s_and_saveexec_b32 s7, s1
	s_cbranch_execnz .LBB34_52
	s_branch .LBB34_53
.LBB34_81:
                                        ; implicit-def: $vgpr3_vgpr4
	v_mad_u32_u24 v20, 0x108, v9, v10
	s_cbranch_execz .LBB34_83
; %bb.82:
	s_lshl_b32 s22, s12, 3
	s_ashr_i32 s13, s12, 31
	s_ashr_i32 s23, s22, 31
	s_lshl_b64 s[22:23], s[22:23], 3
	v_add_co_u32 v3, vcc_lo, v7, s22
	v_add_co_ci_u32_e64 v4, null, s23, v8, vcc_lo
	s_lshl_b64 s[22:23], s[12:13], 6
	v_add_co_u32 v27, vcc_lo, v3, s22
	v_add_co_ci_u32_e64 v28, null, s23, v4, vcc_lo
	v_add_co_u32 v29, vcc_lo, v27, s22
	v_add_co_ci_u32_e64 v30, null, s23, v28, vcc_lo
	s_clause 0x3
	flat_load_dwordx2 v[7:8], v[7:8] offset:256
	flat_load_dwordx2 v[31:32], v[3:4] offset:256
	flat_load_dwordx2 v[27:28], v[27:28] offset:256
	flat_load_dwordx2 v[29:30], v[29:30] offset:256
	v_mov_b32_e32 v3, v5
	v_mov_b32_e32 v4, v6
	s_waitcnt vmcnt(3) lgkmcnt(3)
	ds_write_b64 v20, v[7:8]
	s_waitcnt vmcnt(2) lgkmcnt(3)
	ds_write_b64 v20, v[31:32] offset:2112
	s_waitcnt vmcnt(1) lgkmcnt(3)
	ds_write_b64 v20, v[27:28] offset:4224
	;; [unrolled: 2-line block ×3, first 2 shown]
.LBB34_83:
	v_mul_u32_u24_e32 v5, 0x420, v9
	s_mov_b32 s7, 0
	s_waitcnt lgkmcnt(0)
	s_barrier
	buffer_gl0_inv
                                        ; implicit-def: $vgpr6
	s_and_saveexec_b32 s9, s2
	s_xor_b32 s2, exec_lo, s9
	s_cbranch_execz .LBB34_87
; %bb.84:
	s_mov_b32 s9, exec_lo
                                        ; implicit-def: $vgpr6
	v_cmpx_eq_u32_e64 v13, v2
	s_xor_b32 s9, exec_lo, s9
; %bb.85:
	v_add_nc_u32_e32 v6, v10, v12
	s_mov_b32 s7, exec_lo
; %bb.86:
	s_or_b32 exec_lo, exec_lo, s9
	s_and_b32 s7, s7, exec_lo
.LBB34_87:
	s_or_saveexec_b32 s2, s2
	v_mov_b32_e32 v7, 0
	v_add_nc_u32_e32 v22, v10, v5
	v_lshl_add_u32 v5, v13, 3, v25
	s_xor_b32 exec_lo, exec_lo, s2
	s_cbranch_execz .LBB34_89
; %bb.88:
	ds_read_b64 v[27:28], v22
	v_mov_b32_e32 v6, v5
	s_or_b32 s7, s7, exec_lo
	s_waitcnt lgkmcnt(0)
	v_xor_b32_e32 v7, 0x80000000, v28
	ds_write_b32 v5, v27
.LBB34_89:
	s_or_b32 exec_lo, exec_lo, s2
	v_mul_u32_u24_e32 v8, 0x108, v18
	s_and_saveexec_b32 s2, s7
; %bb.90:
	ds_write_b32 v6, v7 offset:4
; %bb.91:
	s_or_b32 exec_lo, exec_lo, s2
	v_add_nc_u32_e32 v27, v10, v8
	s_mov_b32 s2, 0
                                        ; implicit-def: $vgpr7
                                        ; implicit-def: $vgpr6
	s_and_saveexec_b32 s7, s3
	s_xor_b32 s3, exec_lo, s7
	s_cbranch_execz .LBB34_127
; %bb.92:
	ds_read_b64 v[28:29], v27
	s_mov_b32 s2, exec_lo
	v_add_nc_u32_e32 v6, 8, v5
                                        ; implicit-def: $vgpr18
	s_waitcnt lgkmcnt(0)
	v_xor_b32_e32 v7, 0x80000000, v29
	ds_write_b32 v5, v28 offset:8
	s_andn2_saveexec_b32 s3, s3
	s_cbranch_execnz .LBB34_128
.LBB34_93:
	s_or_b32 exec_lo, exec_lo, s3
	s_and_saveexec_b32 s3, s2
.LBB34_94:
	ds_write_b32 v6, v7 offset:4
.LBB34_95:
	s_or_b32 exec_lo, exec_lo, s3
	s_mov_b32 s2, 0
                                        ; implicit-def: $vgpr6
	s_and_saveexec_b32 s3, s4
	s_xor_b32 s3, exec_lo, s3
	s_cbranch_execz .LBB34_131
; %bb.96:
	s_mov_b32 s4, exec_lo
                                        ; implicit-def: $vgpr6
	v_cmpx_eq_u32_e64 v19, v2
; %bb.97:
	v_add_nc_u32_e32 v6, v10, v12
	s_mov_b32 s2, exec_lo
; %bb.98:
	s_or_b32 exec_lo, exec_lo, s4
	s_and_b32 s2, s2, exec_lo
	s_or_saveexec_b32 s3, s3
	v_mov_b32_e32 v7, 0
	s_xor_b32 exec_lo, exec_lo, s3
	s_cbranch_execnz .LBB34_132
.LBB34_99:
	s_or_b32 exec_lo, exec_lo, s3
	s_and_saveexec_b32 s3, s2
.LBB34_100:
	ds_write_b32 v6, v7 offset:4
.LBB34_101:
	s_or_b32 exec_lo, exec_lo, s3
	s_mov_b32 s2, 0
                                        ; implicit-def: $vgpr6
	s_and_saveexec_b32 s3, s5
	s_xor_b32 s3, exec_lo, s3
	s_cbranch_execz .LBB34_133
; %bb.102:
	s_mov_b32 s4, exec_lo
                                        ; implicit-def: $vgpr6
	v_cmpx_eq_u32_e64 v21, v2
; %bb.103:
	v_add_nc_u32_e32 v6, v10, v12
	s_mov_b32 s2, exec_lo
; %bb.104:
	s_or_b32 exec_lo, exec_lo, s4
	s_and_b32 s2, s2, exec_lo
                                        ; implicit-def: $vgpr5
	s_or_saveexec_b32 s3, s3
	v_mov_b32_e32 v8, 0
	s_xor_b32 exec_lo, exec_lo, s3
	s_cbranch_execnz .LBB34_134
.LBB34_105:
	s_or_b32 exec_lo, exec_lo, s3
	v_add_nc_u32_e32 v7, 0x2380, v23
	s_and_saveexec_b32 s3, s2
.LBB34_106:
	ds_write_b32 v6, v8 offset:4
.LBB34_107:
	s_or_b32 exec_lo, exec_lo, s3
	s_waitcnt lgkmcnt(0)
	s_barrier
	buffer_gl0_inv
	ds_read_b64 v[5:6], v22
	ds_read_b128 v[28:31], v7 offset:256
	ds_read2_b64 v[32:35], v27 offset1:33
	ds_read_b128 v[36:39], v7 offset:272
	ds_read_b64 v[12:13], v27 offset:528
	v_cmp_eq_u32_e64 s2, 1, v9
	s_waitcnt lgkmcnt(0)
	s_barrier
	buffer_gl0_inv
	v_mul_f32_e32 v8, v29, v6
	v_mul_f32_e32 v6, v28, v6
	;; [unrolled: 1-line block ×5, first 2 shown]
	v_fma_f32 v8, v28, v5, -v8
	v_fmac_f32_e32 v6, v29, v5
	v_mul_f32_e32 v23, v36, v35
	v_fma_f32 v18, v30, v32, -v18
	v_fmac_f32_e32 v19, v31, v32
	v_add_f32_e32 v8, 0, v8
	v_add_f32_e32 v6, 0, v6
	v_mul_f32_e32 v5, v39, v13
	v_mul_f32_e32 v13, v38, v13
	v_fma_f32 v21, v36, v34, -v21
	v_fmac_f32_e32 v23, v37, v34
	v_add_f32_e32 v8, v8, v18
	v_add_f32_e32 v6, v6, v19
	v_fma_f32 v5, v38, v12, -v5
	v_fmac_f32_e32 v13, v39, v12
	v_add_f32_e32 v8, v8, v21
	v_add_f32_e32 v6, v6, v23
	;; [unrolled: 1-line block ×4, first 2 shown]
	ds_write_b64 v26, v[5:6]
	s_waitcnt lgkmcnt(0)
	s_barrier
	buffer_gl0_inv
	s_and_saveexec_b32 s3, s2
	s_cbranch_execz .LBB34_109
; %bb.108:
	ds_read2_b64 v[28:31], v25 offset1:7
	ds_read2_b64 v[32:35], v25 offset0:1 offset1:2
	ds_read2_b64 v[36:39], v25 offset0:3 offset1:4
	;; [unrolled: 1-line block ×3, first 2 shown]
	s_waitcnt lgkmcnt(2)
	v_add_f32_e32 v5, v32, v28
	v_add_f32_e32 v6, v33, v29
	v_add_f32_e32 v5, v34, v5
	v_add_f32_e32 v6, v35, v6
	s_waitcnt lgkmcnt(1)
	v_add_f32_e32 v5, v5, v36
	v_add_f32_e32 v6, v6, v37
	v_add_f32_e32 v5, v5, v38
	v_add_f32_e32 v6, v6, v39
	s_waitcnt lgkmcnt(0)
	v_add_f32_e32 v5, v5, v40
	v_add_f32_e32 v6, v6, v41
	v_add_f32_e32 v5, v5, v42
	v_add_f32_e32 v6, v6, v43
	v_add_f32_e32 v59, v5, v30
	v_add_f32_e32 v60, v6, v31
.LBB34_109:
	s_or_b32 exec_lo, exec_lo, s3
	v_add_co_u32 v3, vcc_lo, 0xffffff00, v3
	v_add_co_ci_u32_e64 v4, null, -1, v4, vcc_lo
	s_and_b32 vcc_lo, exec_lo, s19
	s_barrier
	buffer_gl0_inv
	s_cbranch_vccz .LBB34_135
; %bb.110:
	v_sub_co_u32 v5, vcc_lo, v3, v10
	s_ashr_i32 s9, s8, 31
	v_subrev_co_ci_u32_e64 v6, null, 0, v4, vcc_lo
	s_lshl_b64 s[4:5], s[8:9], 3
	s_sub_i32 s7, s8, 32
	v_add_co_u32 v5, vcc_lo, v5, s4
	v_add_co_ci_u32_e64 v6, null, s5, v6, vcc_lo
	v_cmp_le_i32_e64 s3, s7, v9
	v_add_co_u32 v5, vcc_lo, v5, -8
	v_add_co_ci_u32_e64 v6, null, -1, v6, vcc_lo
	v_cmp_gt_i32_e32 vcc_lo, s8, v2
	v_add_nc_u32_e32 v11, v10, v11
	v_cndmask_b32_e32 v6, v6, v4, vcc_lo
	v_cndmask_b32_e32 v5, v5, v3, vcc_lo
	s_and_saveexec_b32 s9, s3
	s_xor_b32 s3, exec_lo, s9
; %bb.111:
	v_mov_b32_e32 v12, 0
	v_mov_b32_e32 v13, v12
	ds_write_b64 v11, v[12:13]
; %bb.112:
	s_andn2_saveexec_b32 s3, s3
	s_cbranch_execz .LBB34_114
; %bb.113:
	flat_load_dwordx2 v[12:13], v[5:6]
	s_waitcnt vmcnt(0) lgkmcnt(0)
	ds_write_b64 v11, v[12:13]
.LBB34_114:
	s_or_b32 exec_lo, exec_lo, s3
	v_add_nc_u32_e32 v2, 8, v9
	v_cmp_le_i32_e64 s3, s7, v2
	s_and_saveexec_b32 s9, s3
	s_xor_b32 s3, exec_lo, s9
; %bb.115:
	v_mov_b32_e32 v12, 0
	v_mov_b32_e32 v13, v12
	ds_write_b64 v11, v[12:13] offset:2112
; %bb.116:
	s_andn2_saveexec_b32 s9, s3
	s_cbranch_execz .LBB34_118
; %bb.117:
	s_lshl_b32 s22, s12, 3
	s_ashr_i32 s23, s22, 31
	s_lshl_b64 s[22:23], s[22:23], 3
	v_add_co_u32 v12, s3, v5, s22
	v_add_co_ci_u32_e64 v13, null, s23, v6, s3
	flat_load_dwordx2 v[12:13], v[12:13]
	s_waitcnt vmcnt(0) lgkmcnt(0)
	ds_write_b64 v11, v[12:13] offset:2112
.LBB34_118:
	s_or_b32 exec_lo, exec_lo, s9
	v_add_nc_u32_e32 v8, 16, v9
	v_cmp_le_i32_e64 s3, s7, v8
	s_and_saveexec_b32 s9, s3
	s_xor_b32 s3, exec_lo, s9
; %bb.119:
	v_mov_b32_e32 v12, 0
	v_mov_b32_e32 v13, v12
	ds_write_b64 v11, v[12:13] offset:4224
; %bb.120:
	s_andn2_saveexec_b32 s9, s3
	s_cbranch_execz .LBB34_122
; %bb.121:
	s_lshl_b32 s22, s12, 4
	s_ashr_i32 s23, s22, 31
	s_lshl_b64 s[22:23], s[22:23], 3
	v_add_co_u32 v12, s3, v5, s22
	v_add_co_ci_u32_e64 v13, null, s23, v6, s3
	flat_load_dwordx2 v[12:13], v[12:13]
	s_waitcnt vmcnt(0) lgkmcnt(0)
	ds_write_b64 v11, v[12:13] offset:4224
.LBB34_122:
	s_or_b32 exec_lo, exec_lo, s9
	v_add_nc_u32_e32 v12, 24, v9
	v_cmp_le_i32_e64 s3, s7, v12
	s_and_saveexec_b32 s7, s3
	s_xor_b32 s3, exec_lo, s7
; %bb.123:
	v_mov_b32_e32 v18, 0
	v_mov_b32_e32 v19, v18
	ds_write_b64 v11, v[18:19] offset:6336
                                        ; implicit-def: $vgpr11
; %bb.124:
	s_andn2_saveexec_b32 s7, s3
	s_cbranch_execz .LBB34_126
; %bb.125:
	s_mul_i32 s22, s12, 24
	s_ashr_i32 s23, s22, 31
	s_lshl_b64 s[22:23], s[22:23], 3
	v_add_co_u32 v18, s3, v5, s22
	v_add_co_ci_u32_e64 v19, null, s23, v6, s3
	flat_load_dwordx2 v[18:19], v[18:19]
	s_waitcnt vmcnt(0) lgkmcnt(0)
	ds_write_b64 v11, v[18:19] offset:6336
.LBB34_126:
	s_or_b32 exec_lo, exec_lo, s7
	v_add_co_u32 v5, s3, v5, v10
	v_add_co_ci_u32_e64 v6, null, 0, v6, s3
	v_sub_co_u32 v5, s3, v5, s4
	v_subrev_co_ci_u32_e64 v6, null, s5, v6, s3
	v_add_co_u32 v5, s3, v5, 8
	v_add_co_ci_u32_e64 v6, null, 0, v6, s3
	v_cndmask_b32_e32 v18, v5, v3, vcc_lo
	v_cndmask_b32_e32 v19, v6, v4, vcc_lo
	s_branch .LBB34_137
.LBB34_127:
	s_andn2_saveexec_b32 s3, s3
	s_cbranch_execz .LBB34_93
.LBB34_128:
	s_mov_b32 s7, s2
	s_mov_b32 s9, exec_lo
                                        ; implicit-def: $vgpr6
	v_cmpx_eq_u32_e64 v18, v2
; %bb.129:
	v_add_nc_u32_e32 v6, v10, v12
	s_or_b32 s7, s2, exec_lo
; %bb.130:
	s_or_b32 exec_lo, exec_lo, s9
	v_mov_b32_e32 v7, 0
	s_andn2_b32 s2, s2, exec_lo
	s_and_b32 s7, s7, exec_lo
	s_or_b32 s2, s2, s7
	s_or_b32 exec_lo, exec_lo, s3
	s_and_saveexec_b32 s3, s2
	s_cbranch_execnz .LBB34_94
	s_branch .LBB34_95
.LBB34_131:
	s_or_saveexec_b32 s3, s3
	v_mov_b32_e32 v7, 0
	s_xor_b32 exec_lo, exec_lo, s3
	s_cbranch_execz .LBB34_99
.LBB34_132:
	ds_read_b64 v[18:19], v27 offset:264
	v_add_nc_u32_e32 v6, 16, v5
	s_or_b32 s2, s2, exec_lo
	s_waitcnt lgkmcnt(0)
	v_xor_b32_e32 v7, 0x80000000, v19
	ds_write_b32 v5, v18 offset:16
	s_or_b32 exec_lo, exec_lo, s3
	s_and_saveexec_b32 s3, s2
	s_cbranch_execnz .LBB34_100
	s_branch .LBB34_101
.LBB34_133:
	s_or_saveexec_b32 s3, s3
	v_mov_b32_e32 v8, 0
	s_xor_b32 exec_lo, exec_lo, s3
	s_cbranch_execz .LBB34_105
.LBB34_134:
	ds_read_b64 v[7:8], v27 offset:528
	v_add_nc_u32_e32 v6, 24, v5
	s_or_b32 s2, s2, exec_lo
	s_waitcnt lgkmcnt(0)
	v_xor_b32_e32 v8, 0x80000000, v8
	ds_write_b32 v5, v7 offset:24
	s_or_b32 exec_lo, exec_lo, s3
	v_add_nc_u32_e32 v7, 0x2380, v23
	s_and_saveexec_b32 s3, s2
	s_cbranch_execnz .LBB34_106
	s_branch .LBB34_107
.LBB34_135:
                                        ; implicit-def: $vgpr18_vgpr19
                                        ; implicit-def: $vgpr2
                                        ; implicit-def: $vgpr8
                                        ; implicit-def: $vgpr12
	s_cbranch_execz .LBB34_137
; %bb.136:
	s_lshl_b32 s4, s12, 3
	s_ashr_i32 s13, s12, 31
	s_ashr_i32 s5, s4, 31
	v_mov_b32_e32 v19, v4
	s_lshl_b64 s[4:5], s[4:5], 3
	v_add_nc_u32_e32 v2, 8, v9
	v_add_co_u32 v5, vcc_lo, v3, s4
	v_add_co_ci_u32_e64 v6, null, s5, v4, vcc_lo
	s_lshl_b64 s[4:5], s[12:13], 6
	v_add_nc_u32_e32 v8, 16, v9
	v_add_co_u32 v10, vcc_lo, v5, s4
	v_add_co_ci_u32_e64 v11, null, s5, v6, vcc_lo
	v_mov_b32_e32 v18, v3
	v_add_co_u32 v12, vcc_lo, v10, s4
	v_add_co_ci_u32_e64 v13, null, s5, v11, vcc_lo
	s_clause 0x3
	flat_load_dwordx2 v[28:29], v[3:4]
	flat_load_dwordx2 v[5:6], v[5:6]
	;; [unrolled: 1-line block ×4, first 2 shown]
	v_add_nc_u32_e32 v12, 24, v9
	s_waitcnt vmcnt(3) lgkmcnt(3)
	ds_write_b64 v20, v[28:29]
	s_waitcnt vmcnt(2) lgkmcnt(3)
	ds_write_b64 v20, v[5:6] offset:2112
	s_waitcnt vmcnt(1) lgkmcnt(3)
	ds_write_b64 v20, v[10:11] offset:4224
	;; [unrolled: 2-line block ×3, first 2 shown]
.LBB34_137:
	v_lshlrev_b32_e32 v3, 3, v9
	v_lshlrev_b32_e32 v2, 3, v2
	s_waitcnt lgkmcnt(0)
	s_barrier
	buffer_gl0_inv
	v_add_nc_u32_e32 v5, v25, v3
	v_add_nc_u32_e32 v6, v25, v2
	v_lshlrev_b32_e32 v4, 3, v8
	v_lshlrev_b32_e32 v8, 3, v12
	ds_read_b64 v[28:29], v5
	ds_read_b64 v[30:31], v6
	ds_read_b64 v[32:33], v2 offset:9088
	ds_read_b64 v[34:35], v3 offset:9088
	v_add_nc_u32_e32 v9, v25, v4
	v_add_nc_u32_e32 v2, v25, v8
	ds_read_b64 v[36:37], v9
	ds_read_b64 v[38:39], v8 offset:9088
	ds_read_b64 v[40:41], v4 offset:9088
	ds_read_b64 v[42:43], v2
	ds_read_b128 v[10:13], v7 offset:256
	ds_read_b128 v[2:5], v7 offset:272
	ds_read2_b64 v[6:9], v27 offset1:33
	ds_read_b64 v[22:23], v22
	ds_read_b64 v[20:21], v27 offset:528
	s_waitcnt lgkmcnt(0)
	s_barrier
	buffer_gl0_inv
	v_mul_f32_e32 v44, v31, v33
	v_mul_f32_e32 v27, v29, v35
	;; [unrolled: 1-line block ×6, first 2 shown]
	v_fmac_f32_e32 v27, v28, v34
	v_fma_f32 v28, v28, v35, -v29
	v_fmac_f32_e32 v44, v30, v32
	v_fma_f32 v30, v30, v33, -v31
	v_mul_f32_e32 v29, v43, v39
	v_add_f32_e32 v27, 0, v27
	v_add_f32_e32 v28, 0, v28
	v_mul_f32_e32 v31, v43, v38
	v_fmac_f32_e32 v45, v36, v40
	v_fma_f32 v32, v36, v41, -v37
	v_add_f32_e32 v27, v27, v44
	v_add_f32_e32 v28, v28, v30
	v_fmac_f32_e32 v29, v42, v38
	v_fma_f32 v30, v42, v39, -v31
	v_add_f32_e32 v27, v27, v45
	v_add_f32_e32 v28, v28, v32
	;; [unrolled: 1-line block ×4, first 2 shown]
	ds_write_b64 v26, v[27:28]
	s_waitcnt lgkmcnt(0)
	s_barrier
	buffer_gl0_inv
	s_and_saveexec_b32 s3, s2
	s_cbranch_execz .LBB34_139
; %bb.138:
	ds_read2_b64 v[27:30], v25 offset1:1
	ds_read2_b64 v[31:34], v25 offset0:2 offset1:3
	ds_read2_b64 v[35:38], v25 offset0:4 offset1:5
	s_waitcnt lgkmcnt(2)
	v_add_f32_e32 v27, v59, v27
	v_add_f32_e32 v28, v60, v28
	;; [unrolled: 1-line block ×4, first 2 shown]
	ds_read2_b64 v[27:30], v25 offset0:6 offset1:7
	s_waitcnt lgkmcnt(2)
	v_add_f32_e32 v31, v39, v31
	v_add_f32_e32 v32, v40, v32
	v_add_f32_e32 v31, v31, v33
	v_add_f32_e32 v32, v32, v34
	s_waitcnt lgkmcnt(1)
	v_add_f32_e32 v31, v31, v35
	v_add_f32_e32 v32, v32, v36
	v_add_f32_e32 v31, v31, v37
	v_add_f32_e32 v32, v32, v38
	;; [unrolled: 5-line block ×3, first 2 shown]
.LBB34_139:
	s_or_b32 exec_lo, exec_lo, s3
	v_mul_f32_e32 v27, v11, v23
	v_mul_f32_e32 v23, v10, v23
	;; [unrolled: 1-line block ×5, first 2 shown]
	v_fma_f32 v10, v10, v22, -v27
	v_fmac_f32_e32 v23, v11, v22
	v_mul_f32_e32 v9, v2, v9
	v_fma_f32 v12, v12, v6, -v28
	v_fmac_f32_e32 v7, v13, v6
	v_add_f32_e32 v10, 0, v10
	v_add_f32_e32 v6, 0, v23
	v_mul_f32_e32 v11, v5, v21
	v_mul_f32_e32 v13, v4, v21
	v_fma_f32 v2, v2, v8, -v29
	v_add_f32_e32 v10, v10, v12
	v_fmac_f32_e32 v9, v3, v8
	v_add_f32_e32 v3, v6, v7
	v_fma_f32 v4, v4, v20, -v11
	v_fmac_f32_e32 v13, v5, v20
	v_add_f32_e32 v2, v10, v2
	v_add_f32_e32 v3, v3, v9
	s_barrier
	buffer_gl0_inv
	v_add_f32_e32 v2, v2, v4
	v_add_f32_e32 v3, v3, v13
	ds_write_b64 v26, v[2:3]
	s_waitcnt lgkmcnt(0)
	s_barrier
	buffer_gl0_inv
	s_and_saveexec_b32 s2, s1
	s_cbranch_execz .LBB34_141
; %bb.140:
	ds_read2_b64 v[2:5], v25 offset1:1
	ds_read2_b64 v[6:9], v25 offset0:2 offset1:3
	ds_read2_b64 v[10:13], v25 offset0:4 offset1:5
	s_waitcnt lgkmcnt(2)
	v_add_f32_e32 v2, v59, v2
	v_add_f32_e32 v3, v60, v3
	;; [unrolled: 1-line block ×4, first 2 shown]
	ds_read2_b64 v[2:5], v25 offset0:6 offset1:7
	s_waitcnt lgkmcnt(2)
	v_add_f32_e32 v6, v20, v6
	v_add_f32_e32 v7, v21, v7
	v_add_f32_e32 v6, v6, v8
	v_add_f32_e32 v7, v7, v9
	s_waitcnt lgkmcnt(1)
	v_add_f32_e32 v6, v6, v10
	v_add_f32_e32 v7, v7, v11
	v_add_f32_e32 v6, v6, v12
	v_add_f32_e32 v7, v7, v13
	;; [unrolled: 5-line block ×3, first 2 shown]
.LBB34_141:
	s_or_b32 exec_lo, exec_lo, s2
	s_mul_hi_u32 s1, s27, s16
	s_mul_i32 s28, s28, s16
	s_mul_i32 s2, s27, s16
	s_add_i32 s1, s1, s28
	s_mul_hi_u32 s3, s2, s24
	s_mul_i32 s1, s1, s24
	s_mul_i32 s2, s2, s24
	s_add_i32 s3, s3, s1
	s_mul_hi_i32 s5, s27, s6
	s_lshl_b64 s[2:3], s[2:3], 3
	s_mul_i32 s4, s27, s6
	s_add_u32 s1, s10, s2
	s_addc_u32 s9, s11, s3
	s_lshl_b64 s[2:3], s[4:5], 3
	v_lshlrev_b32_e32 v96, 3, v0
	s_add_u32 s7, s1, s2
	s_addc_u32 s9, s9, s3
	s_add_i32 s4, s6, 1
	s_cmp_ge_u32 s4, s24
	s_barrier
	buffer_gl0_inv
	s_cbranch_scc1 .LBB34_199
; %bb.142:
	v_lshlrev_b32_e32 v97, 2, v1
	s_mul_i32 s2, s17, s18
	s_ashr_i32 s13, s12, 31
	s_ashr_i32 s3, s2, 31
	s_lshl_b32 s18, s12, 1
	v_mad_u64_u32 v[2:3], null, s12, v97, v[0:1]
	s_lshl_b64 s[2:3], s[2:3], 3
	s_mul_i32 s28, s12, 3
	v_sub_co_u32 v98, vcc_lo, v16, s2
	v_subrev_co_ci_u32_e64 v99, null, s3, v17, vcc_lo
	v_ashrrev_i32_e32 v3, 31, v2
	v_add_co_u32 v4, vcc_lo, s20, v2
	s_lshl_b32 s2, s12, 4
	s_mul_i32 s4, s17, s4
	v_add_co_ci_u32_e64 v5, null, s21, v3, vcc_lo
	v_lshlrev_b64 v[2:3], 3, v[2:3]
	s_lshl_b64 s[20:21], s[12:13], 4
	s_add_i32 s22, s24, -2
	v_lshlrev_b64 v[4:5], 3, v[4:5]
	s_lshl_b32 s23, s17, 6
	s_ashr_i32 s3, s2, 31
	s_ashr_i32 s19, s18, 31
	;; [unrolled: 1-line block ×3, first 2 shown]
	s_lshl_b64 s[16:17], s[12:13], 3
	v_mad_i64_i32 v[6:7], null, s2, 24, v[4:5]
	s_lshl_b32 s4, s4, 6
	s_add_u32 s5, s20, s14
	s_addc_u32 s27, s21, s15
	v_add_co_u32 v11, vcc_lo, s5, v2
	s_mul_i32 s30, s12, 0x180
	s_lshl_b64 s[12:13], s[28:29], 3
	s_lshl_b64 s[10:11], s[2:3], 5
	v_add_co_ci_u32_e64 v12, null, s27, v3, vcc_lo
	v_add_co_u32 v13, vcc_lo, v6, s12
	s_add_u32 s33, s16, s14
	v_add_co_ci_u32_e64 v16, null, s13, v7, vcc_lo
	s_addc_u32 s34, s17, s15
	v_add_co_u32 v17, vcc_lo, s33, v2
	s_lshl_b64 s[18:19], s[18:19], 3
	v_add_co_ci_u32_e64 v20, null, s34, v3, vcc_lo
	v_add_co_u32 v21, vcc_lo, v6, s18
	v_add_co_ci_u32_e64 v22, null, s19, v7, vcc_lo
	v_add_co_u32 v23, vcc_lo, s14, v2
	v_lshrrev_b32_e32 v8, 4, v24
	v_cmp_gt_u32_e64 s1, 64, v24
	v_add_co_ci_u32_e64 v24, null, s15, v3, vcc_lo
	v_add_co_u32 v103, vcc_lo, v18, v6
	s_add_u32 s28, s14, s18
	v_add_co_ci_u32_e64 v104, null, v19, v7, vcc_lo
	s_addc_u32 s29, s15, s19
	v_add_co_u32 v25, vcc_lo, s28, v2
	v_add_co_ci_u32_e64 v26, null, s29, v3, vcc_lo
	v_add_co_u32 v6, vcc_lo, v6, s16
	s_add_u32 s35, s14, s12
	s_addc_u32 s36, s15, s13
	s_lshl_b64 s[28:29], s[2:3], 3
	v_add_co_ci_u32_e64 v7, null, s17, v7, vcc_lo
	v_add_co_u32 v27, vcc_lo, s35, v2
	s_add_u32 s35, s5, s28
	s_mul_hi_i32 s31, s2, 24
	v_add_co_ci_u32_e64 v28, null, s36, v3, vcc_lo
	s_addc_u32 s36, s27, s29
	v_add_co_u32 v29, vcc_lo, s35, v2
	s_add_u32 s20, s30, s20
	s_addc_u32 s21, s31, s21
	s_lshl_b64 s[2:3], s[2:3], 4
	v_add_co_ci_u32_e64 v30, null, s36, v3, vcc_lo
	v_add_co_u32 v4, vcc_lo, s20, v4
	s_add_u32 s20, s2, s14
	v_add_co_ci_u32_e64 v5, null, s21, v5, vcc_lo
	s_addc_u32 s21, s3, s15
	s_add_u32 s30, s20, s12
	s_addc_u32 s31, s21, s13
	v_add_co_u32 v31, vcc_lo, s30, v2
	s_add_u32 s30, s33, s28
	v_add_co_ci_u32_e64 v32, null, s31, v3, vcc_lo
	s_addc_u32 s31, s34, s29
	v_add_co_u32 v33, vcc_lo, s30, v2
	s_add_u32 s30, s20, s18
	v_add_co_ci_u32_e64 v34, null, s31, v3, vcc_lo
	;; [unrolled: 4-line block ×3, first 2 shown]
	s_addc_u32 s15, s15, s29
	v_add_co_u32 v37, vcc_lo, s14, v2
	v_add_co_ci_u32_e64 v38, null, s15, v3, vcc_lo
	v_add_co_u32 v39, vcc_lo, s20, v2
	s_add_u32 s18, s14, s18
	s_addc_u32 s19, s15, s19
	v_add_co_ci_u32_e64 v40, null, s21, v3, vcc_lo
	v_add_co_u32 v41, vcc_lo, s18, v2
	s_add_u32 s16, s20, s16
	s_addc_u32 s17, s21, s17
	;; [unrolled: 4-line block ×3, first 2 shown]
	v_add_co_ci_u32_e64 v44, null, s17, v3, vcc_lo
	v_add_co_u32 v45, vcc_lo, s12, v2
	s_add_u32 s2, s5, s2
	v_add_co_ci_u32_e64 v46, null, s13, v3, vcc_lo
	s_addc_u32 s3, s27, s3
	v_add_co_u32 v2, vcc_lo, s2, v2
	v_add_co_ci_u32_e64 v3, null, s3, v3, vcc_lo
	v_add_co_u32 v105, vcc_lo, v18, v11
	v_add_co_ci_u32_e64 v106, null, v19, v12, vcc_lo
	;; [unrolled: 2-line block ×17, first 2 shown]
	v_add_co_u32 v137, vcc_lo, v18, v43
	v_and_b32_e32 v9, 15, v0
	v_and_b32_e32 v10, 48, v0
	v_lshlrev_b32_e32 v47, 5, v8
	v_add_co_ci_u32_e64 v138, null, v19, v44, vcc_lo
	v_add_co_u32 v139, vcc_lo, v18, v45
	v_add_co_ci_u32_e64 v140, null, v19, v46, vcc_lo
	v_add_co_u32 v141, vcc_lo, v18, v2
	v_lshlrev_b32_e32 v10, 3, v10
	v_add_co_ci_u32_e64 v142, null, v19, v3, vcc_lo
	v_or_b32_e32 v2, 0x78, v96
	v_mad_u32_u24 v144, 0x218, v9, v47
	v_mul_i32_i24_e32 v3, 0xffffffe8, v8
	v_sub_co_u32 v147, vcc_lo, 0, v14
	v_add_nc_u32_e32 v100, 0x2180, v96
	v_lshl_add_u32 v101, v1, 5, 0x2180
	v_add_nc_u32_e32 v102, 0x2380, v96
	v_mad_u32_u24 v143, 0x860, v1, v96
	v_mad_u32_u24 v145, 0x218, v9, v10
	;; [unrolled: 1-line block ×3, first 2 shown]
	v_sub_co_ci_u32_e64 v148, null, 0, v15, vcc_lo
	v_add_nc_u32_e32 v149, v144, v3
	v_add_nc_u32_e32 v150, 49, v97
	;; [unrolled: 1-line block ×5, first 2 shown]
	v_mov_b32_e32 v63, 0
	s_cmp_eq_u32 s22, s6
	s_cselect_b32 s3, s25, 0
	s_and_saveexec_b32 s2, s0
	s_cbranch_execz .LBB34_148
	s_branch .LBB34_144
.LBB34_143:                             ;   in Loop: Header=BB34_148 Depth=1
	s_mov_b32 s6, s2
	s_cmp_eq_u32 s22, s6
	s_cselect_b32 s3, s25, 0
	s_and_saveexec_b32 s2, s0
	s_cbranch_execz .LBB34_148
.LBB34_144:
	v_cmp_le_i32_e32 vcc_lo, s3, v0
	s_cmp_lg_u32 s3, 0
	s_cselect_b32 s5, -1, 0
	s_and_b32 s5, s5, vcc_lo
	s_and_saveexec_b32 s12, s5
	s_xor_b32 s5, exec_lo, s12
; %bb.145:
	v_mov_b32_e32 v64, v63
	ds_write_b64 v100, v[63:64]
; %bb.146:
	s_andn2_saveexec_b32 s5, s5
	s_cbranch_execz .LBB34_148
; %bb.147:
	s_ashr_i32 s5, s4, 31
	s_lshl_b64 s[12:13], s[4:5], 3
	v_add_co_u32 v2, vcc_lo, v98, s12
	v_add_co_ci_u32_e64 v3, null, s13, v99, vcc_lo
	flat_load_dwordx2 v[2:3], v[2:3]
	s_waitcnt vmcnt(0) lgkmcnt(0)
	ds_write_b64 v100, v[2:3]
.LBB34_148:                             ; =>This Inner Loop Header: Depth=1
	s_or_b32 exec_lo, exec_lo, s2
	s_cmp_eq_u32 s3, 0
	v_add_co_u32 v2, vcc_lo, v113, v147
	s_cselect_b32 s5, -1, 0
	s_cmp_lg_u32 s3, 0
	v_add_co_ci_u32_e64 v3, null, v114, v148, vcc_lo
	s_cselect_b32 s2, -1, 0
	s_waitcnt lgkmcnt(0)
	s_and_b32 vcc_lo, exec_lo, s2
	s_barrier
	buffer_gl0_inv
	s_cbranch_vccz .LBB34_156
; %bb.149:                              ;   in Loop: Header=BB34_148 Depth=1
	v_mov_b32_e32 v66, 0
	v_mov_b32_e32 v64, 0
	;; [unrolled: 1-line block ×3, first 2 shown]
	s_mov_b32 s12, exec_lo
	v_cmpx_gt_i32_e64 s3, v97
	s_cbranch_execz .LBB34_151
; %bb.150:                              ;   in Loop: Header=BB34_148 Depth=1
	flat_load_dwordx2 v[64:65], v[2:3]
.LBB34_151:                             ;   in Loop: Header=BB34_148 Depth=1
	s_or_b32 exec_lo, exec_lo, s12
	v_or_b32_e32 v4, 1, v97
	v_mov_b32_e32 v67, 0
	s_mov_b32 s12, exec_lo
	v_cmpx_gt_i32_e64 s3, v4
	s_cbranch_execz .LBB34_153
; %bb.152:                              ;   in Loop: Header=BB34_148 Depth=1
	v_add_co_u32 v4, vcc_lo, v109, v147
	v_add_co_ci_u32_e64 v5, null, v110, v148, vcc_lo
	flat_load_dwordx2 v[66:67], v[4:5]
.LBB34_153:                             ;   in Loop: Header=BB34_148 Depth=1
	s_or_b32 exec_lo, exec_lo, s12
	v_or_b32_e32 v4, 2, v97
	v_mov_b32_e32 v68, 0
	v_mov_b32_e32 v69, 0
	s_mov_b32 s12, exec_lo
	v_cmpx_gt_i32_e64 s3, v4
	s_cbranch_execz .LBB34_155
; %bb.154:                              ;   in Loop: Header=BB34_148 Depth=1
	v_add_co_u32 v4, vcc_lo, v115, v147
	v_add_co_ci_u32_e64 v5, null, v116, v148, vcc_lo
	flat_load_dwordx2 v[68:69], v[4:5]
.LBB34_155:                             ;   in Loop: Header=BB34_148 Depth=1
	s_or_b32 exec_lo, exec_lo, s12
	v_or_b32_e32 v4, 3, v97
	v_cmp_gt_i32_e64 s12, s3, v4
	s_branch .LBB34_158
.LBB34_156:                             ;   in Loop: Header=BB34_148 Depth=1
	s_mov_b32 s12, 0
                                        ; implicit-def: $vgpr65
                                        ; implicit-def: $vgpr67
                                        ; implicit-def: $vgpr69
	s_cbranch_execz .LBB34_158
; %bb.157:                              ;   in Loop: Header=BB34_148 Depth=1
	v_add_co_u32 v4, vcc_lo, v109, v147
	v_add_co_ci_u32_e64 v5, null, v110, v148, vcc_lo
	v_add_co_u32 v6, vcc_lo, v105, v147
	v_add_co_ci_u32_e64 v7, null, v106, v148, vcc_lo
	s_waitcnt vmcnt(0) lgkmcnt(0)
	flat_load_dwordx2 v[64:65], v[2:3]
	flat_load_dwordx2 v[66:67], v[4:5]
	;; [unrolled: 1-line block ×3, first 2 shown]
	s_or_b32 s12, s12, exec_lo
.LBB34_158:                             ;   in Loop: Header=BB34_148 Depth=1
	v_mov_b32_e32 v70, 0
	v_mov_b32_e32 v71, 0
	s_and_saveexec_b32 s13, s12
	s_cbranch_execz .LBB34_160
; %bb.159:                              ;   in Loop: Header=BB34_148 Depth=1
	v_add_co_u32 v2, vcc_lo, v119, v147
	v_add_co_ci_u32_e64 v3, null, v120, v148, vcc_lo
	flat_load_dwordx2 v[70:71], v[2:3]
.LBB34_160:                             ;   in Loop: Header=BB34_148 Depth=1
	s_or_b32 exec_lo, exec_lo, s13
	ds_read_b64 v[2:3], v102
	v_add_co_u32 v18, vcc_lo, v131, v147
	v_cndmask_b32_e64 v42, 0, 1, s2
	v_add_co_ci_u32_e64 v19, null, v132, v148, vcc_lo
	s_andn2_b32 vcc_lo, exec_lo, s2
	s_waitcnt vmcnt(0) lgkmcnt(0)
	v_mul_f32_e32 v10, v65, v3
	v_mul_f32_e32 v4, v65, v2
	;; [unrolled: 1-line block ×8, first 2 shown]
	v_fmac_f32_e32 v10, v64, v2
	v_fma_f32 v11, v64, v3, -v4
	v_fmac_f32_e32 v12, v66, v2
	v_fma_f32 v13, v66, v3, -v5
	;; [unrolled: 2-line block ×4, first 2 shown]
	ds_read_b128 v[6:9], v101
	ds_read_b128 v[2:5], v101 offset:16
	ds_write2_b64 v143, v[10:11], v[12:13] offset1:67
	ds_write2_b64 v143, v[14:15], v[16:17] offset0:134 offset1:201
	s_waitcnt lgkmcnt(0)
	s_barrier
	buffer_gl0_inv
	ds_read2_b64 v[14:17], v144 offset1:1
	ds_read2_b64 v[10:13], v144 offset0:2 offset1:3
	s_waitcnt lgkmcnt(0)
	s_barrier
	buffer_gl0_inv
	s_cbranch_vccnz .LBB34_168
; %bb.161:                              ;   in Loop: Header=BB34_148 Depth=1
	v_add_nc_u32_e32 v20, 16, v97
	v_mov_b32_e32 v72, 0
	v_mov_b32_e32 v74, 0
	;; [unrolled: 1-line block ×3, first 2 shown]
	s_mov_b32 s2, exec_lo
	v_cmpx_gt_i32_e64 s3, v20
	s_cbranch_execz .LBB34_163
; %bb.162:                              ;   in Loop: Header=BB34_148 Depth=1
	flat_load_dwordx2 v[74:75], v[18:19]
.LBB34_163:                             ;   in Loop: Header=BB34_148 Depth=1
	s_or_b32 exec_lo, exec_lo, s2
	v_add_nc_u32_e32 v20, 17, v97
	v_mov_b32_e32 v73, 0
	s_mov_b32 s2, exec_lo
	v_cmpx_gt_i32_e64 s3, v20
	s_cbranch_execz .LBB34_165
; %bb.164:                              ;   in Loop: Header=BB34_148 Depth=1
	v_add_co_u32 v20, vcc_lo, v127, v147
	v_add_co_ci_u32_e64 v21, null, v128, v148, vcc_lo
	flat_load_dwordx2 v[72:73], v[20:21]
.LBB34_165:                             ;   in Loop: Header=BB34_148 Depth=1
	s_or_b32 exec_lo, exec_lo, s2
	v_add_nc_u32_e32 v20, 18, v97
	v_mov_b32_e32 v76, 0
	v_mov_b32_e32 v77, 0
	s_mov_b32 s2, exec_lo
	v_cmpx_gt_i32_e64 s3, v20
	s_cbranch_execz .LBB34_167
; %bb.166:                              ;   in Loop: Header=BB34_148 Depth=1
	v_add_co_u32 v20, vcc_lo, v135, v147
	v_add_co_ci_u32_e64 v21, null, v136, v148, vcc_lo
	flat_load_dwordx2 v[76:77], v[20:21]
.LBB34_167:                             ;   in Loop: Header=BB34_148 Depth=1
	s_or_b32 exec_lo, exec_lo, s2
	v_add_nc_u32_e32 v20, 19, v97
	v_cmp_gt_i32_e64 s2, s3, v20
	s_branch .LBB34_170
.LBB34_168:                             ;   in Loop: Header=BB34_148 Depth=1
	s_mov_b32 s2, 0
                                        ; implicit-def: $vgpr75
                                        ; implicit-def: $vgpr73
                                        ; implicit-def: $vgpr77
	s_cbranch_execz .LBB34_170
; %bb.169:                              ;   in Loop: Header=BB34_148 Depth=1
	v_add_co_u32 v20, vcc_lo, v127, v147
	v_add_co_ci_u32_e64 v21, null, v128, v148, vcc_lo
	v_add_co_u32 v22, vcc_lo, v121, v147
	v_add_co_ci_u32_e64 v23, null, v122, v148, vcc_lo
	s_waitcnt vmcnt(0) lgkmcnt(0)
	flat_load_dwordx2 v[74:75], v[18:19]
	flat_load_dwordx2 v[72:73], v[20:21]
	;; [unrolled: 1-line block ×3, first 2 shown]
	s_or_b32 s2, s2, exec_lo
.LBB34_170:                             ;   in Loop: Header=BB34_148 Depth=1
	v_mov_b32_e32 v78, 0
	v_mov_b32_e32 v79, 0
	s_and_saveexec_b32 s12, s2
	s_cbranch_execz .LBB34_172
; %bb.171:                              ;   in Loop: Header=BB34_148 Depth=1
	v_add_co_u32 v18, vcc_lo, v139, v147
	v_add_co_ci_u32_e64 v19, null, v140, v148, vcc_lo
	flat_load_dwordx2 v[78:79], v[18:19]
.LBB34_172:                             ;   in Loop: Header=BB34_148 Depth=1
	s_or_b32 exec_lo, exec_lo, s12
	ds_read_b64 v[18:19], v102
	v_cmp_ne_u32_e32 vcc_lo, 1, v42
	s_and_b32 vcc_lo, exec_lo, vcc_lo
	s_waitcnt vmcnt(0) lgkmcnt(0)
	v_mul_f32_e32 v26, v75, v19
	v_mul_f32_e32 v20, v75, v18
	;; [unrolled: 1-line block ×8, first 2 shown]
	v_fmac_f32_e32 v26, v74, v18
	v_fma_f32 v27, v74, v19, -v20
	v_fmac_f32_e32 v28, v72, v18
	v_fma_f32 v29, v72, v19, -v21
	;; [unrolled: 2-line block ×4, first 2 shown]
	ds_read_b128 v[22:25], v101 offset:128
	ds_read_b128 v[18:21], v101 offset:144
	ds_write2_b64 v143, v[26:27], v[28:29] offset1:67
	ds_write2_b64 v143, v[30:31], v[32:33] offset0:134 offset1:201
	s_waitcnt lgkmcnt(0)
	s_barrier
	buffer_gl0_inv
	ds_read2_b64 v[38:41], v144 offset1:1
	ds_read2_b64 v[30:33], v144 offset0:2 offset1:3
	v_add_co_u32 v26, s2, v133, v147
	v_add_co_ci_u32_e64 v27, null, v134, v148, s2
	s_waitcnt lgkmcnt(0)
	s_barrier
	buffer_gl0_inv
	s_cbranch_vccnz .LBB34_180
; %bb.173:                              ;   in Loop: Header=BB34_148 Depth=1
	v_add_nc_u32_e32 v28, 32, v97
	v_mov_b32_e32 v80, 0
	v_mov_b32_e32 v82, 0
	;; [unrolled: 1-line block ×3, first 2 shown]
	s_mov_b32 s2, exec_lo
	v_cmpx_gt_i32_e64 s3, v28
	s_cbranch_execz .LBB34_175
; %bb.174:                              ;   in Loop: Header=BB34_148 Depth=1
	flat_load_dwordx2 v[82:83], v[26:27]
.LBB34_175:                             ;   in Loop: Header=BB34_148 Depth=1
	s_or_b32 exec_lo, exec_lo, s2
	v_add_nc_u32_e32 v28, 33, v97
	v_mov_b32_e32 v81, 0
	s_mov_b32 s2, exec_lo
	v_cmpx_gt_i32_e64 s3, v28
	s_cbranch_execz .LBB34_177
; %bb.176:                              ;   in Loop: Header=BB34_148 Depth=1
	v_add_co_u32 v28, vcc_lo, v137, v147
	v_add_co_ci_u32_e64 v29, null, v138, v148, vcc_lo
	flat_load_dwordx2 v[80:81], v[28:29]
.LBB34_177:                             ;   in Loop: Header=BB34_148 Depth=1
	s_or_b32 exec_lo, exec_lo, s2
	v_add_nc_u32_e32 v28, 34, v97
	v_mov_b32_e32 v84, 0
	v_mov_b32_e32 v85, 0
	s_mov_b32 s2, exec_lo
	v_cmpx_gt_i32_e64 s3, v28
	s_cbranch_execz .LBB34_179
; %bb.178:                              ;   in Loop: Header=BB34_148 Depth=1
	v_add_co_u32 v28, vcc_lo, v129, v147
	v_add_co_ci_u32_e64 v29, null, v130, v148, vcc_lo
	flat_load_dwordx2 v[84:85], v[28:29]
.LBB34_179:                             ;   in Loop: Header=BB34_148 Depth=1
	s_or_b32 exec_lo, exec_lo, s2
	v_add_nc_u32_e32 v28, 35, v97
	v_cmp_gt_i32_e64 s2, s3, v28
	s_branch .LBB34_182
.LBB34_180:                             ;   in Loop: Header=BB34_148 Depth=1
	s_mov_b32 s2, 0
                                        ; implicit-def: $vgpr83
                                        ; implicit-def: $vgpr81
                                        ; implicit-def: $vgpr85
	s_cbranch_execz .LBB34_182
; %bb.181:                              ;   in Loop: Header=BB34_148 Depth=1
	v_add_co_u32 v28, vcc_lo, v137, v147
	v_add_co_ci_u32_e64 v29, null, v138, v148, vcc_lo
	v_add_co_u32 v34, vcc_lo, v141, v147
	v_add_co_ci_u32_e64 v35, null, v142, v148, vcc_lo
	s_waitcnt vmcnt(0) lgkmcnt(0)
	flat_load_dwordx2 v[82:83], v[26:27]
	flat_load_dwordx2 v[80:81], v[28:29]
	;; [unrolled: 1-line block ×3, first 2 shown]
	s_or_b32 s2, s2, exec_lo
.LBB34_182:                             ;   in Loop: Header=BB34_148 Depth=1
	v_mov_b32_e32 v86, 0
	v_mov_b32_e32 v87, 0
	s_and_saveexec_b32 s12, s2
	s_cbranch_execz .LBB34_184
; %bb.183:                              ;   in Loop: Header=BB34_148 Depth=1
	v_add_co_u32 v26, vcc_lo, v125, v147
	v_add_co_ci_u32_e64 v27, null, v126, v148, vcc_lo
	flat_load_dwordx2 v[86:87], v[26:27]
.LBB34_184:                             ;   in Loop: Header=BB34_148 Depth=1
	s_or_b32 exec_lo, exec_lo, s12
	ds_read_b64 v[26:27], v102
	v_cmp_ne_u32_e32 vcc_lo, 1, v42
	v_add_co_u32 v42, s2, v103, v147
	s_and_b32 vcc_lo, exec_lo, vcc_lo
	s_waitcnt vmcnt(0) lgkmcnt(0)
	v_mul_f32_e32 v43, v83, v27
	v_mul_f32_e32 v28, v83, v26
	;; [unrolled: 1-line block ×8, first 2 shown]
	v_fmac_f32_e32 v43, v82, v26
	v_fma_f32 v44, v82, v27, -v28
	v_fmac_f32_e32 v45, v80, v26
	v_fma_f32 v46, v80, v27, -v29
	;; [unrolled: 2-line block ×4, first 2 shown]
	ds_read_b128 v[34:37], v101 offset:256
	ds_read_b128 v[26:29], v101 offset:272
	ds_write2_b64 v143, v[43:44], v[45:46] offset1:67
	ds_write2_b64 v143, v[47:48], v[49:50] offset0:134 offset1:201
	s_waitcnt lgkmcnt(0)
	s_barrier
	buffer_gl0_inv
	ds_read2_b64 v[54:57], v144 offset1:1
	ds_read2_b64 v[50:53], v144 offset0:2 offset1:3
	v_add_co_ci_u32_e64 v43, null, v104, v148, s2
	s_waitcnt lgkmcnt(0)
	s_barrier
	buffer_gl0_inv
	s_cbranch_vccnz .LBB34_192
; %bb.185:                              ;   in Loop: Header=BB34_148 Depth=1
	v_add_nc_u32_e32 v44, 48, v97
	v_mov_b32_e32 v90, 0
	v_mov_b32_e32 v88, 0
	;; [unrolled: 1-line block ×3, first 2 shown]
	s_mov_b32 s2, exec_lo
	v_cmpx_gt_i32_e64 s3, v44
	s_cbranch_execz .LBB34_187
; %bb.186:                              ;   in Loop: Header=BB34_148 Depth=1
	flat_load_dwordx2 v[88:89], v[42:43]
.LBB34_187:                             ;   in Loop: Header=BB34_148 Depth=1
	s_or_b32 exec_lo, exec_lo, s2
	v_mov_b32_e32 v91, 0
	s_mov_b32 s2, exec_lo
	v_cmpx_gt_i32_e64 s3, v150
	s_cbranch_execz .LBB34_189
; %bb.188:                              ;   in Loop: Header=BB34_148 Depth=1
	v_add_co_u32 v44, vcc_lo, v117, v147
	v_add_co_ci_u32_e64 v45, null, v118, v148, vcc_lo
	flat_load_dwordx2 v[90:91], v[44:45]
.LBB34_189:                             ;   in Loop: Header=BB34_148 Depth=1
	s_or_b32 exec_lo, exec_lo, s2
	v_mov_b32_e32 v92, 0
	v_mov_b32_e32 v93, 0
	s_mov_b32 s2, exec_lo
	v_cmpx_gt_i32_e64 s3, v151
	s_cbranch_execz .LBB34_191
; %bb.190:                              ;   in Loop: Header=BB34_148 Depth=1
	v_add_co_u32 v44, vcc_lo, v111, v147
	v_add_co_ci_u32_e64 v45, null, v112, v148, vcc_lo
	flat_load_dwordx2 v[92:93], v[44:45]
.LBB34_191:                             ;   in Loop: Header=BB34_148 Depth=1
	s_or_b32 exec_lo, exec_lo, s2
	v_cmp_gt_i32_e64 s2, s3, v152
	s_branch .LBB34_194
.LBB34_192:                             ;   in Loop: Header=BB34_148 Depth=1
	s_mov_b32 s2, 0
                                        ; implicit-def: $vgpr89
                                        ; implicit-def: $vgpr91
                                        ; implicit-def: $vgpr93
	s_cbranch_execz .LBB34_194
; %bb.193:                              ;   in Loop: Header=BB34_148 Depth=1
	v_add_co_u32 v44, vcc_lo, v117, v147
	v_add_co_ci_u32_e64 v45, null, v118, v148, vcc_lo
	v_add_co_u32 v46, vcc_lo, v123, v147
	v_add_co_ci_u32_e64 v47, null, v124, v148, vcc_lo
	s_waitcnt vmcnt(0) lgkmcnt(0)
	flat_load_dwordx2 v[88:89], v[42:43]
	flat_load_dwordx2 v[90:91], v[44:45]
	;; [unrolled: 1-line block ×3, first 2 shown]
	s_or_b32 s2, s2, exec_lo
.LBB34_194:                             ;   in Loop: Header=BB34_148 Depth=1
	v_mov_b32_e32 v94, 0
	v_mov_b32_e32 v95, 0
	s_and_saveexec_b32 s12, s2
	s_cbranch_execz .LBB34_196
; %bb.195:                              ;   in Loop: Header=BB34_148 Depth=1
	v_add_co_u32 v42, vcc_lo, v107, v147
	v_add_co_ci_u32_e64 v43, null, v108, v148, vcc_lo
	flat_load_dwordx2 v[94:95], v[42:43]
.LBB34_196:                             ;   in Loop: Header=BB34_148 Depth=1
	s_or_b32 exec_lo, exec_lo, s12
	ds_read_b64 v[42:43], v102
	v_add_f32_e32 v54, 0, v54
	v_add_f32_e32 v55, 0, v55
	;; [unrolled: 1-line block ×10, first 2 shown]
	v_cmp_gt_i32_e32 vcc_lo, s3, v0
	v_add_f32_e32 v14, v14, v16
	v_add_f32_e32 v30, v38, v30
	;; [unrolled: 1-line block ×8, first 2 shown]
	s_waitcnt vmcnt(0) lgkmcnt(0)
	v_mul_f32_e32 v153, v89, v43
	v_mul_f32_e32 v44, v89, v42
	;; [unrolled: 1-line block ×8, first 2 shown]
	v_fmac_f32_e32 v153, v88, v42
	v_fma_f32 v154, v88, v43, -v44
	v_fmac_f32_e32 v155, v90, v42
	v_fma_f32 v156, v90, v43, -v45
	;; [unrolled: 2-line block ×4, first 2 shown]
	ds_read_b128 v[46:49], v101 offset:384
	ds_read_b128 v[42:45], v101 offset:400
	ds_write2_b64 v143, v[153:154], v[155:156] offset1:67
	ds_write2_b64 v143, v[157:158], v[159:160] offset0:134 offset1:201
	s_waitcnt lgkmcnt(0)
	s_barrier
	buffer_gl0_inv
	ds_read2_b64 v[153:156], v144 offset1:1
	v_add_f32_e32 v157, v55, v57
	ds_read2_b64 v[54:57], v144 offset0:2 offset1:3
	v_add_f32_e32 v12, v39, v12
	v_add_f32_e32 v13, v41, v13
	s_or_b32 s2, s5, vcc_lo
	v_add_f32_e32 v17, v157, v51
	s_and_b32 s3, s1, s2
	s_waitcnt lgkmcnt(0)
	s_barrier
	buffer_gl0_inv
	v_add_f32_e32 v11, v17, v53
	v_add_f32_e32 v38, 0, v153
	;; [unrolled: 1-line block ×10, first 2 shown]
	ds_write2_b64 v149, v[12:13], v[14:15] offset1:16
	ds_write2_b64 v149, v[10:11], v[16:17] offset0:32 offset1:48
	s_waitcnt lgkmcnt(0)
	s_barrier
	buffer_gl0_inv
	s_and_saveexec_b32 s2, s3
	s_cbranch_execz .LBB34_198
; %bb.197:                              ;   in Loop: Header=BB34_148 Depth=1
	ds_read_b64 v[38:39], v145
	ds_read2_b64 v[10:13], v145 offset0:1 offset1:2
	ds_read2_b64 v[14:17], v145 offset0:3 offset1:4
	;; [unrolled: 1-line block ×3, first 2 shown]
	v_ashrrev_i32_e32 v62, 31, v61
	s_waitcnt lgkmcnt(2)
	v_add_f32_e32 v10, v10, v38
	v_add_f32_e32 v11, v11, v39
	v_add_f32_e32 v38, v12, v10
	v_add_f32_e32 v39, v13, v11
	ds_read2_b64 v[10:13], v145 offset0:7 offset1:8
	s_waitcnt lgkmcnt(2)
	v_add_f32_e32 v14, v38, v14
	v_add_f32_e32 v15, v39, v15
	v_add_f32_e32 v38, v14, v16
	v_add_f32_e32 v39, v15, v17
	ds_read2_b64 v[14:17], v145 offset0:9 offset1:10
	;; [unrolled: 6-line block ×4, first 2 shown]
	s_waitcnt lgkmcnt(2)
	v_add_f32_e32 v14, v38, v14
	v_add_f32_e32 v15, v39, v15
	;; [unrolled: 1-line block ×4, first 2 shown]
	ds_read_b64 v[14:15], v146
	s_waitcnt lgkmcnt(2)
	v_add_f32_e32 v16, v16, v30
	v_add_f32_e32 v17, v17, v31
	;; [unrolled: 1-line block ×4, first 2 shown]
	s_waitcnt lgkmcnt(1)
	v_add_f32_e32 v10, v16, v10
	v_add_f32_e32 v11, v17, v11
	;; [unrolled: 1-line block ×4, first 2 shown]
	v_lshlrev_b64 v[10:11], 3, v[61:62]
	s_waitcnt lgkmcnt(0)
	v_add_f32_e32 v12, v12, v14
	v_add_f32_e32 v13, v13, v15
	v_add_co_u32 v10, vcc_lo, s7, v10
	v_add_co_ci_u32_e64 v11, null, s9, v11, vcc_lo
	global_store_dwordx2 v[10:11], v[12:13], off
.LBB34_198:                             ;   in Loop: Header=BB34_148 Depth=1
	s_or_b32 exec_lo, exec_lo, s2
	v_mul_f32_e32 v10, v65, v7
	v_mul_f32_e32 v7, v64, v7
	;; [unrolled: 1-line block ×5, first 2 shown]
	v_fma_f32 v10, v64, v6, -v10
	v_fmac_f32_e32 v7, v65, v6
	v_fma_f32 v11, v66, v8, -v11
	v_mul_f32_e32 v3, v68, v3
	v_mul_f32_e32 v13, v71, v5
	v_add_f32_e32 v10, v59, v10
	v_fma_f32 v6, v68, v2, -v12
	v_fmac_f32_e32 v9, v67, v8
	v_add_f32_e32 v7, v60, v7
	v_mul_f32_e32 v5, v70, v5
	v_add_f32_e32 v10, v10, v11
	v_mul_f32_e32 v14, v75, v23
	v_fma_f32 v8, v70, v4, -v13
	v_fmac_f32_e32 v3, v69, v2
	v_add_f32_e32 v2, v7, v9
	v_add_f32_e32 v6, v10, v6
	v_mul_f32_e32 v15, v74, v23
	v_mul_f32_e32 v11, v73, v25
	v_fma_f32 v7, v74, v22, -v14
	v_fmac_f32_e32 v5, v71, v4
	v_add_f32_e32 v6, v6, v8
	v_add_f32_e32 v2, v2, v3
	v_mul_f32_e32 v10, v72, v25
	v_mul_f32_e32 v8, v77, v19
	v_fma_f32 v3, v72, v24, -v11
	v_add_f32_e32 v4, v6, v7
	v_fmac_f32_e32 v15, v75, v22
	v_add_f32_e32 v2, v2, v5
	v_mul_f32_e32 v6, v79, v21
	v_fma_f32 v5, v76, v18, -v8
	v_add_f32_e32 v3, v4, v3
	v_mul_f32_e32 v4, v76, v19
	v_fmac_f32_e32 v10, v73, v24
	v_add_f32_e32 v2, v2, v15
	v_fma_f32 v6, v78, v20, -v6
	v_add_f32_e32 v3, v3, v5
	v_mul_f32_e32 v5, v83, v35
	v_fmac_f32_e32 v4, v77, v18
	v_add_f32_e32 v2, v2, v10
	v_mul_f32_e32 v7, v78, v21
	v_add_f32_e32 v3, v3, v6
	v_fma_f32 v5, v82, v34, -v5
	v_mul_f32_e32 v6, v81, v37
	v_add_f32_e32 v2, v2, v4
	v_fmac_f32_e32 v7, v79, v20
	v_mul_f32_e32 v4, v82, v35
	v_add_f32_e32 v3, v3, v5
	v_fma_f32 v5, v80, v36, -v6
	v_mul_f32_e32 v6, v85, v27
	v_add_f32_e32 v2, v2, v7
	v_fmac_f32_e32 v4, v83, v34
	v_mul_f32_e32 v7, v80, v37
	v_add_co_u32 v105, vcc_lo, v105, s10
	v_add_co_ci_u32_e64 v106, null, s11, v106, vcc_lo
	v_add_co_u32 v107, vcc_lo, v107, s10
	v_add_co_ci_u32_e64 v108, null, s11, v108, vcc_lo
	v_add_co_u32 v109, vcc_lo, v109, s10
	v_add_f32_e32 v3, v3, v5
	v_fma_f32 v5, v84, v26, -v6
	v_mul_f32_e32 v6, v87, v29
	v_add_f32_e32 v2, v2, v4
	v_fmac_f32_e32 v7, v81, v36
	v_mul_f32_e32 v4, v84, v27
	v_add_co_ci_u32_e64 v110, null, s11, v110, vcc_lo
	v_add_co_u32 v111, vcc_lo, v111, s10
	v_add_co_ci_u32_e64 v112, null, s11, v112, vcc_lo
	v_add_co_u32 v113, vcc_lo, v113, s10
	v_add_f32_e32 v3, v3, v5
	v_fma_f32 v5, v86, v28, -v6
	v_add_f32_e32 v2, v2, v7
	v_fmac_f32_e32 v4, v85, v26
	v_mul_f32_e32 v6, v89, v47
	v_mul_f32_e32 v7, v86, v29
	v_add_co_ci_u32_e64 v114, null, s11, v114, vcc_lo
	v_add_co_u32 v103, vcc_lo, v103, s10
	v_add_co_ci_u32_e64 v104, null, s11, v104, vcc_lo
	v_add_co_u32 v115, vcc_lo, v115, s10
	;; [unrolled: 2-line block ×3, first 2 shown]
	v_add_f32_e32 v3, v3, v5
	v_add_f32_e32 v2, v2, v4
	v_fma_f32 v4, v88, v46, -v6
	v_mul_f32_e32 v5, v91, v49
	v_fmac_f32_e32 v7, v87, v28
	v_mul_f32_e32 v6, v88, v47
	v_add_co_ci_u32_e64 v118, null, s11, v118, vcc_lo
	v_add_co_u32 v119, vcc_lo, v119, s10
	v_add_co_ci_u32_e64 v120, null, s11, v120, vcc_lo
	v_add_co_u32 v121, vcc_lo, v121, s10
	v_add_f32_e32 v3, v3, v4
	v_fma_f32 v4, v90, v48, -v5
	v_add_f32_e32 v2, v2, v7
	v_mul_f32_e32 v5, v90, v49
	v_fmac_f32_e32 v6, v89, v46
	v_add_co_ci_u32_e64 v122, null, s11, v122, vcc_lo
	v_add_co_u32 v123, vcc_lo, v123, s10
	v_add_co_ci_u32_e64 v124, null, s11, v124, vcc_lo
	v_add_co_u32 v125, vcc_lo, v125, s10
	;; [unrolled: 2-line block ×3, first 2 shown]
	v_mul_f32_e32 v7, v93, v43
	v_add_f32_e32 v3, v3, v4
	v_mul_f32_e32 v4, v92, v43
	v_fmac_f32_e32 v5, v91, v48
	v_add_f32_e32 v2, v2, v6
	v_add_co_ci_u32_e64 v128, null, s11, v128, vcc_lo
	v_add_co_u32 v129, vcc_lo, v129, s10
	v_add_co_ci_u32_e64 v130, null, s11, v130, vcc_lo
	v_add_co_u32 v131, vcc_lo, v131, s10
	v_fma_f32 v6, v92, v42, -v7
	v_mul_f32_e32 v7, v95, v45
	v_mul_f32_e32 v8, v94, v45
	v_fmac_f32_e32 v4, v93, v42
	v_add_f32_e32 v2, v2, v5
	v_add_co_ci_u32_e64 v132, null, s11, v132, vcc_lo
	v_add_co_u32 v133, vcc_lo, v133, s10
	v_add_co_ci_u32_e64 v134, null, s11, v134, vcc_lo
	v_add_co_u32 v135, vcc_lo, v135, s10
	;; [unrolled: 2-line block ×3, first 2 shown]
	v_add_f32_e32 v3, v3, v6
	v_fma_f32 v5, v94, v44, -v7
	v_fmac_f32_e32 v8, v95, v44
	v_add_f32_e32 v2, v2, v4
	v_add_co_ci_u32_e64 v138, null, s11, v138, vcc_lo
	v_add_co_u32 v139, vcc_lo, v139, s10
	v_add_co_ci_u32_e64 v140, null, s11, v140, vcc_lo
	v_add_co_u32 v141, vcc_lo, v141, s10
	v_add_f32_e32 v59, v3, v5
	v_add_f32_e32 v60, v2, v8
	v_add_nc_u32_e32 v61, 64, v61
	v_add_co_ci_u32_e64 v142, null, s11, v142, vcc_lo
	s_add_i32 s3, s6, 2
	s_add_i32 s2, s6, 1
	;; [unrolled: 1-line block ×3, first 2 shown]
	s_cmp_ge_u32 s3, s24
	s_waitcnt_vscnt null, 0x0
	s_barrier
	buffer_gl0_inv
	s_cbranch_scc0 .LBB34_143
.LBB34_199:
	v_cmp_gt_i32_e32 vcc_lo, s8, v0
	v_mad_u32_u24 v1, 0x218, v1, v96
	s_or_b32 s1, s26, vcc_lo
	ds_write_b64 v1, v[59:60]
	s_and_b32 s0, s0, s1
	s_waitcnt lgkmcnt(0)
	s_barrier
	buffer_gl0_inv
	s_and_saveexec_b32 s1, s0
	s_cbranch_execz .LBB34_201
; %bb.200:
	ds_read2_b64 v[0:3], v96 offset1:67
	ds_read2_b64 v[4:7], v96 offset0:134 offset1:201
	v_ashrrev_i32_e32 v59, 31, v58
	s_waitcnt lgkmcnt(1)
	v_add_f32_e32 v0, v2, v0
	v_add_f32_e32 v1, v3, v1
	s_waitcnt lgkmcnt(0)
	v_add_f32_e32 v2, v4, v0
	v_add_f32_e32 v3, v5, v1
	v_lshlrev_b64 v[0:1], 3, v[58:59]
	v_add_f32_e32 v2, v2, v6
	v_add_f32_e32 v3, v3, v7
	v_add_co_u32 v0, vcc_lo, s7, v0
	v_add_co_ci_u32_e64 v1, null, s9, v1, vcc_lo
	global_store_dwordx2 v[0:1], v[2:3], off
.LBB34_201:
	s_endpgm
	.section	.rodata,"a",@progbits
	.p2align	6, 0x0
	.amdhsa_kernel _ZL26rocblas_hemvn_kernel_upperILb1ELi64ELi4ELi33ELi32ELi16EiPK19rocblas_complex_numIfEPKS3_PS1_EviT6_lT7_lT5_lS8_lS9_lS7_lT8_i
		.amdhsa_group_segment_fixed_size 9600
		.amdhsa_private_segment_fixed_size 0
		.amdhsa_kernarg_size 376
		.amdhsa_user_sgpr_count 6
		.amdhsa_user_sgpr_private_segment_buffer 1
		.amdhsa_user_sgpr_dispatch_ptr 0
		.amdhsa_user_sgpr_queue_ptr 0
		.amdhsa_user_sgpr_kernarg_segment_ptr 1
		.amdhsa_user_sgpr_dispatch_id 0
		.amdhsa_user_sgpr_flat_scratch_init 0
		.amdhsa_user_sgpr_private_segment_size 0
		.amdhsa_wavefront_size32 1
		.amdhsa_uses_dynamic_stack 0
		.amdhsa_system_sgpr_private_segment_wavefront_offset 0
		.amdhsa_system_sgpr_workgroup_id_x 1
		.amdhsa_system_sgpr_workgroup_id_y 0
		.amdhsa_system_sgpr_workgroup_id_z 1
		.amdhsa_system_sgpr_workgroup_info 0
		.amdhsa_system_vgpr_workitem_id 1
		.amdhsa_next_free_vgpr 161
		.amdhsa_next_free_sgpr 37
		.amdhsa_reserve_vcc 1
		.amdhsa_reserve_flat_scratch 1
		.amdhsa_float_round_mode_32 0
		.amdhsa_float_round_mode_16_64 0
		.amdhsa_float_denorm_mode_32 3
		.amdhsa_float_denorm_mode_16_64 3
		.amdhsa_dx10_clamp 1
		.amdhsa_ieee_mode 1
		.amdhsa_fp16_overflow 0
		.amdhsa_workgroup_processor_mode 1
		.amdhsa_memory_ordered 1
		.amdhsa_forward_progress 1
		.amdhsa_shared_vgpr_count 0
		.amdhsa_exception_fp_ieee_invalid_op 0
		.amdhsa_exception_fp_denorm_src 0
		.amdhsa_exception_fp_ieee_div_zero 0
		.amdhsa_exception_fp_ieee_overflow 0
		.amdhsa_exception_fp_ieee_underflow 0
		.amdhsa_exception_fp_ieee_inexact 0
		.amdhsa_exception_int_div_zero 0
	.end_amdhsa_kernel
	.section	.text._ZL26rocblas_hemvn_kernel_upperILb1ELi64ELi4ELi33ELi32ELi16EiPK19rocblas_complex_numIfEPKS3_PS1_EviT6_lT7_lT5_lS8_lS9_lS7_lT8_i,"axG",@progbits,_ZL26rocblas_hemvn_kernel_upperILb1ELi64ELi4ELi33ELi32ELi16EiPK19rocblas_complex_numIfEPKS3_PS1_EviT6_lT7_lT5_lS8_lS9_lS7_lT8_i,comdat
.Lfunc_end34:
	.size	_ZL26rocblas_hemvn_kernel_upperILb1ELi64ELi4ELi33ELi32ELi16EiPK19rocblas_complex_numIfEPKS3_PS1_EviT6_lT7_lT5_lS8_lS9_lS7_lT8_i, .Lfunc_end34-_ZL26rocblas_hemvn_kernel_upperILb1ELi64ELi4ELi33ELi32ELi16EiPK19rocblas_complex_numIfEPKS3_PS1_EviT6_lT7_lT5_lS8_lS9_lS7_lT8_i
                                        ; -- End function
	.set _ZL26rocblas_hemvn_kernel_upperILb1ELi64ELi4ELi33ELi32ELi16EiPK19rocblas_complex_numIfEPKS3_PS1_EviT6_lT7_lT5_lS8_lS9_lS7_lT8_i.num_vgpr, 161
	.set _ZL26rocblas_hemvn_kernel_upperILb1ELi64ELi4ELi33ELi32ELi16EiPK19rocblas_complex_numIfEPKS3_PS1_EviT6_lT7_lT5_lS8_lS9_lS7_lT8_i.num_agpr, 0
	.set _ZL26rocblas_hemvn_kernel_upperILb1ELi64ELi4ELi33ELi32ELi16EiPK19rocblas_complex_numIfEPKS3_PS1_EviT6_lT7_lT5_lS8_lS9_lS7_lT8_i.numbered_sgpr, 37
	.set _ZL26rocblas_hemvn_kernel_upperILb1ELi64ELi4ELi33ELi32ELi16EiPK19rocblas_complex_numIfEPKS3_PS1_EviT6_lT7_lT5_lS8_lS9_lS7_lT8_i.num_named_barrier, 0
	.set _ZL26rocblas_hemvn_kernel_upperILb1ELi64ELi4ELi33ELi32ELi16EiPK19rocblas_complex_numIfEPKS3_PS1_EviT6_lT7_lT5_lS8_lS9_lS7_lT8_i.private_seg_size, 0
	.set _ZL26rocblas_hemvn_kernel_upperILb1ELi64ELi4ELi33ELi32ELi16EiPK19rocblas_complex_numIfEPKS3_PS1_EviT6_lT7_lT5_lS8_lS9_lS7_lT8_i.uses_vcc, 1
	.set _ZL26rocblas_hemvn_kernel_upperILb1ELi64ELi4ELi33ELi32ELi16EiPK19rocblas_complex_numIfEPKS3_PS1_EviT6_lT7_lT5_lS8_lS9_lS7_lT8_i.uses_flat_scratch, 1
	.set _ZL26rocblas_hemvn_kernel_upperILb1ELi64ELi4ELi33ELi32ELi16EiPK19rocblas_complex_numIfEPKS3_PS1_EviT6_lT7_lT5_lS8_lS9_lS7_lT8_i.has_dyn_sized_stack, 0
	.set _ZL26rocblas_hemvn_kernel_upperILb1ELi64ELi4ELi33ELi32ELi16EiPK19rocblas_complex_numIfEPKS3_PS1_EviT6_lT7_lT5_lS8_lS9_lS7_lT8_i.has_recursion, 0
	.set _ZL26rocblas_hemvn_kernel_upperILb1ELi64ELi4ELi33ELi32ELi16EiPK19rocblas_complex_numIfEPKS3_PS1_EviT6_lT7_lT5_lS8_lS9_lS7_lT8_i.has_indirect_call, 0
	.section	.AMDGPU.csdata,"",@progbits
; Kernel info:
; codeLenInByte = 10152
; TotalNumSgprs: 39
; NumVgprs: 161
; ScratchSize: 0
; MemoryBound: 1
; FloatMode: 240
; IeeeMode: 1
; LDSByteSize: 9600 bytes/workgroup (compile time only)
; SGPRBlocks: 0
; VGPRBlocks: 20
; NumSGPRsForWavesPerEU: 39
; NumVGPRsForWavesPerEU: 161
; Occupancy: 5
; WaveLimiterHint : 1
; COMPUTE_PGM_RSRC2:SCRATCH_EN: 0
; COMPUTE_PGM_RSRC2:USER_SGPR: 6
; COMPUTE_PGM_RSRC2:TRAP_HANDLER: 0
; COMPUTE_PGM_RSRC2:TGID_X_EN: 1
; COMPUTE_PGM_RSRC2:TGID_Y_EN: 0
; COMPUTE_PGM_RSRC2:TGID_Z_EN: 1
; COMPUTE_PGM_RSRC2:TIDIG_COMP_CNT: 1
	.section	.text._ZL36rocblas_hemvn_kernel_upper_block_sumILi64EiPK19rocblas_complex_numIfEPKPS1_S1_EviT1_lS7_lT2_lT0_lPT3_i,"axG",@progbits,_ZL36rocblas_hemvn_kernel_upper_block_sumILi64EiPK19rocblas_complex_numIfEPKPS1_S1_EviT1_lS7_lT2_lT0_lPT3_i,comdat
	.globl	_ZL36rocblas_hemvn_kernel_upper_block_sumILi64EiPK19rocblas_complex_numIfEPKPS1_S1_EviT1_lS7_lT2_lT0_lPT3_i ; -- Begin function _ZL36rocblas_hemvn_kernel_upper_block_sumILi64EiPK19rocblas_complex_numIfEPKPS1_S1_EviT1_lS7_lT2_lT0_lPT3_i
	.p2align	8
	.type	_ZL36rocblas_hemvn_kernel_upper_block_sumILi64EiPK19rocblas_complex_numIfEPKPS1_S1_EviT1_lS7_lT2_lT0_lPT3_i,@function
_ZL36rocblas_hemvn_kernel_upper_block_sumILi64EiPK19rocblas_complex_numIfEPKPS1_S1_EviT1_lS7_lT2_lT0_lPT3_i: ; @_ZL36rocblas_hemvn_kernel_upper_block_sumILi64EiPK19rocblas_complex_numIfEPKPS1_S1_EviT1_lS7_lT2_lT0_lPT3_i
; %bb.0:
	s_load_dwordx8 s[12:19], s[4:5], 0x8
	s_mov_b32 s10, s7
	s_mov_b32 s11, 0
	s_waitcnt lgkmcnt(0)
	s_mul_i32 s1, s15, s7
	s_mul_hi_u32 s2, s14, s7
	s_mul_i32 s0, s14, s7
	s_add_i32 s1, s2, s1
	s_mul_i32 s2, s19, s7
	s_lshl_b64 s[0:1], s[0:1], 3
	s_add_u32 s0, s12, s0
	s_addc_u32 s1, s13, s1
	s_load_dwordx2 s[8:9], s[0:1], 0x0
	s_mul_hi_u32 s1, s18, s7
	s_mul_i32 s0, s18, s7
	s_add_i32 s1, s1, s2
	s_lshl_b64 s[0:1], s[0:1], 3
	s_add_u32 s0, s16, s0
	s_addc_u32 s1, s17, s1
	s_load_dwordx2 s[2:3], s[0:1], 0x0
	s_waitcnt lgkmcnt(0)
	s_or_b32 s0, s8, s9
	s_bitset0_b32 s0, 31
	s_cmp_eq_u32 s0, 0
	s_cselect_b32 s1, -1, 0
	s_cmp_lg_u32 s0, 0
	s_mov_b32 s0, -1
	s_cbranch_scc1 .LBB35_2
; %bb.1:
	v_cmp_neq_f32_e64 s0, s2, 1.0
	v_cmp_neq_f32_e64 s7, s3, 0
	s_or_b32 s0, s0, s7
.LBB35_2:
	s_andn2_b32 vcc_lo, exec_lo, s0
	s_cbranch_vccnz .LBB35_19
; %bb.3:
	s_load_dwordx4 s[16:19], s[4:5], 0x28
	s_lshl_b64 s[20:21], s[10:11], 3
	s_clause 0x1
	s_load_dword s14, s[4:5], 0x38
	s_load_dword s12, s[4:5], 0x0
	v_lshl_or_b32 v0, s6, 6, v0
	s_waitcnt lgkmcnt(0)
	s_add_u32 s16, s16, s20
	s_addc_u32 s17, s17, s21
	s_lshl_b64 s[18:19], s[18:19], 3
	s_load_dwordx2 s[16:17], s[16:17], 0x0
	v_cmp_gt_i32_e64 s0, s12, v0
	s_waitcnt lgkmcnt(0)
	s_add_u32 s7, s16, s18
	s_addc_u32 s11, s17, s19
	s_andn2_b32 vcc_lo, exec_lo, s1
	s_mov_b32 s1, -1
	s_cbranch_vccnz .LBB35_9
; %bb.4:
	s_and_saveexec_b32 s1, s0
	s_cbranch_execz .LBB35_8
; %bb.5:
	v_mul_lo_u32 v1, s14, v0
	v_cmp_neq_f32_e64 s0, s2, 0
	v_cmp_neq_f32_e64 s13, s3, 0
	v_mov_b32_e32 v3, 0
	v_mov_b32_e32 v4, 0
	s_or_b32 s0, s0, s13
	v_ashrrev_i32_e32 v2, 31, v1
	s_andn2_b32 vcc_lo, exec_lo, s0
	v_lshlrev_b64 v[1:2], 3, v[1:2]
	s_cbranch_vccnz .LBB35_7
; %bb.6:
	v_add_co_u32 v3, vcc_lo, s7, v1
	v_add_co_ci_u32_e64 v4, null, s11, v2, vcc_lo
	flat_load_dwordx2 v[5:6], v[3:4]
	s_waitcnt vmcnt(0) lgkmcnt(0)
	v_mul_f32_e32 v3, s3, v6
	v_mul_f32_e32 v4, s2, v6
	v_fma_f32 v3, v5, s2, -v3
	v_fmac_f32_e32 v4, s3, v5
.LBB35_7:
	v_add_co_u32 v1, vcc_lo, s7, v1
	v_add_co_ci_u32_e64 v2, null, s11, v2, vcc_lo
	flat_store_dwordx2 v[1:2], v[3:4]
.LBB35_8:
	s_or_b32 exec_lo, exec_lo, s1
	s_mov_b32 s1, 0
.LBB35_9:
	s_andn2_b32 vcc_lo, exec_lo, s1
	s_cbranch_vccnz .LBB35_19
; %bb.10:
	s_mov_b32 s0, exec_lo
	v_cmpx_gt_i32_e64 s12, v0
	s_cbranch_execz .LBB35_19
; %bb.11:
	v_mov_b32_e32 v1, 0
	v_mov_b32_e32 v4, 0
	s_cmp_lt_i32 s6, 0
	s_cbranch_scc1 .LBB35_14
; %bb.12:
	s_clause 0x1
	s_load_dword s15, s[4:5], 0x58
	s_load_dwordx2 s[0:1], s[4:5], 0x48
	s_ashr_i32 s13, s12, 31
	s_mul_hi_u32 s4, s12, s10
	s_mul_i32 s5, s13, s10
	v_mov_b32_e32 v1, 0
	s_add_i32 s4, s4, s5
	s_mul_i32 s5, s12, s10
	v_lshlrev_b64 v[2:3], 3, v[0:1]
	v_mov_b32_e32 v4, v1
	s_waitcnt lgkmcnt(0)
	s_mul_i32 s10, s4, s15
	s_mul_hi_u32 s16, s5, s15
	s_mul_i32 s4, s5, s15
	s_add_i32 s5, s16, s10
	s_lshl_b64 s[16:17], s[4:5], 3
	s_add_i32 s4, s6, 1
	s_add_u32 s0, s0, s16
	s_addc_u32 s1, s1, s17
	v_add_co_u32 v2, vcc_lo, s0, v2
	v_add_co_ci_u32_e64 v3, null, s1, v3, vcc_lo
	s_lshl_b64 s[0:1], s[12:13], 3
	v_add_co_u32 v2, vcc_lo, v2, 4
	v_add_co_ci_u32_e64 v3, null, 0, v3, vcc_lo
.LBB35_13:                              ; =>This Inner Loop Header: Depth=1
	global_load_dwordx2 v[5:6], v[2:3], off offset:-4
	v_add_co_u32 v2, vcc_lo, v2, s0
	v_add_co_ci_u32_e64 v3, null, s1, v3, vcc_lo
	s_add_i32 s4, s4, -1
	s_cmp_eq_u32 s4, 0
	s_waitcnt vmcnt(0)
	v_add_f32_e32 v4, v4, v5
	v_add_f32_e32 v1, v1, v6
	s_cbranch_scc0 .LBB35_13
.LBB35_14:
	v_mul_lo_u32 v2, s14, v0
	v_mul_f32_e32 v0, s9, v1
	v_mul_f32_e32 v1, s8, v1
	v_cmp_neq_f32_e64 s0, s2, 0
	v_cmp_neq_f32_e64 s1, s3, 0
	v_fma_f32 v0, v4, s8, -v0
	v_fmac_f32_e32 v1, s9, v4
	v_ashrrev_i32_e32 v3, 31, v2
	s_or_b32 s0, s0, s1
	s_andn2_b32 vcc_lo, exec_lo, s0
	s_mov_b32 s0, 0
	s_cbranch_vccnz .LBB35_16
; %bb.15:
	s_mov_b32 s0, -1
.LBB35_16:
	s_andn2_b32 vcc_lo, exec_lo, s0
	s_cbranch_vccnz .LBB35_18
; %bb.17:
	v_lshlrev_b64 v[4:5], 3, v[2:3]
	v_add_co_u32 v4, vcc_lo, s7, v4
	v_add_co_ci_u32_e64 v5, null, s11, v5, vcc_lo
	flat_load_dwordx2 v[4:5], v[4:5]
	s_waitcnt vmcnt(0) lgkmcnt(0)
	v_mul_f32_e32 v6, s3, v5
	v_mul_f32_e32 v5, s2, v5
	v_fma_f32 v6, v4, s2, -v6
	v_fmac_f32_e32 v5, s3, v4
	v_add_f32_e32 v0, v0, v6
	v_add_f32_e32 v1, v1, v5
.LBB35_18:
	v_lshlrev_b64 v[2:3], 3, v[2:3]
	v_add_co_u32 v2, vcc_lo, s7, v2
	v_add_co_ci_u32_e64 v3, null, s11, v3, vcc_lo
	flat_store_dwordx2 v[2:3], v[0:1]
.LBB35_19:
	s_endpgm
	.section	.rodata,"a",@progbits
	.p2align	6, 0x0
	.amdhsa_kernel _ZL36rocblas_hemvn_kernel_upper_block_sumILi64EiPK19rocblas_complex_numIfEPKPS1_S1_EviT1_lS7_lT2_lT0_lPT3_i
		.amdhsa_group_segment_fixed_size 0
		.amdhsa_private_segment_fixed_size 0
		.amdhsa_kernarg_size 344
		.amdhsa_user_sgpr_count 6
		.amdhsa_user_sgpr_private_segment_buffer 1
		.amdhsa_user_sgpr_dispatch_ptr 0
		.amdhsa_user_sgpr_queue_ptr 0
		.amdhsa_user_sgpr_kernarg_segment_ptr 1
		.amdhsa_user_sgpr_dispatch_id 0
		.amdhsa_user_sgpr_flat_scratch_init 0
		.amdhsa_user_sgpr_private_segment_size 0
		.amdhsa_wavefront_size32 1
		.amdhsa_uses_dynamic_stack 0
		.amdhsa_system_sgpr_private_segment_wavefront_offset 0
		.amdhsa_system_sgpr_workgroup_id_x 1
		.amdhsa_system_sgpr_workgroup_id_y 0
		.amdhsa_system_sgpr_workgroup_id_z 1
		.amdhsa_system_sgpr_workgroup_info 0
		.amdhsa_system_vgpr_workitem_id 0
		.amdhsa_next_free_vgpr 7
		.amdhsa_next_free_sgpr 22
		.amdhsa_reserve_vcc 1
		.amdhsa_reserve_flat_scratch 0
		.amdhsa_float_round_mode_32 0
		.amdhsa_float_round_mode_16_64 0
		.amdhsa_float_denorm_mode_32 3
		.amdhsa_float_denorm_mode_16_64 3
		.amdhsa_dx10_clamp 1
		.amdhsa_ieee_mode 1
		.amdhsa_fp16_overflow 0
		.amdhsa_workgroup_processor_mode 1
		.amdhsa_memory_ordered 1
		.amdhsa_forward_progress 1
		.amdhsa_shared_vgpr_count 0
		.amdhsa_exception_fp_ieee_invalid_op 0
		.amdhsa_exception_fp_denorm_src 0
		.amdhsa_exception_fp_ieee_div_zero 0
		.amdhsa_exception_fp_ieee_overflow 0
		.amdhsa_exception_fp_ieee_underflow 0
		.amdhsa_exception_fp_ieee_inexact 0
		.amdhsa_exception_int_div_zero 0
	.end_amdhsa_kernel
	.section	.text._ZL36rocblas_hemvn_kernel_upper_block_sumILi64EiPK19rocblas_complex_numIfEPKPS1_S1_EviT1_lS7_lT2_lT0_lPT3_i,"axG",@progbits,_ZL36rocblas_hemvn_kernel_upper_block_sumILi64EiPK19rocblas_complex_numIfEPKPS1_S1_EviT1_lS7_lT2_lT0_lPT3_i,comdat
.Lfunc_end35:
	.size	_ZL36rocblas_hemvn_kernel_upper_block_sumILi64EiPK19rocblas_complex_numIfEPKPS1_S1_EviT1_lS7_lT2_lT0_lPT3_i, .Lfunc_end35-_ZL36rocblas_hemvn_kernel_upper_block_sumILi64EiPK19rocblas_complex_numIfEPKPS1_S1_EviT1_lS7_lT2_lT0_lPT3_i
                                        ; -- End function
	.set _ZL36rocblas_hemvn_kernel_upper_block_sumILi64EiPK19rocblas_complex_numIfEPKPS1_S1_EviT1_lS7_lT2_lT0_lPT3_i.num_vgpr, 7
	.set _ZL36rocblas_hemvn_kernel_upper_block_sumILi64EiPK19rocblas_complex_numIfEPKPS1_S1_EviT1_lS7_lT2_lT0_lPT3_i.num_agpr, 0
	.set _ZL36rocblas_hemvn_kernel_upper_block_sumILi64EiPK19rocblas_complex_numIfEPKPS1_S1_EviT1_lS7_lT2_lT0_lPT3_i.numbered_sgpr, 22
	.set _ZL36rocblas_hemvn_kernel_upper_block_sumILi64EiPK19rocblas_complex_numIfEPKPS1_S1_EviT1_lS7_lT2_lT0_lPT3_i.num_named_barrier, 0
	.set _ZL36rocblas_hemvn_kernel_upper_block_sumILi64EiPK19rocblas_complex_numIfEPKPS1_S1_EviT1_lS7_lT2_lT0_lPT3_i.private_seg_size, 0
	.set _ZL36rocblas_hemvn_kernel_upper_block_sumILi64EiPK19rocblas_complex_numIfEPKPS1_S1_EviT1_lS7_lT2_lT0_lPT3_i.uses_vcc, 1
	.set _ZL36rocblas_hemvn_kernel_upper_block_sumILi64EiPK19rocblas_complex_numIfEPKPS1_S1_EviT1_lS7_lT2_lT0_lPT3_i.uses_flat_scratch, 0
	.set _ZL36rocblas_hemvn_kernel_upper_block_sumILi64EiPK19rocblas_complex_numIfEPKPS1_S1_EviT1_lS7_lT2_lT0_lPT3_i.has_dyn_sized_stack, 0
	.set _ZL36rocblas_hemvn_kernel_upper_block_sumILi64EiPK19rocblas_complex_numIfEPKPS1_S1_EviT1_lS7_lT2_lT0_lPT3_i.has_recursion, 0
	.set _ZL36rocblas_hemvn_kernel_upper_block_sumILi64EiPK19rocblas_complex_numIfEPKPS1_S1_EviT1_lS7_lT2_lT0_lPT3_i.has_indirect_call, 0
	.section	.AMDGPU.csdata,"",@progbits
; Kernel info:
; codeLenInByte = 784
; TotalNumSgprs: 24
; NumVgprs: 7
; ScratchSize: 0
; MemoryBound: 0
; FloatMode: 240
; IeeeMode: 1
; LDSByteSize: 0 bytes/workgroup (compile time only)
; SGPRBlocks: 0
; VGPRBlocks: 0
; NumSGPRsForWavesPerEU: 24
; NumVGPRsForWavesPerEU: 7
; Occupancy: 16
; WaveLimiterHint : 1
; COMPUTE_PGM_RSRC2:SCRATCH_EN: 0
; COMPUTE_PGM_RSRC2:USER_SGPR: 6
; COMPUTE_PGM_RSRC2:TRAP_HANDLER: 0
; COMPUTE_PGM_RSRC2:TGID_X_EN: 1
; COMPUTE_PGM_RSRC2:TGID_Y_EN: 0
; COMPUTE_PGM_RSRC2:TGID_Z_EN: 1
; COMPUTE_PGM_RSRC2:TIDIG_COMP_CNT: 0
	.section	.text._ZL26rocblas_hemvn_kernel_upperILb1ELi64ELi4ELi33ELi32ELi16El19rocblas_complex_numIfEPKPKS1_PS1_EviT6_lT7_lT5_lS8_lS9_lS7_lT8_i,"axG",@progbits,_ZL26rocblas_hemvn_kernel_upperILb1ELi64ELi4ELi33ELi32ELi16El19rocblas_complex_numIfEPKPKS1_PS1_EviT6_lT7_lT5_lS8_lS9_lS7_lT8_i,comdat
	.globl	_ZL26rocblas_hemvn_kernel_upperILb1ELi64ELi4ELi33ELi32ELi16El19rocblas_complex_numIfEPKPKS1_PS1_EviT6_lT7_lT5_lS8_lS9_lS7_lT8_i ; -- Begin function _ZL26rocblas_hemvn_kernel_upperILb1ELi64ELi4ELi33ELi32ELi16El19rocblas_complex_numIfEPKPKS1_PS1_EviT6_lT7_lT5_lS8_lS9_lS7_lT8_i
	.p2align	8
	.type	_ZL26rocblas_hemvn_kernel_upperILb1ELi64ELi4ELi33ELi32ELi16El19rocblas_complex_numIfEPKPKS1_PS1_EviT6_lT7_lT5_lS8_lS9_lS7_lT8_i,@function
_ZL26rocblas_hemvn_kernel_upperILb1ELi64ELi4ELi33ELi32ELi16El19rocblas_complex_numIfEPKPKS1_PS1_EviT6_lT7_lT5_lS8_lS9_lS7_lT8_i: ; @_ZL26rocblas_hemvn_kernel_upperILb1ELi64ELi4ELi33ELi32ELi16El19rocblas_complex_numIfEPKPKS1_PS1_EviT6_lT7_lT5_lS8_lS9_lS7_lT8_i
; %bb.0:
	s_load_dwordx2 s[0:1], s[4:5], 0x84
	s_add_u32 s8, s4, 0x78
	s_addc_u32 s9, s5, 0
	s_waitcnt lgkmcnt(0)
	s_lshr_b32 s2, s0, 16
	s_and_b32 s0, s0, 0xffff
	s_and_b32 s1, s1, 0xffff
	s_mul_i32 s0, s2, s0
	s_mul_i32 s0, s0, s1
	s_cmpk_lg_i32 s0, 0x100
	s_cbranch_scc1 .LBB36_201
; %bb.1:
	s_load_dwordx2 s[0:1], s[4:5], 0x4
	s_mov_b32 s18, s7
	s_waitcnt lgkmcnt(0)
	s_or_b32 s0, s0, s1
	s_bitset0_b32 s0, 31
	s_cmp_lg_u32 s0, 0
	s_mov_b32 s0, -1
	s_cbranch_scc1 .LBB36_3
; %bb.2:
	s_load_dwordx2 s[0:1], s[4:5], 0x58
	s_waitcnt lgkmcnt(0)
	v_cmp_eq_f32_e64 s0, s0, 1.0
	v_cmp_eq_f32_e64 s1, s1, 0
	s_and_b32 s0, s0, s1
	s_andn2_b32 vcc_lo, exec_lo, s0
	s_mov_b32 s0, 0
.LBB36_3:
	s_andn2_b32 vcc_lo, exec_lo, s0
	s_cbranch_vccnz .LBB36_201
; %bb.4:
	s_clause 0x1
	s_load_dwordx4 s[0:3], s[4:5], 0x18
	s_load_dwordx4 s[12:15], s[4:5], 0x38
	s_mov_b32 s19, 0
	s_lshl_b64 s[10:11], s[18:19], 3
	s_waitcnt lgkmcnt(0)
	s_add_u32 s0, s0, s10
	s_addc_u32 s1, s1, s11
	s_add_u32 s10, s12, s10
	s_addc_u32 s11, s13, s11
	s_lshl_b64 s[14:15], s[14:15], 3
	s_load_dwordx2 s[12:13], s[10:11], 0x0
	s_clause 0x1
	s_load_dwordx2 s[10:11], s[4:5], 0x48
	s_load_dword s24, s[4:5], 0x0
	s_load_dword s19, s[8:9], 0x0
	s_load_dwordx2 s[16:17], s[4:5], 0x28
	s_load_dwordx2 s[8:9], s[0:1], 0x0
	s_waitcnt lgkmcnt(0)
	s_add_u32 s7, s12, s14
	s_addc_u32 s12, s13, s15
	s_lshl_b32 s14, s6, 6
	s_ashr_i32 s25, s24, 31
	v_add_nc_u32_e32 v58, s14, v0
	s_lshr_b32 s0, s25, 26
	s_add_i32 s1, s19, -1
	s_add_i32 s0, s24, s0
	v_ashrrev_i32_e32 v59, 31, v58
	v_mul_lo_u32 v4, s11, v58
	v_mad_u64_u32 v[2:3], null, s10, v58, 0
	s_andn2_b32 s0, s0, 63
	v_mul_lo_u32 v5, s10, v59
	s_sub_i32 s22, s24, s0
	v_cmp_eq_u32_e64 s0, 0, v1
	s_cmp_eq_u32 s6, s1
	v_add3_u32 v3, v3, v5, v4
	v_lshlrev_b64 v[2:3], 3, v[2:3]
	v_add_co_u32 v16, vcc_lo, s7, v2
	v_add_co_ci_u32_e64 v17, null, s12, v3, vcc_lo
	s_mov_b32 s7, -1
	s_cselect_b32 s12, s22, 0
	s_and_saveexec_b32 s1, s0
	s_cbranch_execz .LBB36_9
; %bb.5:
	v_cmp_le_i32_e32 vcc_lo, s12, v0
	s_cmp_lg_u32 s12, 0
	v_lshl_add_u32 v2, v0, 3, 0x2380
	s_cselect_b32 s13, -1, 0
	s_and_b32 s13, s13, vcc_lo
	s_and_saveexec_b32 s15, s13
	s_xor_b32 s13, exec_lo, s15
; %bb.6:
	v_mov_b32_e32 v3, 0
	v_mov_b32_e32 v4, v3
	ds_write_b64 v2, v[3:4]
                                        ; implicit-def: $vgpr2
; %bb.7:
	s_andn2_saveexec_b32 s13, s13
	s_cbranch_execz .LBB36_9
; %bb.8:
	flat_load_dwordx2 v[3:4], v[16:17]
	s_waitcnt vmcnt(0) lgkmcnt(0)
	ds_write_b64 v2, v[3:4]
.LBB36_9:
	s_or_b32 exec_lo, exec_lo, s1
	v_lshl_add_u32 v24, v1, 6, v0
	v_and_b32_e32 v2, 31, v0
	v_mov_b32_e32 v3, 0
	s_lshl_b64 s[2:3], s[2:3], 3
	s_mul_hi_u32 s13, s16, s14
	v_lshrrev_b32_e32 v9, 5, v24
	s_add_u32 s21, s8, s2
	s_addc_u32 s3, s9, s3
	s_ashr_i32 s15, s14, 31
	s_mul_i32 s20, s17, s14
	v_mad_u64_u32 v[3:4], null, s16, v9, v[2:3]
	s_lshl_b64 s[8:9], s[14:15], 3
	s_mul_i32 s23, s16, s15
	s_add_u32 s8, s21, s8
	s_addc_u32 s9, s3, s9
	s_add_i32 s3, s13, s23
	s_mul_i32 s2, s16, s14
	v_mad_u64_u32 v[4:5], null, s17, v9, v[4:5]
	s_add_i32 s3, s3, s20
	v_cmp_gt_i32_e64 s1, s12, v2
	s_lshl_b64 s[2:3], s[2:3], 3
	s_cmp_eq_u32 s12, 0
	v_lshlrev_b32_e32 v10, 3, v2
	s_cselect_b32 s23, -1, 0
	v_lshlrev_b64 v[14:15], 3, v[3:4]
	s_cmp_lg_u32 s12, 0
	v_lshlrev_b32_e32 v11, 3, v2
	v_mul_u32_u24_e32 v12, 0x108, v9
	s_cselect_b32 s26, -1, 0
	v_add_co_u32 v3, vcc_lo, s8, v14
	v_add_co_ci_u32_e64 v4, null, s9, v15, vcc_lo
	s_and_b32 vcc_lo, exec_lo, s26
	v_add_co_u32 v5, s2, v3, s2
	v_add_co_ci_u32_e64 v6, null, s3, v4, s2
                                        ; implicit-def: $vgpr3_vgpr4
	s_cbranch_vccz .LBB36_27
; %bb.10:
	v_sub_co_u32 v3, vcc_lo, v5, v10
	s_ashr_i32 s13, s12, 31
	v_subrev_co_ci_u32_e64 v4, null, 0, v6, vcc_lo
	s_lshl_b64 s[2:3], s[12:13], 3
	v_add_nc_u32_e32 v7, v11, v12
	v_add_co_u32 v3, vcc_lo, v3, s2
	v_add_co_ci_u32_e64 v4, null, s3, v4, vcc_lo
	s_mov_b32 s7, exec_lo
	v_add_co_u32 v3, vcc_lo, v3, -8
	v_add_co_ci_u32_e64 v4, null, -1, v4, vcc_lo
	v_cndmask_b32_e64 v3, v3, v5, s1
	v_cndmask_b32_e64 v4, v4, v6, s1
	v_cmpx_le_i32_e64 s12, v9
	s_xor_b32 s7, exec_lo, s7
; %bb.11:
	v_mov_b32_e32 v18, 0
	v_mov_b32_e32 v19, v18
	ds_write_b64 v7, v[18:19]
; %bb.12:
	s_andn2_saveexec_b32 s7, s7
	s_cbranch_execz .LBB36_14
; %bb.13:
	flat_load_dwordx2 v[18:19], v[3:4]
	s_waitcnt vmcnt(0) lgkmcnt(0)
	ds_write_b64 v7, v[18:19]
.LBB36_14:
	s_or_b32 exec_lo, exec_lo, s7
	v_add_nc_u32_e32 v8, 8, v9
	s_mov_b32 s7, exec_lo
	v_cmpx_le_i32_e64 s12, v8
	s_xor_b32 s7, exec_lo, s7
; %bb.15:
	v_mov_b32_e32 v18, 0
	v_mov_b32_e32 v19, v18
	ds_write_b64 v7, v[18:19] offset:2112
; %bb.16:
	s_andn2_saveexec_b32 s7, s7
	s_cbranch_execz .LBB36_18
; %bb.17:
	s_lshl_b64 s[8:9], s[16:17], 6
	v_add_co_u32 v18, vcc_lo, v3, s8
	v_add_co_ci_u32_e64 v19, null, s9, v4, vcc_lo
	flat_load_dwordx2 v[18:19], v[18:19]
	s_waitcnt vmcnt(0) lgkmcnt(0)
	ds_write_b64 v7, v[18:19] offset:2112
.LBB36_18:
	s_or_b32 exec_lo, exec_lo, s7
	v_add_nc_u32_e32 v8, 16, v9
	s_mov_b32 s7, exec_lo
	v_cmpx_le_i32_e64 s12, v8
	s_xor_b32 s7, exec_lo, s7
; %bb.19:
	v_mov_b32_e32 v18, 0
	v_mov_b32_e32 v19, v18
	ds_write_b64 v7, v[18:19] offset:4224
; %bb.20:
	s_andn2_saveexec_b32 s7, s7
	s_cbranch_execz .LBB36_22
; %bb.21:
	s_lshl_b64 s[8:9], s[16:17], 7
	v_add_co_u32 v18, vcc_lo, v3, s8
	v_add_co_ci_u32_e64 v19, null, s9, v4, vcc_lo
	flat_load_dwordx2 v[18:19], v[18:19]
	s_waitcnt vmcnt(0) lgkmcnt(0)
	ds_write_b64 v7, v[18:19] offset:4224
.LBB36_22:
	s_or_b32 exec_lo, exec_lo, s7
	v_add_nc_u32_e32 v8, 24, v9
	s_mov_b32 s7, exec_lo
	v_cmpx_le_i32_e64 s12, v8
	s_xor_b32 s7, exec_lo, s7
; %bb.23:
	v_mov_b32_e32 v18, 0
	v_mov_b32_e32 v19, v18
	ds_write_b64 v7, v[18:19] offset:6336
                                        ; implicit-def: $vgpr7
; %bb.24:
	s_andn2_saveexec_b32 s7, s7
	s_cbranch_execz .LBB36_26
; %bb.25:
	v_mad_u64_u32 v[18:19], null, 0xc0, s16, v[3:4]
	v_mov_b32_e32 v8, v19
	v_mad_u64_u32 v[19:20], null, 0xc0, s17, v[8:9]
	flat_load_dwordx2 v[18:19], v[18:19]
	s_waitcnt vmcnt(0) lgkmcnt(0)
	ds_write_b64 v7, v[18:19] offset:6336
.LBB36_26:
	s_or_b32 exec_lo, exec_lo, s7
	v_add_co_u32 v3, vcc_lo, v3, v10
	v_add_co_ci_u32_e64 v4, null, 0, v4, vcc_lo
	s_mov_b32 s7, 0
	v_sub_co_u32 v3, vcc_lo, v3, s2
	v_subrev_co_ci_u32_e64 v4, null, s3, v4, vcc_lo
	v_add_co_u32 v3, vcc_lo, v3, 8
	v_add_co_ci_u32_e64 v4, null, 0, v4, vcc_lo
	v_cndmask_b32_e64 v3, v3, v5, s1
	v_cndmask_b32_e64 v4, v4, v6, s1
.LBB36_27:
	s_and_b32 vcc_lo, exec_lo, s7
	s_cbranch_vccz .LBB36_29
; %bb.28:
	s_lshl_b64 s[2:3], s[16:17], 6
	v_lshl_add_u32 v13, v2, 3, v12
	v_add_co_u32 v3, vcc_lo, v5, s2
	v_add_co_ci_u32_e64 v4, null, s3, v6, vcc_lo
	v_add_co_u32 v7, vcc_lo, v3, s2
	v_add_co_ci_u32_e64 v8, null, s3, v4, vcc_lo
	;; [unrolled: 2-line block ×3, first 2 shown]
	s_clause 0x3
	flat_load_dwordx2 v[20:21], v[5:6]
	flat_load_dwordx2 v[22:23], v[3:4]
	;; [unrolled: 1-line block ×4, first 2 shown]
	v_mov_b32_e32 v3, v5
	v_mov_b32_e32 v4, v6
	s_waitcnt vmcnt(3) lgkmcnt(3)
	ds_write_b64 v13, v[20:21]
	s_waitcnt vmcnt(2) lgkmcnt(3)
	ds_write_b64 v13, v[22:23] offset:2112
	s_waitcnt vmcnt(1) lgkmcnt(3)
	ds_write_b64 v13, v[7:8] offset:4224
	;; [unrolled: 2-line block ×3, first 2 shown]
.LBB36_29:
	v_lshlrev_b32_e32 v18, 2, v9
	v_mul_u32_u24_e32 v13, 0x108, v2
	s_mov_b32 s1, 0
	s_waitcnt lgkmcnt(0)
	s_barrier
	v_cmp_le_u32_e64 s2, v18, v2
	buffer_gl0_inv
                                        ; implicit-def: $vgpr6
	s_and_saveexec_b32 s3, s2
	s_xor_b32 s3, exec_lo, s3
	s_cbranch_execz .LBB36_33
; %bb.30:
	s_mov_b32 s7, exec_lo
                                        ; implicit-def: $vgpr6
	v_cmpx_eq_u32_e64 v18, v2
	s_xor_b32 s7, exec_lo, s7
; %bb.31:
	s_mov_b32 s1, exec_lo
	v_add_nc_u32_e32 v6, v11, v13
; %bb.32:
	s_or_b32 exec_lo, exec_lo, s7
	s_and_b32 s1, s1, exec_lo
.LBB36_33:
	s_or_saveexec_b32 s3, s3
	v_lshl_or_b32 v7, v2, 8, v11
	v_mov_b32_e32 v8, 0
	v_mad_u32_u24 v5, 0x420, v9, v11
	v_lshl_add_u32 v7, v18, 3, v7
	s_xor_b32 exec_lo, exec_lo, s3
	s_cbranch_execz .LBB36_35
; %bb.34:
	ds_read_b64 v[19:20], v5
	v_mov_b32_e32 v6, v7
	s_or_b32 s1, s1, exec_lo
	s_waitcnt lgkmcnt(0)
	v_xor_b32_e32 v8, 0x80000000, v20
	ds_write_b32 v7, v19
.LBB36_35:
	s_or_b32 exec_lo, exec_lo, s3
	s_and_saveexec_b32 s3, s1
; %bb.36:
	ds_write_b32 v6, v8 offset:4
; %bb.37:
	s_or_b32 exec_lo, exec_lo, s3
	v_or_b32_e32 v19, 1, v18
	v_cmp_ge_u32_e64 s3, v18, v2
	s_mov_b32 s1, 0
                                        ; implicit-def: $vgpr20
                                        ; implicit-def: $vgpr8
	v_mad_u32_u24 v6, 0x108, v19, v11
	s_and_saveexec_b32 s7, s3
	s_xor_b32 s7, exec_lo, s7
	s_cbranch_execz .LBB36_73
; %bb.38:
	ds_read_b64 v[21:22], v6
	s_mov_b32 s1, exec_lo
	v_add_nc_u32_e32 v8, 8, v7
	s_waitcnt lgkmcnt(0)
	v_xor_b32_e32 v20, 0x80000000, v22
	ds_write_b32 v7, v21 offset:8
	s_andn2_saveexec_b32 s7, s7
	s_cbranch_execnz .LBB36_74
.LBB36_39:
	s_or_b32 exec_lo, exec_lo, s7
	s_and_saveexec_b32 s7, s1
.LBB36_40:
	ds_write_b32 v8, v20 offset:4
.LBB36_41:
	s_or_b32 exec_lo, exec_lo, s7
	v_or_b32_e32 v21, 2, v18
	s_mov_b32 s1, 0
                                        ; implicit-def: $vgpr8
	v_cmp_le_u32_e64 s7, v21, v2
	s_and_saveexec_b32 s8, s7
	s_xor_b32 s8, exec_lo, s8
	s_cbranch_execz .LBB36_77
; %bb.42:
	s_mov_b32 s9, exec_lo
                                        ; implicit-def: $vgpr8
	v_cmpx_eq_u32_e64 v21, v2
; %bb.43:
	v_add_nc_u32_e32 v8, v11, v13
	s_mov_b32 s1, exec_lo
; %bb.44:
	s_or_b32 exec_lo, exec_lo, s9
	s_and_b32 s1, s1, exec_lo
	s_or_saveexec_b32 s8, s8
	v_mov_b32_e32 v20, 0
	s_xor_b32 exec_lo, exec_lo, s8
	s_cbranch_execnz .LBB36_78
.LBB36_45:
	s_or_b32 exec_lo, exec_lo, s8
	s_and_saveexec_b32 s8, s1
.LBB36_46:
	ds_write_b32 v8, v20 offset:4
.LBB36_47:
	s_or_b32 exec_lo, exec_lo, s8
	v_or_b32_e32 v22, 3, v18
	s_mov_b32 s1, 0
                                        ; implicit-def: $vgpr8
	v_cmp_le_u32_e64 s8, v22, v2
	s_and_saveexec_b32 s9, s8
	s_xor_b32 s9, exec_lo, s9
	s_cbranch_execz .LBB36_79
; %bb.48:
	s_mov_b32 s13, exec_lo
                                        ; implicit-def: $vgpr8
	v_cmpx_eq_u32_e64 v22, v2
; %bb.49:
	v_add_nc_u32_e32 v8, v11, v13
	s_mov_b32 s1, exec_lo
; %bb.50:
	s_or_b32 exec_lo, exec_lo, s13
	s_and_b32 s1, s1, exec_lo
                                        ; implicit-def: $vgpr7
	s_or_saveexec_b32 s9, s9
	v_mov_b32_e32 v20, 0
	s_xor_b32 exec_lo, exec_lo, s9
	s_cbranch_execnz .LBB36_80
.LBB36_51:
	s_or_b32 exec_lo, exec_lo, s9
	s_and_saveexec_b32 s9, s1
.LBB36_52:
	ds_write_b32 v8, v20 offset:4
.LBB36_53:
	s_or_b32 exec_lo, exec_lo, s9
	v_lshlrev_b32_e32 v27, 3, v18
	s_waitcnt lgkmcnt(0)
	s_barrier
	buffer_gl0_inv
	ds_read_b64 v[7:8], v5
	ds_read_b128 v[28:31], v27 offset:9088
	ds_read2_b64 v[32:35], v6 offset1:33
	ds_read_b128 v[36:39], v27 offset:9104
	ds_read_b64 v[5:6], v6 offset:528
	v_mul_u32_u24_e32 v20, 33, v2
	v_mov_b32_e32 v60, 0
	v_cmp_gt_u32_e64 s1, 32, v24
	v_mov_b32_e32 v61, 0
	s_waitcnt lgkmcnt(0)
	s_barrier
	buffer_gl0_inv
	v_mul_f32_e32 v23, v29, v8
	v_mul_f32_e32 v8, v28, v8
	;; [unrolled: 1-line block ×5, first 2 shown]
	v_fma_f32 v23, v28, v7, -v23
	v_fmac_f32_e32 v8, v29, v7
	v_mul_f32_e32 v35, v36, v35
	v_fma_f32 v25, v30, v32, -v25
	v_fmac_f32_e32 v26, v31, v32
	v_add_f32_e32 v23, 0, v23
	v_add_f32_e32 v8, 0, v8
	v_mul_f32_e32 v7, v39, v6
	v_mul_f32_e32 v6, v38, v6
	v_fma_f32 v28, v36, v34, -v33
	v_fmac_f32_e32 v35, v37, v34
	v_add_f32_e32 v23, v23, v25
	v_add_f32_e32 v8, v8, v26
	v_lshlrev_b32_e32 v25, 3, v20
	v_fma_f32 v7, v38, v5, -v7
	v_fmac_f32_e32 v6, v39, v5
	v_add_f32_e32 v5, v23, v28
	v_add_f32_e32 v8, v8, v35
	v_lshl_add_u32 v26, v9, 3, v25
	v_add_f32_e32 v5, v5, v7
	v_add_f32_e32 v6, v8, v6
	ds_write_b64 v26, v[5:6]
	s_waitcnt lgkmcnt(0)
	s_barrier
	buffer_gl0_inv
	s_and_saveexec_b32 s9, s1
	s_cbranch_execz .LBB36_55
; %bb.54:
	ds_read2_b64 v[5:8], v25 offset1:7
	ds_read2_b64 v[28:31], v25 offset0:1 offset1:2
	ds_read2_b64 v[32:35], v25 offset0:3 offset1:4
	;; [unrolled: 1-line block ×3, first 2 shown]
	s_waitcnt lgkmcnt(2)
	v_add_f32_e32 v5, v28, v5
	v_add_f32_e32 v6, v29, v6
	v_add_f32_e32 v5, v30, v5
	v_add_f32_e32 v6, v31, v6
	s_waitcnt lgkmcnt(1)
	v_add_f32_e32 v5, v5, v32
	v_add_f32_e32 v6, v6, v33
	v_add_f32_e32 v5, v5, v34
	v_add_f32_e32 v6, v6, v35
	s_waitcnt lgkmcnt(0)
	v_add_f32_e32 v5, v5, v36
	v_add_f32_e32 v6, v6, v37
	v_add_f32_e32 v5, v5, v38
	v_add_f32_e32 v6, v6, v39
	v_add_f32_e32 v60, v5, v7
	v_add_f32_e32 v61, v6, v8
.LBB36_55:
	s_or_b32 exec_lo, exec_lo, s9
	s_lshl_b64 s[20:21], s[16:17], 8
	v_add_co_u32 v7, vcc_lo, v3, s20
	v_add_co_ci_u32_e64 v8, null, s21, v4, vcc_lo
	s_barrier
	v_add_co_u32 v5, vcc_lo, 0x100, v7
	v_add_co_ci_u32_e64 v6, null, 0, v8, vcc_lo
	s_and_b32 vcc_lo, exec_lo, s26
	buffer_gl0_inv
	s_cbranch_vccz .LBB36_81
; %bb.56:
	v_sub_co_u32 v3, vcc_lo, v7, v10
	s_ashr_i32 s13, s12, 31
	v_subrev_co_ci_u32_e64 v4, null, 0, v8, vcc_lo
	s_lshl_b64 s[20:21], s[12:13], 3
	v_or_b32_e32 v20, 32, v2
	v_add_co_u32 v3, vcc_lo, v3, s20
	v_add_co_ci_u32_e64 v4, null, s21, v4, vcc_lo
	s_sub_i32 s13, s12, 32
	v_add_co_u32 v3, vcc_lo, v3, -8
	v_add_co_ci_u32_e64 v4, null, -1, v4, vcc_lo
	v_cmp_gt_i32_e32 vcc_lo, s12, v20
	v_cmp_le_i32_e64 s9, s13, v9
	v_add_nc_u32_e32 v20, v11, v12
	v_cndmask_b32_e32 v4, v4, v6, vcc_lo
	v_cndmask_b32_e32 v3, v3, v5, vcc_lo
	s_and_saveexec_b32 s27, s9
	s_xor_b32 s9, exec_lo, s27
; %bb.57:
	v_mov_b32_e32 v28, 0
	v_mov_b32_e32 v29, v28
	ds_write_b64 v20, v[28:29]
; %bb.58:
	s_andn2_saveexec_b32 s9, s9
	s_cbranch_execz .LBB36_60
; %bb.59:
	flat_load_dwordx2 v[28:29], v[3:4]
	s_waitcnt vmcnt(0) lgkmcnt(0)
	ds_write_b64 v20, v[28:29]
.LBB36_60:
	s_or_b32 exec_lo, exec_lo, s9
	v_add_nc_u32_e32 v23, 8, v9
	v_cmp_le_i32_e64 s9, s13, v23
	s_and_saveexec_b32 s27, s9
	s_xor_b32 s9, exec_lo, s27
; %bb.61:
	v_mov_b32_e32 v28, 0
	v_mov_b32_e32 v29, v28
	ds_write_b64 v20, v[28:29] offset:2112
; %bb.62:
	s_andn2_saveexec_b32 s27, s9
	s_cbranch_execz .LBB36_64
; %bb.63:
	s_lshl_b64 s[28:29], s[16:17], 6
	v_add_co_u32 v28, s9, v3, s28
	v_add_co_ci_u32_e64 v29, null, s29, v4, s9
	flat_load_dwordx2 v[28:29], v[28:29]
	s_waitcnt vmcnt(0) lgkmcnt(0)
	ds_write_b64 v20, v[28:29] offset:2112
.LBB36_64:
	s_or_b32 exec_lo, exec_lo, s27
	v_add_nc_u32_e32 v23, 16, v9
	v_cmp_le_i32_e64 s9, s13, v23
	s_and_saveexec_b32 s27, s9
	s_xor_b32 s9, exec_lo, s27
; %bb.65:
	v_mov_b32_e32 v28, 0
	v_mov_b32_e32 v29, v28
	ds_write_b64 v20, v[28:29] offset:4224
; %bb.66:
	s_andn2_saveexec_b32 s27, s9
	s_cbranch_execz .LBB36_68
; %bb.67:
	s_lshl_b64 s[28:29], s[16:17], 7
	v_add_co_u32 v28, s9, v3, s28
	v_add_co_ci_u32_e64 v29, null, s29, v4, s9
	flat_load_dwordx2 v[28:29], v[28:29]
	s_waitcnt vmcnt(0) lgkmcnt(0)
	ds_write_b64 v20, v[28:29] offset:4224
.LBB36_68:
	s_or_b32 exec_lo, exec_lo, s27
	v_add_nc_u32_e32 v23, 24, v9
	v_cmp_le_i32_e64 s9, s13, v23
	s_and_saveexec_b32 s13, s9
	s_xor_b32 s9, exec_lo, s13
; %bb.69:
	v_mov_b32_e32 v28, 0
	v_mov_b32_e32 v29, v28
	ds_write_b64 v20, v[28:29] offset:6336
                                        ; implicit-def: $vgpr20
; %bb.70:
	s_andn2_saveexec_b32 s9, s9
	s_cbranch_execz .LBB36_72
; %bb.71:
	v_mad_u64_u32 v[28:29], null, 0xc0, s16, v[3:4]
	v_mov_b32_e32 v23, v29
	v_mad_u64_u32 v[29:30], null, 0xc0, s17, v[23:24]
	flat_load_dwordx2 v[28:29], v[28:29]
	s_waitcnt vmcnt(0) lgkmcnt(0)
	ds_write_b64 v20, v[28:29] offset:6336
.LBB36_72:
	s_or_b32 exec_lo, exec_lo, s9
	v_add_co_u32 v3, s9, v3, v10
	v_add_co_ci_u32_e64 v4, null, 0, v4, s9
	v_sub_co_u32 v3, s9, v3, s20
	v_subrev_co_ci_u32_e64 v4, null, s21, v4, s9
	v_add_co_u32 v3, s9, 0x108, v3
	v_add_co_ci_u32_e64 v4, null, 0, v4, s9
	v_cndmask_b32_e32 v3, v3, v5, vcc_lo
	v_cndmask_b32_e32 v4, v4, v6, vcc_lo
	v_mad_u32_u24 v20, 0x108, v9, v11
	s_branch .LBB36_83
.LBB36_73:
	s_andn2_saveexec_b32 s7, s7
	s_cbranch_execz .LBB36_39
.LBB36_74:
	s_mov_b32 s8, s1
	s_mov_b32 s9, exec_lo
                                        ; implicit-def: $vgpr8
	v_cmpx_eq_u32_e64 v19, v2
; %bb.75:
	v_add_nc_u32_e32 v8, v11, v13
	s_or_b32 s8, s1, exec_lo
; %bb.76:
	s_or_b32 exec_lo, exec_lo, s9
	v_mov_b32_e32 v20, 0
	s_andn2_b32 s1, s1, exec_lo
	s_and_b32 s8, s8, exec_lo
	s_or_b32 s1, s1, s8
	s_or_b32 exec_lo, exec_lo, s7
	s_and_saveexec_b32 s7, s1
	s_cbranch_execnz .LBB36_40
	s_branch .LBB36_41
.LBB36_77:
	s_or_saveexec_b32 s8, s8
	v_mov_b32_e32 v20, 0
	s_xor_b32 exec_lo, exec_lo, s8
	s_cbranch_execz .LBB36_45
.LBB36_78:
	v_mad_u32_u24 v8, 0x108, v21, v11
	s_or_b32 s1, s1, exec_lo
	ds_read_b64 v[22:23], v8
	v_add_nc_u32_e32 v8, 16, v7
	s_waitcnt lgkmcnt(0)
	v_xor_b32_e32 v20, 0x80000000, v23
	ds_write_b32 v7, v22 offset:16
	s_or_b32 exec_lo, exec_lo, s8
	s_and_saveexec_b32 s8, s1
	s_cbranch_execnz .LBB36_46
	s_branch .LBB36_47
.LBB36_79:
	s_or_saveexec_b32 s9, s9
	v_mov_b32_e32 v20, 0
	s_xor_b32 exec_lo, exec_lo, s9
	s_cbranch_execz .LBB36_51
.LBB36_80:
	v_mad_u32_u24 v8, 0x108, v22, v11
	s_or_b32 s1, s1, exec_lo
	ds_read_b64 v[25:26], v8
	v_add_nc_u32_e32 v8, 24, v7
	s_waitcnt lgkmcnt(0)
	v_xor_b32_e32 v20, 0x80000000, v26
	ds_write_b32 v7, v25 offset:24
	s_or_b32 exec_lo, exec_lo, s9
	s_and_saveexec_b32 s9, s1
	s_cbranch_execnz .LBB36_52
	s_branch .LBB36_53
.LBB36_81:
                                        ; implicit-def: $vgpr3_vgpr4
	v_mad_u32_u24 v20, 0x108, v9, v11
	s_cbranch_execz .LBB36_83
; %bb.82:
	s_lshl_b64 s[20:21], s[16:17], 6
	v_add_co_u32 v3, vcc_lo, v7, s20
	v_add_co_ci_u32_e64 v4, null, s21, v8, vcc_lo
	v_add_co_u32 v28, vcc_lo, v3, s20
	v_add_co_ci_u32_e64 v29, null, s21, v4, vcc_lo
	;; [unrolled: 2-line block ×3, first 2 shown]
	s_clause 0x3
	flat_load_dwordx2 v[7:8], v[7:8] offset:256
	flat_load_dwordx2 v[32:33], v[3:4] offset:256
	;; [unrolled: 1-line block ×4, first 2 shown]
	v_mov_b32_e32 v3, v5
	v_mov_b32_e32 v4, v6
	s_waitcnt vmcnt(3) lgkmcnt(3)
	ds_write_b64 v20, v[7:8]
	s_waitcnt vmcnt(2) lgkmcnt(3)
	ds_write_b64 v20, v[32:33] offset:2112
	s_waitcnt vmcnt(1) lgkmcnt(3)
	ds_write_b64 v20, v[28:29] offset:4224
	;; [unrolled: 2-line block ×3, first 2 shown]
.LBB36_83:
	v_mul_u32_u24_e32 v5, 0x420, v9
	s_mov_b32 s9, 0
	s_waitcnt lgkmcnt(0)
	s_barrier
	buffer_gl0_inv
                                        ; implicit-def: $vgpr6
	s_and_saveexec_b32 s13, s2
	s_xor_b32 s2, exec_lo, s13
	s_cbranch_execz .LBB36_87
; %bb.84:
	s_mov_b32 s13, exec_lo
                                        ; implicit-def: $vgpr6
	v_cmpx_eq_u32_e64 v18, v2
	s_xor_b32 s13, exec_lo, s13
; %bb.85:
	v_add_nc_u32_e32 v6, v11, v13
	s_mov_b32 s9, exec_lo
; %bb.86:
	s_or_b32 exec_lo, exec_lo, s13
	s_and_b32 s9, s9, exec_lo
.LBB36_87:
	s_or_saveexec_b32 s2, s2
	v_mov_b32_e32 v7, 0
	v_add_nc_u32_e32 v23, v11, v5
	v_lshl_add_u32 v5, v18, 3, v25
	s_xor_b32 exec_lo, exec_lo, s2
	s_cbranch_execz .LBB36_89
; %bb.88:
	ds_read_b64 v[28:29], v23
	v_mov_b32_e32 v6, v5
	s_or_b32 s9, s9, exec_lo
	s_waitcnt lgkmcnt(0)
	v_xor_b32_e32 v7, 0x80000000, v29
	ds_write_b32 v5, v28
.LBB36_89:
	s_or_b32 exec_lo, exec_lo, s2
	v_mul_u32_u24_e32 v8, 0x108, v19
	s_and_saveexec_b32 s2, s9
; %bb.90:
	ds_write_b32 v6, v7 offset:4
; %bb.91:
	s_or_b32 exec_lo, exec_lo, s2
	v_add_nc_u32_e32 v28, v11, v8
	s_mov_b32 s2, 0
                                        ; implicit-def: $vgpr7
                                        ; implicit-def: $vgpr6
	s_and_saveexec_b32 s9, s3
	s_xor_b32 s3, exec_lo, s9
	s_cbranch_execz .LBB36_127
; %bb.92:
	ds_read_b64 v[18:19], v28
	s_mov_b32 s2, exec_lo
	v_add_nc_u32_e32 v6, 8, v5
	s_waitcnt lgkmcnt(0)
	v_xor_b32_e32 v7, 0x80000000, v19
	ds_write_b32 v5, v18 offset:8
                                        ; implicit-def: $vgpr19
	s_andn2_saveexec_b32 s3, s3
	s_cbranch_execnz .LBB36_128
.LBB36_93:
	s_or_b32 exec_lo, exec_lo, s3
	s_and_saveexec_b32 s3, s2
.LBB36_94:
	ds_write_b32 v6, v7 offset:4
.LBB36_95:
	s_or_b32 exec_lo, exec_lo, s3
	s_mov_b32 s2, 0
                                        ; implicit-def: $vgpr6
	s_and_saveexec_b32 s3, s7
	s_xor_b32 s3, exec_lo, s3
	s_cbranch_execz .LBB36_131
; %bb.96:
	s_mov_b32 s7, exec_lo
                                        ; implicit-def: $vgpr6
	v_cmpx_eq_u32_e64 v21, v2
; %bb.97:
	v_add_nc_u32_e32 v6, v11, v13
	s_mov_b32 s2, exec_lo
; %bb.98:
	s_or_b32 exec_lo, exec_lo, s7
	s_and_b32 s2, s2, exec_lo
	s_or_saveexec_b32 s3, s3
	v_mov_b32_e32 v7, 0
	s_xor_b32 exec_lo, exec_lo, s3
	s_cbranch_execnz .LBB36_132
.LBB36_99:
	s_or_b32 exec_lo, exec_lo, s3
	s_and_saveexec_b32 s3, s2
.LBB36_100:
	ds_write_b32 v6, v7 offset:4
.LBB36_101:
	s_or_b32 exec_lo, exec_lo, s3
	s_mov_b32 s2, 0
                                        ; implicit-def: $vgpr6
	s_and_saveexec_b32 s3, s8
	s_xor_b32 s3, exec_lo, s3
	s_cbranch_execz .LBB36_133
; %bb.102:
	s_mov_b32 s7, exec_lo
                                        ; implicit-def: $vgpr6
	v_cmpx_eq_u32_e64 v22, v2
; %bb.103:
	v_add_nc_u32_e32 v6, v11, v13
	s_mov_b32 s2, exec_lo
; %bb.104:
	s_or_b32 exec_lo, exec_lo, s7
	s_and_b32 s2, s2, exec_lo
                                        ; implicit-def: $vgpr5
	s_or_saveexec_b32 s3, s3
	v_mov_b32_e32 v8, 0
	s_xor_b32 exec_lo, exec_lo, s3
	s_cbranch_execnz .LBB36_134
.LBB36_105:
	s_or_b32 exec_lo, exec_lo, s3
	v_add_nc_u32_e32 v7, 0x2380, v27
	s_and_saveexec_b32 s3, s2
.LBB36_106:
	ds_write_b32 v6, v8 offset:4
.LBB36_107:
	s_or_b32 exec_lo, exec_lo, s3
	s_waitcnt lgkmcnt(0)
	s_barrier
	buffer_gl0_inv
	ds_read_b64 v[5:6], v23
	ds_read_b128 v[29:32], v7 offset:256
	ds_read2_b64 v[33:36], v28 offset1:33
	ds_read_b128 v[37:40], v7 offset:272
	ds_read_b64 v[18:19], v28 offset:528
	v_cmp_eq_u32_e64 s2, 1, v9
	s_waitcnt lgkmcnt(0)
	s_barrier
	buffer_gl0_inv
	v_mul_f32_e32 v8, v30, v6
	v_mul_f32_e32 v6, v29, v6
	;; [unrolled: 1-line block ×5, first 2 shown]
	v_fma_f32 v8, v29, v5, -v8
	v_fmac_f32_e32 v6, v30, v5
	v_mul_f32_e32 v27, v37, v36
	v_fma_f32 v13, v31, v33, -v13
	v_fmac_f32_e32 v21, v32, v33
	v_add_f32_e32 v8, 0, v8
	v_add_f32_e32 v6, 0, v6
	v_mul_f32_e32 v5, v40, v19
	v_mul_f32_e32 v19, v39, v19
	v_fma_f32 v22, v37, v35, -v22
	v_fmac_f32_e32 v27, v38, v35
	v_add_f32_e32 v8, v8, v13
	v_add_f32_e32 v6, v6, v21
	v_fma_f32 v5, v39, v18, -v5
	v_fmac_f32_e32 v19, v40, v18
	v_add_f32_e32 v8, v8, v22
	v_add_f32_e32 v6, v6, v27
	;; [unrolled: 1-line block ×4, first 2 shown]
	ds_write_b64 v26, v[5:6]
	s_waitcnt lgkmcnt(0)
	s_barrier
	buffer_gl0_inv
	s_and_saveexec_b32 s3, s2
	s_cbranch_execz .LBB36_109
; %bb.108:
	ds_read2_b64 v[29:32], v25 offset1:7
	ds_read2_b64 v[33:36], v25 offset0:1 offset1:2
	ds_read2_b64 v[37:40], v25 offset0:3 offset1:4
	ds_read2_b64 v[41:44], v25 offset0:5 offset1:6
	s_waitcnt lgkmcnt(2)
	v_add_f32_e32 v5, v33, v29
	v_add_f32_e32 v6, v34, v30
	v_add_f32_e32 v5, v35, v5
	v_add_f32_e32 v6, v36, v6
	s_waitcnt lgkmcnt(1)
	v_add_f32_e32 v5, v5, v37
	v_add_f32_e32 v6, v6, v38
	v_add_f32_e32 v5, v5, v39
	v_add_f32_e32 v6, v6, v40
	;; [unrolled: 5-line block ×3, first 2 shown]
	v_add_f32_e32 v60, v5, v31
	v_add_f32_e32 v61, v6, v32
.LBB36_109:
	s_or_b32 exec_lo, exec_lo, s3
	v_add_co_u32 v3, vcc_lo, 0xffffff00, v3
	v_add_co_ci_u32_e64 v4, null, -1, v4, vcc_lo
	s_and_b32 vcc_lo, exec_lo, s26
	s_barrier
	buffer_gl0_inv
	s_cbranch_vccz .LBB36_135
; %bb.110:
	v_sub_co_u32 v5, vcc_lo, v3, v10
	s_ashr_i32 s13, s12, 31
	v_subrev_co_ci_u32_e64 v6, null, 0, v4, vcc_lo
	s_lshl_b64 s[8:9], s[12:13], 3
	s_sub_i32 s7, s12, 32
	v_add_co_u32 v5, vcc_lo, v5, s8
	v_add_co_ci_u32_e64 v6, null, s9, v6, vcc_lo
	v_cmp_le_i32_e64 s3, s7, v9
	v_add_co_u32 v5, vcc_lo, v5, -8
	v_add_co_ci_u32_e64 v6, null, -1, v6, vcc_lo
	v_cmp_gt_i32_e32 vcc_lo, s12, v2
	v_add_nc_u32_e32 v12, v11, v12
	v_cndmask_b32_e32 v6, v6, v4, vcc_lo
	v_cndmask_b32_e32 v5, v5, v3, vcc_lo
	s_and_saveexec_b32 s13, s3
	s_xor_b32 s3, exec_lo, s13
; %bb.111:
	v_mov_b32_e32 v18, 0
	v_mov_b32_e32 v19, v18
	ds_write_b64 v12, v[18:19]
; %bb.112:
	s_andn2_saveexec_b32 s3, s3
	s_cbranch_execz .LBB36_114
; %bb.113:
	flat_load_dwordx2 v[18:19], v[5:6]
	s_waitcnt vmcnt(0) lgkmcnt(0)
	ds_write_b64 v12, v[18:19]
.LBB36_114:
	s_or_b32 exec_lo, exec_lo, s3
	v_add_nc_u32_e32 v2, 8, v9
	v_cmp_le_i32_e64 s3, s7, v2
	s_and_saveexec_b32 s13, s3
	s_xor_b32 s3, exec_lo, s13
; %bb.115:
	v_mov_b32_e32 v18, 0
	v_mov_b32_e32 v19, v18
	ds_write_b64 v12, v[18:19] offset:2112
; %bb.116:
	s_andn2_saveexec_b32 s13, s3
	s_cbranch_execz .LBB36_118
; %bb.117:
	s_lshl_b64 s[20:21], s[16:17], 6
	v_add_co_u32 v18, s3, v5, s20
	v_add_co_ci_u32_e64 v19, null, s21, v6, s3
	flat_load_dwordx2 v[18:19], v[18:19]
	s_waitcnt vmcnt(0) lgkmcnt(0)
	ds_write_b64 v12, v[18:19] offset:2112
.LBB36_118:
	s_or_b32 exec_lo, exec_lo, s13
	v_add_nc_u32_e32 v8, 16, v9
	v_cmp_le_i32_e64 s3, s7, v8
	s_and_saveexec_b32 s13, s3
	s_xor_b32 s3, exec_lo, s13
; %bb.119:
	v_mov_b32_e32 v18, 0
	v_mov_b32_e32 v19, v18
	ds_write_b64 v12, v[18:19] offset:4224
; %bb.120:
	s_andn2_saveexec_b32 s13, s3
	s_cbranch_execz .LBB36_122
; %bb.121:
	s_lshl_b64 s[20:21], s[16:17], 7
	v_add_co_u32 v18, s3, v5, s20
	v_add_co_ci_u32_e64 v19, null, s21, v6, s3
	flat_load_dwordx2 v[18:19], v[18:19]
	s_waitcnt vmcnt(0) lgkmcnt(0)
	ds_write_b64 v12, v[18:19] offset:4224
.LBB36_122:
	s_or_b32 exec_lo, exec_lo, s13
	v_add_nc_u32_e32 v11, 24, v9
	v_cmp_le_i32_e64 s3, s7, v11
	s_and_saveexec_b32 s7, s3
	s_xor_b32 s3, exec_lo, s7
; %bb.123:
	v_mov_b32_e32 v18, 0
	v_mov_b32_e32 v19, v18
	ds_write_b64 v12, v[18:19] offset:6336
                                        ; implicit-def: $vgpr12
; %bb.124:
	s_andn2_saveexec_b32 s3, s3
	s_cbranch_execz .LBB36_126
; %bb.125:
	v_mad_u64_u32 v[18:19], null, 0xc0, s16, v[5:6]
	v_mov_b32_e32 v13, v19
	v_mad_u64_u32 v[21:22], null, 0xc0, s17, v[13:14]
	v_mov_b32_e32 v19, v21
	flat_load_dwordx2 v[18:19], v[18:19]
	s_waitcnt vmcnt(0) lgkmcnt(0)
	ds_write_b64 v12, v[18:19] offset:6336
.LBB36_126:
	s_or_b32 exec_lo, exec_lo, s3
	v_add_co_u32 v5, s3, v5, v10
	v_add_co_ci_u32_e64 v6, null, 0, v6, s3
	v_sub_co_u32 v5, s3, v5, s8
	v_subrev_co_ci_u32_e64 v6, null, s9, v6, s3
	v_add_co_u32 v5, s3, v5, 8
	v_add_co_ci_u32_e64 v6, null, 0, v6, s3
	v_cndmask_b32_e32 v18, v5, v3, vcc_lo
	v_cndmask_b32_e32 v19, v6, v4, vcc_lo
	s_branch .LBB36_137
.LBB36_127:
	s_andn2_saveexec_b32 s3, s3
	s_cbranch_execz .LBB36_93
.LBB36_128:
	s_mov_b32 s9, s2
	s_mov_b32 s13, exec_lo
                                        ; implicit-def: $vgpr6
	v_cmpx_eq_u32_e64 v19, v2
; %bb.129:
	v_add_nc_u32_e32 v6, v11, v13
	s_or_b32 s9, s2, exec_lo
; %bb.130:
	s_or_b32 exec_lo, exec_lo, s13
	v_mov_b32_e32 v7, 0
	s_andn2_b32 s2, s2, exec_lo
	s_and_b32 s9, s9, exec_lo
	s_or_b32 s2, s2, s9
	s_or_b32 exec_lo, exec_lo, s3
	s_and_saveexec_b32 s3, s2
	s_cbranch_execnz .LBB36_94
	s_branch .LBB36_95
.LBB36_131:
	s_or_saveexec_b32 s3, s3
	v_mov_b32_e32 v7, 0
	s_xor_b32 exec_lo, exec_lo, s3
	s_cbranch_execz .LBB36_99
.LBB36_132:
	ds_read_b64 v[18:19], v28 offset:264
	v_add_nc_u32_e32 v6, 16, v5
	s_or_b32 s2, s2, exec_lo
	s_waitcnt lgkmcnt(0)
	v_xor_b32_e32 v7, 0x80000000, v19
	ds_write_b32 v5, v18 offset:16
	s_or_b32 exec_lo, exec_lo, s3
	s_and_saveexec_b32 s3, s2
	s_cbranch_execnz .LBB36_100
	s_branch .LBB36_101
.LBB36_133:
	s_or_saveexec_b32 s3, s3
	v_mov_b32_e32 v8, 0
	s_xor_b32 exec_lo, exec_lo, s3
	s_cbranch_execz .LBB36_105
.LBB36_134:
	ds_read_b64 v[7:8], v28 offset:528
	v_add_nc_u32_e32 v6, 24, v5
	s_or_b32 s2, s2, exec_lo
	s_waitcnt lgkmcnt(0)
	v_xor_b32_e32 v8, 0x80000000, v8
	ds_write_b32 v5, v7 offset:24
	s_or_b32 exec_lo, exec_lo, s3
	v_add_nc_u32_e32 v7, 0x2380, v27
	s_and_saveexec_b32 s3, s2
	s_cbranch_execnz .LBB36_106
	s_branch .LBB36_107
.LBB36_135:
                                        ; implicit-def: $vgpr18_vgpr19
                                        ; implicit-def: $vgpr2
                                        ; implicit-def: $vgpr8
                                        ; implicit-def: $vgpr11
	s_cbranch_execz .LBB36_137
; %bb.136:
	s_lshl_b64 s[8:9], s[16:17], 6
	v_mov_b32_e32 v19, v4
	v_add_co_u32 v5, vcc_lo, v3, s8
	v_add_co_ci_u32_e64 v6, null, s9, v4, vcc_lo
	v_add_nc_u32_e32 v2, 8, v9
	v_add_co_u32 v10, vcc_lo, v5, s8
	v_add_co_ci_u32_e64 v11, null, s9, v6, vcc_lo
	v_add_nc_u32_e32 v8, 16, v9
	v_add_co_u32 v12, vcc_lo, v10, s8
	v_add_co_ci_u32_e64 v13, null, s9, v11, vcc_lo
	s_clause 0x3
	flat_load_dwordx2 v[21:22], v[3:4]
	flat_load_dwordx2 v[5:6], v[5:6]
	;; [unrolled: 1-line block ×4, first 2 shown]
	v_add_nc_u32_e32 v11, 24, v9
	v_mov_b32_e32 v18, v3
	s_waitcnt vmcnt(3) lgkmcnt(3)
	ds_write_b64 v20, v[21:22]
	s_waitcnt vmcnt(2) lgkmcnt(3)
	ds_write_b64 v20, v[5:6] offset:2112
	s_waitcnt vmcnt(1) lgkmcnt(3)
	ds_write_b64 v20, v[29:30] offset:4224
	;; [unrolled: 2-line block ×3, first 2 shown]
.LBB36_137:
	v_lshlrev_b32_e32 v3, 3, v9
	v_lshlrev_b32_e32 v2, 3, v2
	s_waitcnt lgkmcnt(0)
	s_barrier
	buffer_gl0_inv
	v_add_nc_u32_e32 v5, v25, v3
	v_add_nc_u32_e32 v6, v25, v2
	v_lshlrev_b32_e32 v4, 3, v8
	v_lshlrev_b32_e32 v8, 3, v11
	ds_read_b64 v[29:30], v5
	ds_read_b64 v[31:32], v6
	ds_read_b64 v[33:34], v2 offset:9088
	ds_read_b64 v[35:36], v3 offset:9088
	v_add_nc_u32_e32 v9, v25, v4
	v_add_nc_u32_e32 v2, v25, v8
	ds_read_b64 v[37:38], v9
	ds_read_b64 v[39:40], v8 offset:9088
	ds_read_b64 v[41:42], v4 offset:9088
	ds_read_b64 v[43:44], v2
	ds_read_b128 v[10:13], v7 offset:256
	ds_read_b128 v[2:5], v7 offset:272
	ds_read2_b64 v[6:9], v28 offset1:33
	ds_read_b64 v[22:23], v23
	ds_read_b64 v[20:21], v28 offset:528
	s_waitcnt lgkmcnt(0)
	s_barrier
	buffer_gl0_inv
	v_mul_f32_e32 v27, v30, v36
	v_mul_f32_e32 v28, v30, v35
	;; [unrolled: 1-line block ×5, first 2 shown]
	v_fmac_f32_e32 v27, v29, v35
	v_fma_f32 v28, v29, v36, -v28
	v_mul_f32_e32 v38, v38, v41
	v_fmac_f32_e32 v30, v31, v33
	v_fma_f32 v31, v31, v34, -v32
	v_add_f32_e32 v27, 0, v27
	v_add_f32_e32 v28, 0, v28
	v_mul_f32_e32 v29, v44, v40
	v_mul_f32_e32 v32, v44, v39
	v_fmac_f32_e32 v45, v37, v41
	v_fma_f32 v33, v37, v42, -v38
	v_add_f32_e32 v27, v27, v30
	v_add_f32_e32 v28, v28, v31
	v_fmac_f32_e32 v29, v43, v39
	v_fma_f32 v30, v43, v40, -v32
	v_add_f32_e32 v27, v27, v45
	v_add_f32_e32 v28, v28, v33
	;; [unrolled: 1-line block ×4, first 2 shown]
	ds_write_b64 v26, v[27:28]
	s_waitcnt lgkmcnt(0)
	s_barrier
	buffer_gl0_inv
	s_and_saveexec_b32 s3, s2
	s_cbranch_execz .LBB36_139
; %bb.138:
	ds_read2_b64 v[27:30], v25 offset1:1
	ds_read2_b64 v[31:34], v25 offset0:2 offset1:3
	ds_read2_b64 v[35:38], v25 offset0:4 offset1:5
	s_waitcnt lgkmcnt(2)
	v_add_f32_e32 v27, v60, v27
	v_add_f32_e32 v28, v61, v28
	;; [unrolled: 1-line block ×4, first 2 shown]
	ds_read2_b64 v[27:30], v25 offset0:6 offset1:7
	s_waitcnt lgkmcnt(2)
	v_add_f32_e32 v31, v39, v31
	v_add_f32_e32 v32, v40, v32
	v_add_f32_e32 v31, v31, v33
	v_add_f32_e32 v32, v32, v34
	s_waitcnt lgkmcnt(1)
	v_add_f32_e32 v31, v31, v35
	v_add_f32_e32 v32, v32, v36
	v_add_f32_e32 v31, v31, v37
	v_add_f32_e32 v32, v32, v38
	;; [unrolled: 5-line block ×3, first 2 shown]
.LBB36_139:
	s_or_b32 exec_lo, exec_lo, s3
	v_mul_f32_e32 v27, v11, v23
	v_mul_f32_e32 v23, v10, v23
	;; [unrolled: 1-line block ×5, first 2 shown]
	v_fma_f32 v10, v10, v22, -v27
	v_fmac_f32_e32 v23, v11, v22
	v_mul_f32_e32 v9, v2, v9
	v_fma_f32 v12, v12, v6, -v28
	v_fmac_f32_e32 v7, v13, v6
	v_add_f32_e32 v10, 0, v10
	v_add_f32_e32 v6, 0, v23
	v_mul_f32_e32 v11, v5, v21
	v_mul_f32_e32 v13, v4, v21
	v_fma_f32 v2, v2, v8, -v29
	v_add_f32_e32 v10, v10, v12
	v_fmac_f32_e32 v9, v3, v8
	v_add_f32_e32 v3, v6, v7
	v_fma_f32 v4, v4, v20, -v11
	v_fmac_f32_e32 v13, v5, v20
	v_add_f32_e32 v2, v10, v2
	v_add_f32_e32 v3, v3, v9
	s_barrier
	buffer_gl0_inv
	v_add_f32_e32 v2, v2, v4
	v_add_f32_e32 v3, v3, v13
	ds_write_b64 v26, v[2:3]
	s_waitcnt lgkmcnt(0)
	s_barrier
	buffer_gl0_inv
	s_and_saveexec_b32 s2, s1
	s_cbranch_execz .LBB36_141
; %bb.140:
	ds_read2_b64 v[2:5], v25 offset1:1
	ds_read2_b64 v[6:9], v25 offset0:2 offset1:3
	ds_read2_b64 v[10:13], v25 offset0:4 offset1:5
	s_waitcnt lgkmcnt(2)
	v_add_f32_e32 v2, v60, v2
	v_add_f32_e32 v3, v61, v3
	;; [unrolled: 1-line block ×4, first 2 shown]
	ds_read2_b64 v[2:5], v25 offset0:6 offset1:7
	s_waitcnt lgkmcnt(2)
	v_add_f32_e32 v6, v20, v6
	v_add_f32_e32 v7, v21, v7
	v_add_f32_e32 v6, v6, v8
	v_add_f32_e32 v7, v7, v9
	s_waitcnt lgkmcnt(1)
	v_add_f32_e32 v6, v6, v10
	v_add_f32_e32 v7, v7, v11
	v_add_f32_e32 v6, v6, v12
	v_add_f32_e32 v7, v7, v13
	;; [unrolled: 5-line block ×3, first 2 shown]
.LBB36_141:
	s_or_b32 exec_lo, exec_lo, s2
	s_load_dwordx2 s[2:3], s[4:5], 0x68
	s_mul_hi_u32 s1, s24, s18
	s_mul_i32 s25, s25, s18
	s_mul_i32 s4, s24, s18
	s_add_i32 s1, s1, s25
	s_mul_hi_u32 s5, s4, s19
	s_mul_i32 s1, s1, s19
	s_mul_i32 s4, s4, s19
	s_add_i32 s5, s5, s1
	s_mul_hi_i32 s9, s24, s6
	s_lshl_b64 s[4:5], s[4:5], 3
	s_mul_i32 s8, s24, s6
	v_lshlrev_b32_e32 v95, 3, v0
	s_waitcnt lgkmcnt(0)
	s_barrier
	buffer_gl0_inv
	s_add_u32 s1, s2, s4
	s_addc_u32 s2, s3, s5
	s_lshl_b64 s[4:5], s[8:9], 3
	s_add_u32 s3, s1, s4
	s_addc_u32 s7, s2, s5
	s_add_i32 s1, s6, 1
	s_cmp_ge_u32 s1, s19
	s_cbranch_scc1 .LBB36_199
; %bb.142:
	v_lshrrev_b32_e32 v2, 4, v24
	v_lshlrev_b32_e32 v12, 5, v1
	v_and_b32_e32 v4, 48, v0
	v_and_b32_e32 v6, 15, v0
	s_mul_i32 s1, s10, s15
	v_lshlrev_b32_e32 v3, 5, v2
	v_add_nc_u32_e32 v7, 0x110, v12
	v_lshlrev_b32_e32 v4, 3, v4
	v_add_nc_u32_e32 v9, 0x298, v12
	s_mul_hi_u32 s2, s10, s14
	v_mad_u32_u24 v103, 0x218, v6, v3
	v_mul_i32_i24_e32 v13, 0xffffffe8, v2
	v_mad_u64_u32 v[2:3], null, s16, v7, 0
	v_mad_u32_u24 v104, 0x218, v6, v4
	v_mad_u64_u32 v[4:5], null, s16, v9, 0
	s_mul_i32 s4, s11, s14
	s_add_i32 s1, s2, s1
	v_or_b32_e32 v8, 0x78, v95
	s_add_i32 s5, s1, s4
	s_mul_i32 s4, s10, s14
	v_cmp_gt_u32_e64 s1, 64, v24
	s_lshl_b64 s[4:5], s[4:5], 3
	v_mad_u32_u24 v105, 0x218, v6, v8
	v_sub_co_u32 v97, vcc_lo, v16, s4
	v_mad_u64_u32 v[6:7], null, s17, v7, v[3:4]
	v_mov_b32_e32 v3, v5
	v_subrev_co_ci_u32_e64 v98, null, s5, v17, vcc_lo
	v_add_nc_u32_e32 v16, 0x108, v12
	v_add_nc_u32_e32 v17, 0x280, v12
	v_mad_u64_u32 v[9:10], null, s17, v9, v[3:4]
	v_sub_co_u32 v20, vcc_lo, v2, v14
	v_mad_u64_u32 v[7:8], null, s16, v16, 0
	v_mad_u64_u32 v[10:11], null, s16, v17, 0
	v_sub_co_ci_u32_e64 v21, null, v6, v15, vcc_lo
	v_sub_co_u32 v22, vcc_lo, v4, v14
	v_mov_b32_e32 v2, v8
	v_add_nc_u32_e32 v8, 0x100, v12
	v_mov_b32_e32 v3, v11
	v_sub_co_ci_u32_e64 v23, null, v9, v15, vcc_lo
	v_add_nc_u32_e32 v9, 0x288, v12
	v_sub_co_u32 v11, vcc_lo, v7, v14
	v_mad_u64_u32 v[4:5], null, s17, v16, v[2:3]
	v_mad_u64_u32 v[5:6], null, s16, v8, 0
	v_add_nc_u32_e32 v25, 0x118, v12
	v_add_nc_u32_e32 v26, 0x190, v12
	;; [unrolled: 1-line block ×4, first 2 shown]
	v_mad_u64_u32 v[2:3], null, s17, v17, v[3:4]
	v_mov_b32_e32 v3, v6
	v_mad_u64_u32 v[6:7], null, s16, v9, 0
	v_sub_co_ci_u32_e64 v16, null, v4, v15, vcc_lo
	v_sub_co_u32 v17, vcc_lo, v10, v14
	v_sub_co_ci_u32_e64 v24, null, v2, v15, vcc_lo
	v_mad_u64_u32 v[2:3], null, s17, v8, v[3:4]
	v_mov_b32_e32 v3, v7
	v_mad_u64_u32 v[7:8], null, s16, v25, 0
	v_sub_co_u32 v27, vcc_lo, v5, v14
	v_mad_u64_u32 v[3:4], null, s17, v9, v[3:4]
	v_mad_u64_u32 v[9:10], null, s16, v26, 0
	v_sub_co_ci_u32_e64 v28, null, v2, v15, vcc_lo
	v_sub_co_u32 v29, vcc_lo, v6, v14
	v_mov_b32_e32 v2, v8
	v_sub_co_ci_u32_e64 v30, null, v3, v15, vcc_lo
	v_mov_b32_e32 v3, v10
	v_add_nc_u32_e32 v8, 0x290, v12
	v_add_nc_u32_e32 v10, 0x218, v12
	v_add_nc_u32_e32 v100, 0x2180, v12
	v_add_nc_u32_e32 v41, 0x198, v12
	v_mad_u64_u32 v[4:5], null, s17, v25, v[2:3]
	v_mad_u64_u32 v[5:6], null, s16, v8, 0
	v_sub_co_u32 v25, vcc_lo, v7, v14
	v_lshlrev_b32_e32 v96, 2, v1
	v_add_nc_u32_e32 v99, 0x2180, v95
	v_mad_u64_u32 v[2:3], null, s17, v26, v[3:4]
	v_mov_b32_e32 v3, v6
	v_mad_u64_u32 v[6:7], null, s16, v10, 0
	v_sub_co_ci_u32_e64 v26, null, v4, v15, vcc_lo
	v_sub_co_u32 v31, vcc_lo, v9, v14
	v_sub_co_ci_u32_e64 v32, null, v2, v15, vcc_lo
	v_mad_u64_u32 v[2:3], null, s17, v8, v[3:4]
	v_mov_b32_e32 v3, v7
	v_mad_u64_u32 v[7:8], null, s16, v33, 0
	v_sub_co_u32 v35, vcc_lo, v5, v14
	v_mad_u64_u32 v[3:4], null, s17, v10, v[3:4]
	v_mad_u64_u32 v[9:10], null, s16, v34, 0
	v_sub_co_ci_u32_e64 v36, null, v2, v15, vcc_lo
	v_sub_co_u32 v37, vcc_lo, v6, v14
	v_mov_b32_e32 v2, v8
	v_sub_co_ci_u32_e64 v38, null, v3, v15, vcc_lo
	v_mov_b32_e32 v3, v10
	v_add_nc_u32_e32 v8, 0x180, v12
	v_add_nc_u32_e32 v10, 0x208, v12
	;; [unrolled: 1-line block ×4, first 2 shown]
	v_mad_u64_u32 v[4:5], null, s17, v33, v[2:3]
	v_mad_u64_u32 v[5:6], null, s16, v8, 0
	v_sub_co_u32 v33, vcc_lo, v7, v14
	v_mad_u32_u24 v102, 0x860, v1, v95
	v_or_b32_e32 v106, 3, v96
	v_mad_u64_u32 v[2:3], null, s17, v34, v[3:4]
	v_mov_b32_e32 v3, v6
	v_mad_u64_u32 v[6:7], null, s16, v10, 0
	v_sub_co_ci_u32_e64 v34, null, v4, v15, vcc_lo
	v_sub_co_u32 v39, vcc_lo, v9, v14
	v_sub_co_ci_u32_e64 v40, null, v2, v15, vcc_lo
	v_mad_u64_u32 v[2:3], null, s17, v8, v[3:4]
	v_mov_b32_e32 v3, v7
	v_mad_u64_u32 v[7:8], null, s16, v41, 0
	v_sub_co_u32 v42, vcc_lo, v5, v14
	v_mad_u64_u32 v[3:4], null, s17, v10, v[3:4]
	v_mad_u64_u32 v[9:10], null, s16, v12, 0
	v_sub_co_ci_u32_e64 v43, null, v2, v15, vcc_lo
	v_sub_co_u32 v6, vcc_lo, v6, v14
	v_mov_b32_e32 v2, v8
	v_sub_co_ci_u32_e64 v8, null, v3, v15, vcc_lo
	v_mov_b32_e32 v3, v10
	v_add_nc_u32_e32 v107, 16, v96
	v_add_nc_u32_e32 v108, 17, v96
	;; [unrolled: 1-line block ×4, first 2 shown]
	v_mad_u64_u32 v[4:5], null, s17, v41, v[2:3]
	v_add_nc_u32_e32 v111, 32, v96
	v_add_nc_u32_e32 v112, 33, v96
	v_add_nc_u32_e32 v113, 34, v96
	v_add_nc_u32_e32 v114, 35, v96
	v_add_nc_u32_e32 v115, 48, v96
	v_add_nc_u32_e32 v148, 49, v96
	v_mad_u64_u32 v[2:3], null, s17, v12, v[3:4]
	v_sub_co_u32 v3, vcc_lo, v7, v14
	v_sub_co_ci_u32_e64 v4, null, v4, v15, vcc_lo
	v_sub_co_u32 v5, vcc_lo, v9, v14
	v_sub_co_ci_u32_e64 v2, null, v2, v15, vcc_lo
	v_add_co_u32 v116, vcc_lo, v18, v20
	v_add_co_ci_u32_e64 v117, null, v19, v21, vcc_lo
	v_add_co_u32 v118, vcc_lo, v18, v22
	v_add_co_ci_u32_e64 v119, null, v19, v23, vcc_lo
	;; [unrolled: 2-line block ×16, first 2 shown]
	v_add_nc_u32_e32 v149, 50, v96
	v_add_nc_u32_e32 v150, v103, v13
	v_add_nc_u32_e32 v151, 51, v96
	v_mov_b32_e32 v62, 0
	s_add_i32 s8, s19, -2
	s_add_i32 s9, s14, 64
	s_lshl_b64 s[4:5], s[16:17], 9
	s_cmp_eq_u32 s8, s6
	s_cselect_b32 s13, s22, 0
	s_and_saveexec_b32 s2, s0
	s_cbranch_execz .LBB36_148
	s_branch .LBB36_144
.LBB36_143:                             ;   in Loop: Header=BB36_148 Depth=1
	s_mov_b32 s6, s2
	s_cmp_eq_u32 s8, s6
	s_cselect_b32 s13, s22, 0
	s_and_saveexec_b32 s2, s0
	s_cbranch_execz .LBB36_148
.LBB36_144:
	v_cmp_le_i32_e32 vcc_lo, s13, v0
	s_cmp_lg_u32 s13, 0
	s_cselect_b32 s14, -1, 0
	s_and_b32 s14, s14, vcc_lo
	s_and_saveexec_b32 s15, s14
	s_xor_b32 s14, exec_lo, s15
; %bb.145:
	v_mov_b32_e32 v63, v62
	ds_write_b64 v99, v[62:63]
; %bb.146:
	s_andn2_saveexec_b32 s14, s14
	s_cbranch_execz .LBB36_148
; %bb.147:
	s_ashr_i32 s14, s9, 31
	s_mul_hi_u32 s15, s10, s9
	s_mul_i32 s14, s10, s14
	s_mul_i32 s16, s11, s9
	s_add_i32 s15, s15, s14
	s_mul_i32 s14, s10, s9
	s_add_i32 s15, s15, s16
	s_lshl_b64 s[14:15], s[14:15], 3
	v_add_co_u32 v2, vcc_lo, v97, s14
	v_add_co_ci_u32_e64 v3, null, s15, v98, vcc_lo
	flat_load_dwordx2 v[2:3], v[2:3]
	s_waitcnt vmcnt(0) lgkmcnt(0)
	ds_write_b64 v99, v[2:3]
.LBB36_148:                             ; =>This Inner Loop Header: Depth=1
	s_or_b32 exec_lo, exec_lo, s2
	s_cmp_eq_u32 s13, 0
	v_add_co_u32 v2, vcc_lo, v124, v95
	s_cselect_b32 s14, -1, 0
	s_cmp_lg_u32 s13, 0
	v_add_co_ci_u32_e64 v3, null, 0, v125, vcc_lo
	s_cselect_b32 s2, -1, 0
	s_waitcnt lgkmcnt(0)
	s_and_b32 vcc_lo, exec_lo, s2
	s_barrier
	buffer_gl0_inv
	s_cbranch_vccz .LBB36_156
; %bb.149:                              ;   in Loop: Header=BB36_148 Depth=1
	v_mov_b32_e32 v65, 0
	v_mov_b32_e32 v63, 0
	;; [unrolled: 1-line block ×3, first 2 shown]
	s_mov_b32 s15, exec_lo
	v_cmpx_gt_i32_e64 s13, v96
	s_cbranch_execz .LBB36_151
; %bb.150:                              ;   in Loop: Header=BB36_148 Depth=1
	flat_load_dwordx2 v[63:64], v[2:3]
.LBB36_151:                             ;   in Loop: Header=BB36_148 Depth=1
	s_or_b32 exec_lo, exec_lo, s15
	v_or_b32_e32 v4, 1, v96
	v_mov_b32_e32 v66, 0
	s_mov_b32 s15, exec_lo
	v_cmpx_gt_i32_e64 s13, v4
	s_cbranch_execz .LBB36_153
; %bb.152:                              ;   in Loop: Header=BB36_148 Depth=1
	v_add_co_u32 v4, vcc_lo, v120, v95
	v_add_co_ci_u32_e64 v5, null, 0, v121, vcc_lo
	flat_load_dwordx2 v[65:66], v[4:5]
.LBB36_153:                             ;   in Loop: Header=BB36_148 Depth=1
	s_or_b32 exec_lo, exec_lo, s15
	v_or_b32_e32 v4, 2, v96
	v_mov_b32_e32 v67, 0
	v_mov_b32_e32 v68, 0
	s_mov_b32 s15, exec_lo
	v_cmpx_gt_i32_e64 s13, v4
	s_cbranch_execz .LBB36_155
; %bb.154:                              ;   in Loop: Header=BB36_148 Depth=1
	v_add_co_u32 v4, vcc_lo, v116, v95
	v_add_co_ci_u32_e64 v5, null, 0, v117, vcc_lo
	flat_load_dwordx2 v[67:68], v[4:5]
.LBB36_155:                             ;   in Loop: Header=BB36_148 Depth=1
	s_or_b32 exec_lo, exec_lo, s15
	v_cmp_gt_i32_e64 s15, s13, v106
	s_branch .LBB36_158
.LBB36_156:                             ;   in Loop: Header=BB36_148 Depth=1
	s_mov_b32 s15, 0
                                        ; implicit-def: $vgpr64
                                        ; implicit-def: $vgpr66
                                        ; implicit-def: $vgpr68
	s_cbranch_execz .LBB36_158
; %bb.157:                              ;   in Loop: Header=BB36_148 Depth=1
	v_add_co_u32 v4, vcc_lo, v120, v95
	v_add_co_ci_u32_e64 v5, null, 0, v121, vcc_lo
	v_add_co_u32 v6, vcc_lo, v116, v95
	v_add_co_ci_u32_e64 v7, null, 0, v117, vcc_lo
	s_waitcnt vmcnt(0) lgkmcnt(0)
	flat_load_dwordx2 v[63:64], v[2:3]
	flat_load_dwordx2 v[65:66], v[4:5]
	;; [unrolled: 1-line block ×3, first 2 shown]
	s_or_b32 s15, s15, exec_lo
.LBB36_158:                             ;   in Loop: Header=BB36_148 Depth=1
	v_mov_b32_e32 v69, 0
	v_mov_b32_e32 v70, 0
	s_and_saveexec_b32 s16, s15
	s_cbranch_execz .LBB36_160
; %bb.159:                              ;   in Loop: Header=BB36_148 Depth=1
	v_add_co_u32 v2, vcc_lo, v128, v95
	v_add_co_ci_u32_e64 v3, null, 0, v129, vcc_lo
	flat_load_dwordx2 v[69:70], v[2:3]
.LBB36_160:                             ;   in Loop: Header=BB36_148 Depth=1
	s_or_b32 exec_lo, exec_lo, s16
	ds_read_b64 v[2:3], v101
	v_add_co_u32 v18, vcc_lo, v140, v95
	v_cndmask_b32_e64 v42, 0, 1, s2
	v_add_co_ci_u32_e64 v19, null, 0, v141, vcc_lo
	s_andn2_b32 vcc_lo, exec_lo, s2
	s_waitcnt vmcnt(0) lgkmcnt(0)
	v_mul_f32_e32 v10, v64, v3
	v_mul_f32_e32 v4, v64, v2
	;; [unrolled: 1-line block ×8, first 2 shown]
	v_fmac_f32_e32 v10, v63, v2
	v_fma_f32 v11, v63, v3, -v4
	v_fmac_f32_e32 v12, v65, v2
	v_fma_f32 v13, v65, v3, -v5
	;; [unrolled: 2-line block ×4, first 2 shown]
	ds_read_b128 v[6:9], v100
	ds_read_b128 v[2:5], v100 offset:16
	ds_write2_b64 v102, v[10:11], v[12:13] offset1:67
	ds_write2_b64 v102, v[14:15], v[16:17] offset0:134 offset1:201
	s_waitcnt lgkmcnt(0)
	s_barrier
	buffer_gl0_inv
	ds_read2_b64 v[14:17], v103 offset1:1
	ds_read2_b64 v[10:13], v103 offset0:2 offset1:3
	s_waitcnt lgkmcnt(0)
	s_barrier
	buffer_gl0_inv
	s_cbranch_vccnz .LBB36_168
; %bb.161:                              ;   in Loop: Header=BB36_148 Depth=1
	v_mov_b32_e32 v71, 0
	v_mov_b32_e32 v73, 0
	;; [unrolled: 1-line block ×3, first 2 shown]
	s_mov_b32 s2, exec_lo
	v_cmpx_gt_i32_e64 s13, v107
	s_cbranch_execz .LBB36_163
; %bb.162:                              ;   in Loop: Header=BB36_148 Depth=1
	flat_load_dwordx2 v[73:74], v[18:19]
.LBB36_163:                             ;   in Loop: Header=BB36_148 Depth=1
	s_or_b32 exec_lo, exec_lo, s2
	v_mov_b32_e32 v72, 0
	s_mov_b32 s2, exec_lo
	v_cmpx_gt_i32_e64 s13, v108
	s_cbranch_execz .LBB36_165
; %bb.164:                              ;   in Loop: Header=BB36_148 Depth=1
	v_add_co_u32 v20, vcc_lo, v136, v95
	v_add_co_ci_u32_e64 v21, null, 0, v137, vcc_lo
	flat_load_dwordx2 v[71:72], v[20:21]
.LBB36_165:                             ;   in Loop: Header=BB36_148 Depth=1
	s_or_b32 exec_lo, exec_lo, s2
	v_mov_b32_e32 v75, 0
	v_mov_b32_e32 v76, 0
	s_mov_b32 s2, exec_lo
	v_cmpx_gt_i32_e64 s13, v109
	s_cbranch_execz .LBB36_167
; %bb.166:                              ;   in Loop: Header=BB36_148 Depth=1
	v_add_co_u32 v20, vcc_lo, v130, v95
	v_add_co_ci_u32_e64 v21, null, 0, v131, vcc_lo
	flat_load_dwordx2 v[75:76], v[20:21]
.LBB36_167:                             ;   in Loop: Header=BB36_148 Depth=1
	s_or_b32 exec_lo, exec_lo, s2
	v_cmp_gt_i32_e64 s2, s13, v110
	s_branch .LBB36_170
.LBB36_168:                             ;   in Loop: Header=BB36_148 Depth=1
	s_mov_b32 s2, 0
                                        ; implicit-def: $vgpr74
                                        ; implicit-def: $vgpr72
                                        ; implicit-def: $vgpr76
	s_cbranch_execz .LBB36_170
; %bb.169:                              ;   in Loop: Header=BB36_148 Depth=1
	v_add_co_u32 v20, vcc_lo, v136, v95
	v_add_co_ci_u32_e64 v21, null, 0, v137, vcc_lo
	v_add_co_u32 v22, vcc_lo, v130, v95
	v_add_co_ci_u32_e64 v23, null, 0, v131, vcc_lo
	s_waitcnt vmcnt(0) lgkmcnt(0)
	flat_load_dwordx2 v[73:74], v[18:19]
	flat_load_dwordx2 v[71:72], v[20:21]
	;; [unrolled: 1-line block ×3, first 2 shown]
	s_or_b32 s2, s2, exec_lo
.LBB36_170:                             ;   in Loop: Header=BB36_148 Depth=1
	v_mov_b32_e32 v77, 0
	v_mov_b32_e32 v78, 0
	s_and_saveexec_b32 s15, s2
	s_cbranch_execz .LBB36_172
; %bb.171:                              ;   in Loop: Header=BB36_148 Depth=1
	v_add_co_u32 v18, vcc_lo, v144, v95
	v_add_co_ci_u32_e64 v19, null, 0, v145, vcc_lo
	flat_load_dwordx2 v[77:78], v[18:19]
.LBB36_172:                             ;   in Loop: Header=BB36_148 Depth=1
	s_or_b32 exec_lo, exec_lo, s15
	ds_read_b64 v[18:19], v101
	v_cmp_ne_u32_e32 vcc_lo, 1, v42
	s_and_b32 vcc_lo, exec_lo, vcc_lo
	s_waitcnt vmcnt(0) lgkmcnt(0)
	v_mul_f32_e32 v26, v74, v19
	v_mul_f32_e32 v20, v74, v18
	;; [unrolled: 1-line block ×8, first 2 shown]
	v_fmac_f32_e32 v26, v73, v18
	v_fma_f32 v27, v73, v19, -v20
	v_fmac_f32_e32 v28, v71, v18
	v_fma_f32 v29, v71, v19, -v21
	;; [unrolled: 2-line block ×4, first 2 shown]
	ds_read_b128 v[22:25], v100 offset:128
	ds_read_b128 v[18:21], v100 offset:144
	ds_write2_b64 v102, v[26:27], v[28:29] offset1:67
	ds_write2_b64 v102, v[30:31], v[32:33] offset0:134 offset1:201
	s_waitcnt lgkmcnt(0)
	s_barrier
	buffer_gl0_inv
	ds_read2_b64 v[38:41], v103 offset1:1
	ds_read2_b64 v[30:33], v103 offset0:2 offset1:3
	v_add_co_u32 v26, s2, v138, v95
	v_add_co_ci_u32_e64 v27, null, 0, v139, s2
	s_waitcnt lgkmcnt(0)
	s_barrier
	buffer_gl0_inv
	s_cbranch_vccnz .LBB36_180
; %bb.173:                              ;   in Loop: Header=BB36_148 Depth=1
	v_mov_b32_e32 v79, 0
	v_mov_b32_e32 v81, 0
	;; [unrolled: 1-line block ×3, first 2 shown]
	s_mov_b32 s2, exec_lo
	v_cmpx_gt_i32_e64 s13, v111
	s_cbranch_execz .LBB36_175
; %bb.174:                              ;   in Loop: Header=BB36_148 Depth=1
	flat_load_dwordx2 v[81:82], v[26:27]
.LBB36_175:                             ;   in Loop: Header=BB36_148 Depth=1
	s_or_b32 exec_lo, exec_lo, s2
	v_mov_b32_e32 v80, 0
	s_mov_b32 s2, exec_lo
	v_cmpx_gt_i32_e64 s13, v112
	s_cbranch_execz .LBB36_177
; %bb.176:                              ;   in Loop: Header=BB36_148 Depth=1
	v_add_co_u32 v28, vcc_lo, v142, v95
	v_add_co_ci_u32_e64 v29, null, 0, v143, vcc_lo
	flat_load_dwordx2 v[79:80], v[28:29]
.LBB36_177:                             ;   in Loop: Header=BB36_148 Depth=1
	s_or_b32 exec_lo, exec_lo, s2
	v_mov_b32_e32 v83, 0
	v_mov_b32_e32 v84, 0
	s_mov_b32 s2, exec_lo
	v_cmpx_gt_i32_e64 s13, v113
	s_cbranch_execz .LBB36_179
; %bb.178:                              ;   in Loop: Header=BB36_148 Depth=1
	v_add_co_u32 v28, vcc_lo, v146, v95
	v_add_co_ci_u32_e64 v29, null, 0, v147, vcc_lo
	flat_load_dwordx2 v[83:84], v[28:29]
.LBB36_179:                             ;   in Loop: Header=BB36_148 Depth=1
	s_or_b32 exec_lo, exec_lo, s2
	v_cmp_gt_i32_e64 s2, s13, v114
	s_branch .LBB36_182
.LBB36_180:                             ;   in Loop: Header=BB36_148 Depth=1
	s_mov_b32 s2, 0
                                        ; implicit-def: $vgpr82
                                        ; implicit-def: $vgpr80
                                        ; implicit-def: $vgpr84
	s_cbranch_execz .LBB36_182
; %bb.181:                              ;   in Loop: Header=BB36_148 Depth=1
	v_add_co_u32 v28, vcc_lo, v142, v95
	v_add_co_ci_u32_e64 v29, null, 0, v143, vcc_lo
	v_add_co_u32 v34, vcc_lo, v146, v95
	v_add_co_ci_u32_e64 v35, null, 0, v147, vcc_lo
	s_waitcnt vmcnt(0) lgkmcnt(0)
	flat_load_dwordx2 v[81:82], v[26:27]
	flat_load_dwordx2 v[79:80], v[28:29]
	;; [unrolled: 1-line block ×3, first 2 shown]
	s_or_b32 s2, s2, exec_lo
.LBB36_182:                             ;   in Loop: Header=BB36_148 Depth=1
	v_mov_b32_e32 v85, 0
	v_mov_b32_e32 v86, 0
	s_and_saveexec_b32 s15, s2
	s_cbranch_execz .LBB36_184
; %bb.183:                              ;   in Loop: Header=BB36_148 Depth=1
	v_add_co_u32 v26, vcc_lo, v134, v95
	v_add_co_ci_u32_e64 v27, null, 0, v135, vcc_lo
	flat_load_dwordx2 v[85:86], v[26:27]
.LBB36_184:                             ;   in Loop: Header=BB36_148 Depth=1
	s_or_b32 exec_lo, exec_lo, s15
	ds_read_b64 v[26:27], v101
	v_cmp_ne_u32_e32 vcc_lo, 1, v42
	v_add_co_u32 v42, s2, v122, v95
	s_and_b32 vcc_lo, exec_lo, vcc_lo
	s_waitcnt vmcnt(0) lgkmcnt(0)
	v_mul_f32_e32 v43, v82, v27
	v_mul_f32_e32 v28, v82, v26
	;; [unrolled: 1-line block ×8, first 2 shown]
	v_fmac_f32_e32 v43, v81, v26
	v_fma_f32 v44, v81, v27, -v28
	v_fmac_f32_e32 v45, v79, v26
	v_fma_f32 v46, v79, v27, -v29
	;; [unrolled: 2-line block ×4, first 2 shown]
	ds_read_b128 v[34:37], v100 offset:256
	ds_read_b128 v[26:29], v100 offset:272
	ds_write2_b64 v102, v[43:44], v[45:46] offset1:67
	ds_write2_b64 v102, v[47:48], v[49:50] offset0:134 offset1:201
	s_waitcnt lgkmcnt(0)
	s_barrier
	buffer_gl0_inv
	ds_read2_b64 v[54:57], v103 offset1:1
	ds_read2_b64 v[50:53], v103 offset0:2 offset1:3
	v_add_co_ci_u32_e64 v43, null, 0, v123, s2
	s_waitcnt lgkmcnt(0)
	s_barrier
	buffer_gl0_inv
	s_cbranch_vccnz .LBB36_192
; %bb.185:                              ;   in Loop: Header=BB36_148 Depth=1
	v_mov_b32_e32 v89, 0
	v_mov_b32_e32 v87, 0
	;; [unrolled: 1-line block ×3, first 2 shown]
	s_mov_b32 s2, exec_lo
	v_cmpx_gt_i32_e64 s13, v115
	s_cbranch_execz .LBB36_187
; %bb.186:                              ;   in Loop: Header=BB36_148 Depth=1
	flat_load_dwordx2 v[87:88], v[42:43]
.LBB36_187:                             ;   in Loop: Header=BB36_148 Depth=1
	s_or_b32 exec_lo, exec_lo, s2
	v_mov_b32_e32 v90, 0
	s_mov_b32 s2, exec_lo
	v_cmpx_gt_i32_e64 s13, v148
	s_cbranch_execz .LBB36_189
; %bb.188:                              ;   in Loop: Header=BB36_148 Depth=1
	v_add_co_u32 v44, vcc_lo, v126, v95
	v_add_co_ci_u32_e64 v45, null, 0, v127, vcc_lo
	flat_load_dwordx2 v[89:90], v[44:45]
.LBB36_189:                             ;   in Loop: Header=BB36_148 Depth=1
	s_or_b32 exec_lo, exec_lo, s2
	v_mov_b32_e32 v91, 0
	v_mov_b32_e32 v92, 0
	s_mov_b32 s2, exec_lo
	v_cmpx_gt_i32_e64 s13, v149
	s_cbranch_execz .LBB36_191
; %bb.190:                              ;   in Loop: Header=BB36_148 Depth=1
	v_add_co_u32 v44, vcc_lo, v132, v95
	v_add_co_ci_u32_e64 v45, null, 0, v133, vcc_lo
	flat_load_dwordx2 v[91:92], v[44:45]
.LBB36_191:                             ;   in Loop: Header=BB36_148 Depth=1
	s_or_b32 exec_lo, exec_lo, s2
	v_cmp_gt_i32_e64 s2, s13, v151
	s_branch .LBB36_194
.LBB36_192:                             ;   in Loop: Header=BB36_148 Depth=1
	s_mov_b32 s2, 0
                                        ; implicit-def: $vgpr88
                                        ; implicit-def: $vgpr90
                                        ; implicit-def: $vgpr92
	s_cbranch_execz .LBB36_194
; %bb.193:                              ;   in Loop: Header=BB36_148 Depth=1
	v_add_co_u32 v44, vcc_lo, v126, v95
	v_add_co_ci_u32_e64 v45, null, 0, v127, vcc_lo
	v_add_co_u32 v46, vcc_lo, v132, v95
	v_add_co_ci_u32_e64 v47, null, 0, v133, vcc_lo
	s_waitcnt vmcnt(0) lgkmcnt(0)
	flat_load_dwordx2 v[87:88], v[42:43]
	flat_load_dwordx2 v[89:90], v[44:45]
	;; [unrolled: 1-line block ×3, first 2 shown]
	s_or_b32 s2, s2, exec_lo
.LBB36_194:                             ;   in Loop: Header=BB36_148 Depth=1
	v_mov_b32_e32 v93, 0
	v_mov_b32_e32 v94, 0
	s_and_saveexec_b32 s15, s2
	s_cbranch_execz .LBB36_196
; %bb.195:                              ;   in Loop: Header=BB36_148 Depth=1
	v_add_co_u32 v42, vcc_lo, v118, v95
	v_add_co_ci_u32_e64 v43, null, 0, v119, vcc_lo
	flat_load_dwordx2 v[93:94], v[42:43]
.LBB36_196:                             ;   in Loop: Header=BB36_148 Depth=1
	s_or_b32 exec_lo, exec_lo, s15
	ds_read_b64 v[42:43], v101
	v_add_f32_e32 v54, 0, v54
	v_add_f32_e32 v55, 0, v55
	;; [unrolled: 1-line block ×6, first 2 shown]
	v_cmp_gt_i32_e32 vcc_lo, s13, v0
	v_add_f32_e32 v38, v38, v40
	v_add_f32_e32 v15, v15, v17
	;; [unrolled: 1-line block ×4, first 2 shown]
	s_or_b32 s2, s14, vcc_lo
	v_add_f32_e32 v30, v38, v30
	v_add_f32_e32 v41, v15, v11
	;; [unrolled: 1-line block ×4, first 2 shown]
	s_and_b32 s13, s1, s2
	v_add_f32_e32 v14, v30, v32
	v_add_f32_e32 v13, v41, v13
	s_waitcnt vmcnt(0) lgkmcnt(0)
	v_mul_f32_e32 v152, v88, v43
	v_mul_f32_e32 v44, v88, v42
	;; [unrolled: 1-line block ×8, first 2 shown]
	v_fmac_f32_e32 v152, v87, v42
	v_fma_f32 v153, v87, v43, -v44
	v_fmac_f32_e32 v154, v89, v42
	v_fma_f32 v155, v89, v43, -v45
	;; [unrolled: 2-line block ×4, first 2 shown]
	ds_read_b128 v[46:49], v100 offset:384
	ds_read_b128 v[42:45], v100 offset:400
	ds_write2_b64 v102, v[152:153], v[154:155] offset1:67
	ds_write2_b64 v102, v[156:157], v[158:159] offset0:134 offset1:201
	s_waitcnt lgkmcnt(0)
	s_barrier
	buffer_gl0_inv
	ds_read2_b64 v[152:155], v103 offset1:1
	v_add_f32_e32 v156, v54, v56
	v_add_f32_e32 v157, v55, v57
	ds_read2_b64 v[54:57], v103 offset0:2 offset1:3
	v_add_f32_e32 v12, v39, v12
	s_waitcnt lgkmcnt(0)
	v_add_f32_e32 v16, v156, v50
	v_add_f32_e32 v17, v157, v51
	s_barrier
	buffer_gl0_inv
	v_add_f32_e32 v10, v16, v52
	v_add_f32_e32 v11, v17, v53
	;; [unrolled: 1-line block ×11, first 2 shown]
	ds_write2_b64 v150, v[12:13], v[14:15] offset1:16
	ds_write2_b64 v150, v[10:11], v[16:17] offset0:32 offset1:48
	s_waitcnt lgkmcnt(0)
	s_barrier
	buffer_gl0_inv
	s_and_saveexec_b32 s2, s13
	s_cbranch_execz .LBB36_198
; %bb.197:                              ;   in Loop: Header=BB36_148 Depth=1
	ds_read_b64 v[38:39], v104
	ds_read2_b64 v[10:13], v104 offset0:1 offset1:2
	ds_read2_b64 v[14:17], v104 offset0:3 offset1:4
	ds_read2_b64 v[30:33], v104 offset0:5 offset1:6
	s_waitcnt lgkmcnt(2)
	v_add_f32_e32 v10, v10, v38
	v_add_f32_e32 v11, v11, v39
	v_add_f32_e32 v38, v12, v10
	v_add_f32_e32 v39, v13, v11
	ds_read2_b64 v[10:13], v104 offset0:7 offset1:8
	s_waitcnt lgkmcnt(2)
	v_add_f32_e32 v14, v38, v14
	v_add_f32_e32 v15, v39, v15
	v_add_f32_e32 v38, v14, v16
	v_add_f32_e32 v39, v15, v17
	ds_read2_b64 v[14:17], v104 offset0:9 offset1:10
	;; [unrolled: 6-line block ×4, first 2 shown]
	s_waitcnt lgkmcnt(2)
	v_add_f32_e32 v14, v38, v14
	v_add_f32_e32 v15, v39, v15
	;; [unrolled: 1-line block ×4, first 2 shown]
	ds_read_b64 v[14:15], v105
	s_waitcnt lgkmcnt(2)
	v_add_f32_e32 v16, v16, v30
	v_add_f32_e32 v17, v17, v31
	;; [unrolled: 1-line block ×4, first 2 shown]
	v_add_nc_u32_e32 v16, s9, v0
	s_waitcnt lgkmcnt(1)
	v_add_f32_e32 v10, v30, v10
	v_add_f32_e32 v11, v17, v11
	v_ashrrev_i32_e32 v17, 31, v16
	v_add_f32_e32 v12, v10, v12
	v_add_f32_e32 v13, v11, v13
	v_lshlrev_b64 v[10:11], 3, v[16:17]
	s_waitcnt lgkmcnt(0)
	v_add_f32_e32 v12, v12, v14
	v_add_f32_e32 v13, v13, v15
	v_add_co_u32 v10, vcc_lo, s3, v10
	v_add_co_ci_u32_e64 v11, null, s7, v11, vcc_lo
	global_store_dwordx2 v[10:11], v[12:13], off
.LBB36_198:                             ;   in Loop: Header=BB36_148 Depth=1
	s_or_b32 exec_lo, exec_lo, s2
	v_mul_f32_e32 v10, v64, v7
	v_mul_f32_e32 v7, v63, v7
	;; [unrolled: 1-line block ×5, first 2 shown]
	v_fma_f32 v10, v63, v6, -v10
	v_fmac_f32_e32 v7, v64, v6
	v_fma_f32 v11, v65, v8, -v11
	v_mul_f32_e32 v3, v67, v3
	v_mul_f32_e32 v13, v70, v5
	v_add_f32_e32 v10, v60, v10
	v_fma_f32 v6, v67, v2, -v12
	v_fmac_f32_e32 v9, v66, v8
	v_add_f32_e32 v7, v61, v7
	v_mul_f32_e32 v5, v69, v5
	v_add_f32_e32 v10, v10, v11
	v_mul_f32_e32 v14, v74, v23
	v_fma_f32 v8, v69, v4, -v13
	v_fmac_f32_e32 v3, v68, v2
	v_add_f32_e32 v2, v7, v9
	v_add_f32_e32 v6, v10, v6
	v_mul_f32_e32 v15, v73, v23
	v_mul_f32_e32 v11, v72, v25
	v_fma_f32 v7, v73, v22, -v14
	v_fmac_f32_e32 v5, v70, v4
	v_add_f32_e32 v6, v6, v8
	v_add_f32_e32 v2, v2, v3
	v_mul_f32_e32 v10, v71, v25
	v_mul_f32_e32 v8, v76, v19
	v_fma_f32 v3, v71, v24, -v11
	v_add_f32_e32 v4, v6, v7
	v_fmac_f32_e32 v15, v74, v22
	v_add_f32_e32 v2, v2, v5
	v_mul_f32_e32 v6, v78, v21
	v_fma_f32 v5, v75, v18, -v8
	v_add_f32_e32 v3, v4, v3
	v_mul_f32_e32 v4, v75, v19
	v_fmac_f32_e32 v10, v72, v24
	v_add_f32_e32 v2, v2, v15
	v_fma_f32 v6, v77, v20, -v6
	v_add_f32_e32 v3, v3, v5
	v_mul_f32_e32 v5, v82, v35
	v_fmac_f32_e32 v4, v76, v18
	v_add_f32_e32 v2, v2, v10
	v_mul_f32_e32 v7, v77, v21
	v_add_f32_e32 v3, v3, v6
	v_fma_f32 v5, v81, v34, -v5
	v_mul_f32_e32 v6, v80, v37
	v_add_f32_e32 v2, v2, v4
	v_fmac_f32_e32 v7, v78, v20
	v_mul_f32_e32 v4, v81, v35
	v_add_f32_e32 v3, v3, v5
	v_fma_f32 v5, v79, v36, -v6
	v_mul_f32_e32 v6, v84, v27
	v_add_f32_e32 v2, v2, v7
	v_fmac_f32_e32 v4, v82, v34
	;; [unrolled: 6-line block ×3, first 2 shown]
	v_mul_f32_e32 v4, v83, v27
	v_add_co_u32 v116, vcc_lo, v116, s4
	v_add_f32_e32 v3, v3, v5
	v_fma_f32 v5, v85, v28, -v6
	v_add_f32_e32 v2, v2, v7
	v_fmac_f32_e32 v4, v84, v26
	v_mul_f32_e32 v6, v88, v47
	v_mul_f32_e32 v7, v85, v29
	v_add_co_ci_u32_e64 v117, null, s5, v117, vcc_lo
	v_add_co_u32 v118, vcc_lo, v118, s4
	v_add_co_ci_u32_e64 v119, null, s5, v119, vcc_lo
	v_add_co_u32 v120, vcc_lo, v120, s4
	;; [unrolled: 2-line block ×3, first 2 shown]
	v_add_f32_e32 v3, v3, v5
	v_add_f32_e32 v2, v2, v4
	v_fma_f32 v4, v87, v46, -v6
	v_mul_f32_e32 v5, v90, v49
	v_fmac_f32_e32 v7, v86, v28
	v_mul_f32_e32 v6, v87, v47
	v_add_co_ci_u32_e64 v123, null, s5, v123, vcc_lo
	v_add_co_u32 v124, vcc_lo, v124, s4
	v_add_co_ci_u32_e64 v125, null, s5, v125, vcc_lo
	v_add_co_u32 v126, vcc_lo, v126, s4
	v_add_f32_e32 v3, v3, v4
	v_fma_f32 v4, v89, v48, -v5
	v_add_f32_e32 v2, v2, v7
	v_mul_f32_e32 v5, v89, v49
	v_fmac_f32_e32 v6, v88, v46
	v_add_co_ci_u32_e64 v127, null, s5, v127, vcc_lo
	v_add_co_u32 v128, vcc_lo, v128, s4
	v_add_co_ci_u32_e64 v129, null, s5, v129, vcc_lo
	v_add_co_u32 v130, vcc_lo, v130, s4
	;; [unrolled: 2-line block ×3, first 2 shown]
	v_mul_f32_e32 v7, v92, v43
	v_add_f32_e32 v3, v3, v4
	v_mul_f32_e32 v4, v91, v43
	v_fmac_f32_e32 v5, v90, v48
	v_add_f32_e32 v2, v2, v6
	v_add_co_ci_u32_e64 v133, null, s5, v133, vcc_lo
	v_add_co_u32 v134, vcc_lo, v134, s4
	v_add_co_ci_u32_e64 v135, null, s5, v135, vcc_lo
	v_add_co_u32 v136, vcc_lo, v136, s4
	v_fma_f32 v6, v91, v42, -v7
	v_mul_f32_e32 v7, v94, v45
	v_mul_f32_e32 v8, v93, v45
	v_fmac_f32_e32 v4, v92, v42
	v_add_f32_e32 v2, v2, v5
	v_add_co_ci_u32_e64 v137, null, s5, v137, vcc_lo
	v_add_co_u32 v138, vcc_lo, v138, s4
	v_add_co_ci_u32_e64 v139, null, s5, v139, vcc_lo
	v_add_co_u32 v140, vcc_lo, v140, s4
	;; [unrolled: 2-line block ×3, first 2 shown]
	v_add_f32_e32 v3, v3, v6
	v_fma_f32 v5, v93, v44, -v7
	v_fmac_f32_e32 v8, v94, v44
	v_add_f32_e32 v2, v2, v4
	v_add_co_ci_u32_e64 v143, null, s5, v143, vcc_lo
	v_add_co_u32 v144, vcc_lo, v144, s4
	v_add_co_ci_u32_e64 v145, null, s5, v145, vcc_lo
	v_add_co_u32 v146, vcc_lo, v146, s4
	v_add_f32_e32 v60, v3, v5
	v_add_f32_e32 v61, v2, v8
	v_add_co_ci_u32_e64 v147, null, s5, v147, vcc_lo
	s_add_i32 s2, s6, 1
	s_add_i32 s6, s6, 2
	;; [unrolled: 1-line block ×3, first 2 shown]
	s_cmp_ge_u32 s6, s19
	s_waitcnt_vscnt null, 0x0
	s_barrier
	buffer_gl0_inv
	s_cbranch_scc0 .LBB36_143
.LBB36_199:
	v_cmp_gt_i32_e32 vcc_lo, s12, v0
	v_mad_u32_u24 v1, 0x218, v1, v95
	s_or_b32 s1, s23, vcc_lo
	ds_write_b64 v1, v[60:61]
	s_and_b32 s0, s0, s1
	s_waitcnt lgkmcnt(0)
	s_barrier
	buffer_gl0_inv
	s_and_saveexec_b32 s1, s0
	s_cbranch_execz .LBB36_201
; %bb.200:
	ds_read2_b64 v[0:3], v95 offset1:67
	ds_read2_b64 v[4:7], v95 offset0:134 offset1:201
	s_waitcnt lgkmcnt(1)
	v_add_f32_e32 v0, v2, v0
	v_add_f32_e32 v1, v3, v1
	s_waitcnt lgkmcnt(0)
	v_add_f32_e32 v2, v4, v0
	v_add_f32_e32 v3, v5, v1
	v_lshlrev_b64 v[0:1], 3, v[58:59]
	v_add_f32_e32 v2, v2, v6
	v_add_f32_e32 v3, v3, v7
	v_add_co_u32 v0, vcc_lo, s3, v0
	v_add_co_ci_u32_e64 v1, null, s7, v1, vcc_lo
	global_store_dwordx2 v[0:1], v[2:3], off
.LBB36_201:
	s_endpgm
	.section	.rodata,"a",@progbits
	.p2align	6, 0x0
	.amdhsa_kernel _ZL26rocblas_hemvn_kernel_upperILb1ELi64ELi4ELi33ELi32ELi16El19rocblas_complex_numIfEPKPKS1_PS1_EviT6_lT7_lT5_lS8_lS9_lS7_lT8_i
		.amdhsa_group_segment_fixed_size 9600
		.amdhsa_private_segment_fixed_size 0
		.amdhsa_kernarg_size 376
		.amdhsa_user_sgpr_count 6
		.amdhsa_user_sgpr_private_segment_buffer 1
		.amdhsa_user_sgpr_dispatch_ptr 0
		.amdhsa_user_sgpr_queue_ptr 0
		.amdhsa_user_sgpr_kernarg_segment_ptr 1
		.amdhsa_user_sgpr_dispatch_id 0
		.amdhsa_user_sgpr_flat_scratch_init 0
		.amdhsa_user_sgpr_private_segment_size 0
		.amdhsa_wavefront_size32 1
		.amdhsa_uses_dynamic_stack 0
		.amdhsa_system_sgpr_private_segment_wavefront_offset 0
		.amdhsa_system_sgpr_workgroup_id_x 1
		.amdhsa_system_sgpr_workgroup_id_y 0
		.amdhsa_system_sgpr_workgroup_id_z 1
		.amdhsa_system_sgpr_workgroup_info 0
		.amdhsa_system_vgpr_workitem_id 1
		.amdhsa_next_free_vgpr 160
		.amdhsa_next_free_sgpr 30
		.amdhsa_reserve_vcc 1
		.amdhsa_reserve_flat_scratch 1
		.amdhsa_float_round_mode_32 0
		.amdhsa_float_round_mode_16_64 0
		.amdhsa_float_denorm_mode_32 3
		.amdhsa_float_denorm_mode_16_64 3
		.amdhsa_dx10_clamp 1
		.amdhsa_ieee_mode 1
		.amdhsa_fp16_overflow 0
		.amdhsa_workgroup_processor_mode 1
		.amdhsa_memory_ordered 1
		.amdhsa_forward_progress 1
		.amdhsa_shared_vgpr_count 0
		.amdhsa_exception_fp_ieee_invalid_op 0
		.amdhsa_exception_fp_denorm_src 0
		.amdhsa_exception_fp_ieee_div_zero 0
		.amdhsa_exception_fp_ieee_overflow 0
		.amdhsa_exception_fp_ieee_underflow 0
		.amdhsa_exception_fp_ieee_inexact 0
		.amdhsa_exception_int_div_zero 0
	.end_amdhsa_kernel
	.section	.text._ZL26rocblas_hemvn_kernel_upperILb1ELi64ELi4ELi33ELi32ELi16El19rocblas_complex_numIfEPKPKS1_PS1_EviT6_lT7_lT5_lS8_lS9_lS7_lT8_i,"axG",@progbits,_ZL26rocblas_hemvn_kernel_upperILb1ELi64ELi4ELi33ELi32ELi16El19rocblas_complex_numIfEPKPKS1_PS1_EviT6_lT7_lT5_lS8_lS9_lS7_lT8_i,comdat
.Lfunc_end36:
	.size	_ZL26rocblas_hemvn_kernel_upperILb1ELi64ELi4ELi33ELi32ELi16El19rocblas_complex_numIfEPKPKS1_PS1_EviT6_lT7_lT5_lS8_lS9_lS7_lT8_i, .Lfunc_end36-_ZL26rocblas_hemvn_kernel_upperILb1ELi64ELi4ELi33ELi32ELi16El19rocblas_complex_numIfEPKPKS1_PS1_EviT6_lT7_lT5_lS8_lS9_lS7_lT8_i
                                        ; -- End function
	.set _ZL26rocblas_hemvn_kernel_upperILb1ELi64ELi4ELi33ELi32ELi16El19rocblas_complex_numIfEPKPKS1_PS1_EviT6_lT7_lT5_lS8_lS9_lS7_lT8_i.num_vgpr, 160
	.set _ZL26rocblas_hemvn_kernel_upperILb1ELi64ELi4ELi33ELi32ELi16El19rocblas_complex_numIfEPKPKS1_PS1_EviT6_lT7_lT5_lS8_lS9_lS7_lT8_i.num_agpr, 0
	.set _ZL26rocblas_hemvn_kernel_upperILb1ELi64ELi4ELi33ELi32ELi16El19rocblas_complex_numIfEPKPKS1_PS1_EviT6_lT7_lT5_lS8_lS9_lS7_lT8_i.numbered_sgpr, 30
	.set _ZL26rocblas_hemvn_kernel_upperILb1ELi64ELi4ELi33ELi32ELi16El19rocblas_complex_numIfEPKPKS1_PS1_EviT6_lT7_lT5_lS8_lS9_lS7_lT8_i.num_named_barrier, 0
	.set _ZL26rocblas_hemvn_kernel_upperILb1ELi64ELi4ELi33ELi32ELi16El19rocblas_complex_numIfEPKPKS1_PS1_EviT6_lT7_lT5_lS8_lS9_lS7_lT8_i.private_seg_size, 0
	.set _ZL26rocblas_hemvn_kernel_upperILb1ELi64ELi4ELi33ELi32ELi16El19rocblas_complex_numIfEPKPKS1_PS1_EviT6_lT7_lT5_lS8_lS9_lS7_lT8_i.uses_vcc, 1
	.set _ZL26rocblas_hemvn_kernel_upperILb1ELi64ELi4ELi33ELi32ELi16El19rocblas_complex_numIfEPKPKS1_PS1_EviT6_lT7_lT5_lS8_lS9_lS7_lT8_i.uses_flat_scratch, 1
	.set _ZL26rocblas_hemvn_kernel_upperILb1ELi64ELi4ELi33ELi32ELi16El19rocblas_complex_numIfEPKPKS1_PS1_EviT6_lT7_lT5_lS8_lS9_lS7_lT8_i.has_dyn_sized_stack, 0
	.set _ZL26rocblas_hemvn_kernel_upperILb1ELi64ELi4ELi33ELi32ELi16El19rocblas_complex_numIfEPKPKS1_PS1_EviT6_lT7_lT5_lS8_lS9_lS7_lT8_i.has_recursion, 0
	.set _ZL26rocblas_hemvn_kernel_upperILb1ELi64ELi4ELi33ELi32ELi16El19rocblas_complex_numIfEPKPKS1_PS1_EviT6_lT7_lT5_lS8_lS9_lS7_lT8_i.has_indirect_call, 0
	.section	.AMDGPU.csdata,"",@progbits
; Kernel info:
; codeLenInByte = 10080
; TotalNumSgprs: 32
; NumVgprs: 160
; ScratchSize: 0
; MemoryBound: 1
; FloatMode: 240
; IeeeMode: 1
; LDSByteSize: 9600 bytes/workgroup (compile time only)
; SGPRBlocks: 0
; VGPRBlocks: 19
; NumSGPRsForWavesPerEU: 32
; NumVGPRsForWavesPerEU: 160
; Occupancy: 6
; WaveLimiterHint : 1
; COMPUTE_PGM_RSRC2:SCRATCH_EN: 0
; COMPUTE_PGM_RSRC2:USER_SGPR: 6
; COMPUTE_PGM_RSRC2:TRAP_HANDLER: 0
; COMPUTE_PGM_RSRC2:TGID_X_EN: 1
; COMPUTE_PGM_RSRC2:TGID_Y_EN: 0
; COMPUTE_PGM_RSRC2:TGID_Z_EN: 1
; COMPUTE_PGM_RSRC2:TIDIG_COMP_CNT: 1
	.section	.text._ZL36rocblas_hemvn_kernel_upper_block_sumILi64El19rocblas_complex_numIfEPKPS1_S1_EviT1_lS5_lT2_lT0_lPT3_i,"axG",@progbits,_ZL36rocblas_hemvn_kernel_upper_block_sumILi64El19rocblas_complex_numIfEPKPS1_S1_EviT1_lS5_lT2_lT0_lPT3_i,comdat
	.globl	_ZL36rocblas_hemvn_kernel_upper_block_sumILi64El19rocblas_complex_numIfEPKPS1_S1_EviT1_lS5_lT2_lT0_lPT3_i ; -- Begin function _ZL36rocblas_hemvn_kernel_upper_block_sumILi64El19rocblas_complex_numIfEPKPS1_S1_EviT1_lS5_lT2_lT0_lPT3_i
	.p2align	8
	.type	_ZL36rocblas_hemvn_kernel_upper_block_sumILi64El19rocblas_complex_numIfEPKPS1_S1_EviT1_lS5_lT2_lT0_lPT3_i,@function
_ZL36rocblas_hemvn_kernel_upper_block_sumILi64El19rocblas_complex_numIfEPKPS1_S1_EviT1_lS5_lT2_lT0_lPT3_i: ; @_ZL36rocblas_hemvn_kernel_upper_block_sumILi64El19rocblas_complex_numIfEPKPS1_S1_EviT1_lS5_lT2_lT0_lPT3_i
; %bb.0:
	s_clause 0x1
	s_load_dwordx4 s[8:11], s[4:5], 0x0
	s_load_dwordx2 s[12:13], s[4:5], 0x18
	s_mov_b32 s14, s7
	s_waitcnt lgkmcnt(0)
	s_or_b32 s0, s9, s10
	s_bitset0_b32 s0, 31
	s_cmp_eq_u32 s0, 0
	s_cselect_b32 s16, -1, 0
	s_cmp_lg_u32 s0, 0
	s_mov_b32 s0, -1
	s_cbranch_scc1 .LBB37_2
; %bb.1:
	v_cmp_neq_f32_e64 s0, s12, 1.0
	v_cmp_neq_f32_e64 s1, s13, 0
	s_or_b32 s0, s0, s1
.LBB37_2:
	s_andn2_b32 vcc_lo, exec_lo, s0
	s_cbranch_vccnz .LBB37_19
; %bb.3:
	s_clause 0x1
	s_load_dwordx2 s[18:19], s[4:5], 0x28
	s_load_dwordx4 s[0:3], s[4:5], 0x30
	s_mov_b32 s15, 0
	v_lshl_or_b32 v0, s6, 6, v0
	s_lshl_b64 s[20:21], s[14:15], 3
	s_waitcnt lgkmcnt(0)
	s_add_u32 s18, s18, s20
	s_addc_u32 s19, s19, s21
	s_lshl_b64 s[20:21], s[0:1], 3
	s_load_dwordx2 s[18:19], s[18:19], 0x0
	v_cmp_gt_i32_e64 s0, s8, v0
	s_mov_b32 s1, -1
	s_waitcnt lgkmcnt(0)
	s_add_u32 s7, s18, s20
	s_addc_u32 s11, s19, s21
	s_andn2_b32 vcc_lo, exec_lo, s16
	s_cbranch_vccnz .LBB37_9
; %bb.4:
	s_and_saveexec_b32 s1, s0
	s_cbranch_execz .LBB37_8
; %bb.5:
	v_ashrrev_i32_e32 v1, 31, v0
	v_mul_lo_u32 v3, s3, v0
	v_cmp_neq_f32_e64 s0, s12, 0
	v_cmp_neq_f32_e64 s15, s13, 0
	v_mul_lo_u32 v4, s2, v1
	v_mad_u64_u32 v[1:2], null, s2, v0, 0
	s_or_b32 s0, s0, s15
	s_andn2_b32 vcc_lo, exec_lo, s0
	v_add3_u32 v2, v2, v4, v3
	v_mov_b32_e32 v3, 0
	v_mov_b32_e32 v4, 0
	v_lshlrev_b64 v[1:2], 3, v[1:2]
	s_cbranch_vccnz .LBB37_7
; %bb.6:
	v_add_co_u32 v3, vcc_lo, s7, v1
	v_add_co_ci_u32_e64 v4, null, s11, v2, vcc_lo
	flat_load_dwordx2 v[5:6], v[3:4]
	s_waitcnt vmcnt(0) lgkmcnt(0)
	v_mul_f32_e32 v3, s13, v6
	v_mul_f32_e32 v4, s12, v6
	v_fma_f32 v3, v5, s12, -v3
	v_fmac_f32_e32 v4, s13, v5
.LBB37_7:
	v_add_co_u32 v1, vcc_lo, s7, v1
	v_add_co_ci_u32_e64 v2, null, s11, v2, vcc_lo
	flat_store_dwordx2 v[1:2], v[3:4]
.LBB37_8:
	s_or_b32 exec_lo, exec_lo, s1
	s_mov_b32 s1, 0
.LBB37_9:
	s_andn2_b32 vcc_lo, exec_lo, s1
	s_cbranch_vccnz .LBB37_19
; %bb.10:
	s_mov_b32 s0, exec_lo
	v_cmpx_gt_i32_e64 s8, v0
	s_cbranch_execz .LBB37_19
; %bb.11:
	v_ashrrev_i32_e32 v1, 31, v0
	v_mov_b32_e32 v4, 0
	v_mov_b32_e32 v5, 0
	s_cmp_lt_i32 s6, 0
	s_cbranch_scc1 .LBB37_14
; %bb.12:
	s_clause 0x1
	s_load_dword s16, s[4:5], 0x58
	s_load_dwordx2 s[0:1], s[4:5], 0x48
	s_ashr_i32 s15, s8, 31
	s_mul_hi_u32 s4, s8, s14
	s_mul_i32 s5, s15, s14
	v_lshlrev_b64 v[2:3], 3, v[0:1]
	s_add_i32 s4, s4, s5
	s_mul_i32 s5, s8, s14
	v_mov_b32_e32 v4, 0
	v_mov_b32_e32 v5, 0
	s_waitcnt lgkmcnt(0)
	s_mul_i32 s14, s4, s16
	s_mul_hi_u32 s17, s5, s16
	s_mul_i32 s4, s5, s16
	s_add_i32 s5, s17, s14
	s_mov_b32 s14, s8
	s_lshl_b64 s[16:17], s[4:5], 3
	s_add_i32 s4, s6, 1
	s_add_u32 s0, s0, s16
	s_addc_u32 s1, s1, s17
	v_add_co_u32 v2, vcc_lo, s0, v2
	v_add_co_ci_u32_e64 v3, null, s1, v3, vcc_lo
	s_lshl_b64 s[0:1], s[14:15], 3
	v_add_co_u32 v2, vcc_lo, v2, 4
	v_add_co_ci_u32_e64 v3, null, 0, v3, vcc_lo
.LBB37_13:                              ; =>This Inner Loop Header: Depth=1
	global_load_dwordx2 v[6:7], v[2:3], off offset:-4
	v_add_co_u32 v2, vcc_lo, v2, s0
	v_add_co_ci_u32_e64 v3, null, s1, v3, vcc_lo
	s_add_i32 s4, s4, -1
	s_cmp_eq_u32 s4, 0
	s_waitcnt vmcnt(0)
	v_add_f32_e32 v5, v5, v6
	v_add_f32_e32 v4, v4, v7
	s_cbranch_scc0 .LBB37_13
.LBB37_14:
	v_mul_f32_e32 v3, s10, v4
	v_mul_f32_e32 v2, s9, v4
	v_cmp_neq_f32_e64 s0, s12, 0
	v_cmp_neq_f32_e64 s1, s13, 0
	v_mul_lo_u32 v6, s3, v0
	v_mul_lo_u32 v7, s2, v1
	v_fma_f32 v1, v5, s9, -v3
	v_fmac_f32_e32 v2, s10, v5
	s_or_b32 s0, s0, s1
	s_andn2_b32 vcc_lo, exec_lo, s0
	s_mov_b32 s0, 0
	s_cbranch_vccz .LBB37_16
; %bb.15:
	v_mad_u64_u32 v[3:4], null, s2, v0, 0
	v_add3_u32 v4, v4, v7, v6
	s_andn2_b32 vcc_lo, exec_lo, s0
	s_cbranch_vccz .LBB37_17
	s_branch .LBB37_18
.LBB37_16:
                                        ; implicit-def: $vgpr3_vgpr4
.LBB37_17:
	v_mad_u64_u32 v[3:4], null, s2, v0, 0
	v_add3_u32 v4, v4, v7, v6
	v_lshlrev_b64 v[5:6], 3, v[3:4]
	v_add_co_u32 v5, vcc_lo, s7, v5
	v_add_co_ci_u32_e64 v6, null, s11, v6, vcc_lo
	flat_load_dwordx2 v[5:6], v[5:6]
	s_waitcnt vmcnt(0) lgkmcnt(0)
	v_mul_f32_e32 v0, s13, v6
	v_mul_f32_e32 v6, s12, v6
	v_fma_f32 v0, v5, s12, -v0
	v_fmac_f32_e32 v6, s13, v5
	v_add_f32_e32 v1, v1, v0
	v_add_f32_e32 v2, v2, v6
.LBB37_18:
	v_lshlrev_b64 v[3:4], 3, v[3:4]
	v_add_co_u32 v3, vcc_lo, s7, v3
	v_add_co_ci_u32_e64 v4, null, s11, v4, vcc_lo
	flat_store_dwordx2 v[3:4], v[1:2]
.LBB37_19:
	s_endpgm
	.section	.rodata,"a",@progbits
	.p2align	6, 0x0
	.amdhsa_kernel _ZL36rocblas_hemvn_kernel_upper_block_sumILi64El19rocblas_complex_numIfEPKPS1_S1_EviT1_lS5_lT2_lT0_lPT3_i
		.amdhsa_group_segment_fixed_size 0
		.amdhsa_private_segment_fixed_size 0
		.amdhsa_kernarg_size 344
		.amdhsa_user_sgpr_count 6
		.amdhsa_user_sgpr_private_segment_buffer 1
		.amdhsa_user_sgpr_dispatch_ptr 0
		.amdhsa_user_sgpr_queue_ptr 0
		.amdhsa_user_sgpr_kernarg_segment_ptr 1
		.amdhsa_user_sgpr_dispatch_id 0
		.amdhsa_user_sgpr_flat_scratch_init 0
		.amdhsa_user_sgpr_private_segment_size 0
		.amdhsa_wavefront_size32 1
		.amdhsa_uses_dynamic_stack 0
		.amdhsa_system_sgpr_private_segment_wavefront_offset 0
		.amdhsa_system_sgpr_workgroup_id_x 1
		.amdhsa_system_sgpr_workgroup_id_y 0
		.amdhsa_system_sgpr_workgroup_id_z 1
		.amdhsa_system_sgpr_workgroup_info 0
		.amdhsa_system_vgpr_workitem_id 0
		.amdhsa_next_free_vgpr 8
		.amdhsa_next_free_sgpr 22
		.amdhsa_reserve_vcc 1
		.amdhsa_reserve_flat_scratch 0
		.amdhsa_float_round_mode_32 0
		.amdhsa_float_round_mode_16_64 0
		.amdhsa_float_denorm_mode_32 3
		.amdhsa_float_denorm_mode_16_64 3
		.amdhsa_dx10_clamp 1
		.amdhsa_ieee_mode 1
		.amdhsa_fp16_overflow 0
		.amdhsa_workgroup_processor_mode 1
		.amdhsa_memory_ordered 1
		.amdhsa_forward_progress 1
		.amdhsa_shared_vgpr_count 0
		.amdhsa_exception_fp_ieee_invalid_op 0
		.amdhsa_exception_fp_denorm_src 0
		.amdhsa_exception_fp_ieee_div_zero 0
		.amdhsa_exception_fp_ieee_overflow 0
		.amdhsa_exception_fp_ieee_underflow 0
		.amdhsa_exception_fp_ieee_inexact 0
		.amdhsa_exception_int_div_zero 0
	.end_amdhsa_kernel
	.section	.text._ZL36rocblas_hemvn_kernel_upper_block_sumILi64El19rocblas_complex_numIfEPKPS1_S1_EviT1_lS5_lT2_lT0_lPT3_i,"axG",@progbits,_ZL36rocblas_hemvn_kernel_upper_block_sumILi64El19rocblas_complex_numIfEPKPS1_S1_EviT1_lS5_lT2_lT0_lPT3_i,comdat
.Lfunc_end37:
	.size	_ZL36rocblas_hemvn_kernel_upper_block_sumILi64El19rocblas_complex_numIfEPKPS1_S1_EviT1_lS5_lT2_lT0_lPT3_i, .Lfunc_end37-_ZL36rocblas_hemvn_kernel_upper_block_sumILi64El19rocblas_complex_numIfEPKPS1_S1_EviT1_lS5_lT2_lT0_lPT3_i
                                        ; -- End function
	.set _ZL36rocblas_hemvn_kernel_upper_block_sumILi64El19rocblas_complex_numIfEPKPS1_S1_EviT1_lS5_lT2_lT0_lPT3_i.num_vgpr, 8
	.set _ZL36rocblas_hemvn_kernel_upper_block_sumILi64El19rocblas_complex_numIfEPKPS1_S1_EviT1_lS5_lT2_lT0_lPT3_i.num_agpr, 0
	.set _ZL36rocblas_hemvn_kernel_upper_block_sumILi64El19rocblas_complex_numIfEPKPS1_S1_EviT1_lS5_lT2_lT0_lPT3_i.numbered_sgpr, 22
	.set _ZL36rocblas_hemvn_kernel_upper_block_sumILi64El19rocblas_complex_numIfEPKPS1_S1_EviT1_lS5_lT2_lT0_lPT3_i.num_named_barrier, 0
	.set _ZL36rocblas_hemvn_kernel_upper_block_sumILi64El19rocblas_complex_numIfEPKPS1_S1_EviT1_lS5_lT2_lT0_lPT3_i.private_seg_size, 0
	.set _ZL36rocblas_hemvn_kernel_upper_block_sumILi64El19rocblas_complex_numIfEPKPS1_S1_EviT1_lS5_lT2_lT0_lPT3_i.uses_vcc, 1
	.set _ZL36rocblas_hemvn_kernel_upper_block_sumILi64El19rocblas_complex_numIfEPKPS1_S1_EviT1_lS5_lT2_lT0_lPT3_i.uses_flat_scratch, 0
	.set _ZL36rocblas_hemvn_kernel_upper_block_sumILi64El19rocblas_complex_numIfEPKPS1_S1_EviT1_lS5_lT2_lT0_lPT3_i.has_dyn_sized_stack, 0
	.set _ZL36rocblas_hemvn_kernel_upper_block_sumILi64El19rocblas_complex_numIfEPKPS1_S1_EviT1_lS5_lT2_lT0_lPT3_i.has_recursion, 0
	.set _ZL36rocblas_hemvn_kernel_upper_block_sumILi64El19rocblas_complex_numIfEPKPS1_S1_EviT1_lS5_lT2_lT0_lPT3_i.has_indirect_call, 0
	.section	.AMDGPU.csdata,"",@progbits
; Kernel info:
; codeLenInByte = 780
; TotalNumSgprs: 24
; NumVgprs: 8
; ScratchSize: 0
; MemoryBound: 0
; FloatMode: 240
; IeeeMode: 1
; LDSByteSize: 0 bytes/workgroup (compile time only)
; SGPRBlocks: 0
; VGPRBlocks: 0
; NumSGPRsForWavesPerEU: 24
; NumVGPRsForWavesPerEU: 8
; Occupancy: 16
; WaveLimiterHint : 1
; COMPUTE_PGM_RSRC2:SCRATCH_EN: 0
; COMPUTE_PGM_RSRC2:USER_SGPR: 6
; COMPUTE_PGM_RSRC2:TRAP_HANDLER: 0
; COMPUTE_PGM_RSRC2:TGID_X_EN: 1
; COMPUTE_PGM_RSRC2:TGID_Y_EN: 0
; COMPUTE_PGM_RSRC2:TGID_Z_EN: 1
; COMPUTE_PGM_RSRC2:TIDIG_COMP_CNT: 0
	.section	.text._ZL26rocblas_hemvn_kernel_upperILb1ELi64ELi4ELi33ELi32ELi16Ei19rocblas_complex_numIfEPKPKS1_PS1_EviT6_lT7_lT5_lS8_lS9_lS7_lT8_i,"axG",@progbits,_ZL26rocblas_hemvn_kernel_upperILb1ELi64ELi4ELi33ELi32ELi16Ei19rocblas_complex_numIfEPKPKS1_PS1_EviT6_lT7_lT5_lS8_lS9_lS7_lT8_i,comdat
	.globl	_ZL26rocblas_hemvn_kernel_upperILb1ELi64ELi4ELi33ELi32ELi16Ei19rocblas_complex_numIfEPKPKS1_PS1_EviT6_lT7_lT5_lS8_lS9_lS7_lT8_i ; -- Begin function _ZL26rocblas_hemvn_kernel_upperILb1ELi64ELi4ELi33ELi32ELi16Ei19rocblas_complex_numIfEPKPKS1_PS1_EviT6_lT7_lT5_lS8_lS9_lS7_lT8_i
	.p2align	8
	.type	_ZL26rocblas_hemvn_kernel_upperILb1ELi64ELi4ELi33ELi32ELi16Ei19rocblas_complex_numIfEPKPKS1_PS1_EviT6_lT7_lT5_lS8_lS9_lS7_lT8_i,@function
_ZL26rocblas_hemvn_kernel_upperILb1ELi64ELi4ELi33ELi32ELi16Ei19rocblas_complex_numIfEPKPKS1_PS1_EviT6_lT7_lT5_lS8_lS9_lS7_lT8_i: ; @_ZL26rocblas_hemvn_kernel_upperILb1ELi64ELi4ELi33ELi32ELi16Ei19rocblas_complex_numIfEPKPKS1_PS1_EviT6_lT7_lT5_lS8_lS9_lS7_lT8_i
; %bb.0:
	s_load_dwordx2 s[0:1], s[4:5], 0x84
	s_add_u32 s8, s4, 0x78
	s_addc_u32 s9, s5, 0
	s_waitcnt lgkmcnt(0)
	s_lshr_b32 s2, s0, 16
	s_and_b32 s0, s0, 0xffff
	s_and_b32 s1, s1, 0xffff
	s_mul_i32 s0, s2, s0
	s_mul_i32 s0, s0, s1
	s_cmpk_lg_i32 s0, 0x100
	s_cbranch_scc1 .LBB38_201
; %bb.1:
	s_load_dwordx2 s[0:1], s[4:5], 0x4
	s_mov_b32 s12, s7
	s_waitcnt lgkmcnt(0)
	s_or_b32 s0, s0, s1
	s_bitset0_b32 s0, 31
	s_cmp_lg_u32 s0, 0
	s_mov_b32 s0, -1
	s_cbranch_scc1 .LBB38_3
; %bb.2:
	s_load_dwordx2 s[0:1], s[4:5], 0x58
	s_waitcnt lgkmcnt(0)
	v_cmp_eq_f32_e64 s0, s0, 1.0
	v_cmp_eq_f32_e64 s1, s1, 0
	s_and_b32 s0, s0, s1
	s_andn2_b32 vcc_lo, exec_lo, s0
	s_mov_b32 s0, 0
.LBB38_3:
	s_andn2_b32 vcc_lo, exec_lo, s0
	s_cbranch_vccnz .LBB38_201
; %bb.4:
	s_clause 0x1
	s_load_dwordx4 s[0:3], s[4:5], 0x18
	s_load_dwordx4 s[16:19], s[4:5], 0x38
	s_mov_b32 s13, 0
	s_lshl_b64 s[10:11], s[12:13], 3
	s_load_dword s13, s[4:5], 0x48
	s_waitcnt lgkmcnt(0)
	s_add_u32 s0, s0, s10
	s_addc_u32 s1, s1, s11
	s_add_u32 s10, s16, s10
	s_addc_u32 s11, s17, s11
	s_lshl_b64 s[14:15], s[18:19], 3
	s_load_dwordx2 s[10:11], s[10:11], 0x0
	s_load_dword s27, s[4:5], 0x0
	s_load_dword s24, s[8:9], 0x0
	s_load_dwordx2 s[8:9], s[0:1], 0x0
	s_waitcnt lgkmcnt(0)
	s_add_u32 s7, s10, s14
	s_addc_u32 s10, s11, s15
	s_lshl_b32 s16, s6, 6
	s_ashr_i32 s28, s27, 31
	v_add_nc_u32_e32 v58, s16, v0
	s_lshr_b32 s0, s28, 26
	s_add_i32 s1, s24, -1
	s_add_i32 s0, s27, s0
	v_mul_lo_u32 v2, s13, v58
	s_andn2_b32 s0, s0, 63
	s_sub_i32 s25, s27, s0
	v_cmp_eq_u32_e64 s0, 0, v1
	s_cmp_eq_u32 s6, s1
	v_ashrrev_i32_e32 v3, 31, v2
	v_lshlrev_b64 v[2:3], 3, v[2:3]
	v_add_co_u32 v16, vcc_lo, s7, v2
	v_add_co_ci_u32_e64 v17, null, s10, v3, vcc_lo
	s_mov_b32 s7, -1
	s_cselect_b32 s10, s25, 0
	s_and_saveexec_b32 s1, s0
	s_cbranch_execz .LBB38_9
; %bb.5:
	v_cmp_le_i32_e32 vcc_lo, s10, v0
	s_cmp_lg_u32 s10, 0
	v_lshl_add_u32 v2, v0, 3, 0x2380
	s_cselect_b32 s11, -1, 0
	s_and_b32 s11, s11, vcc_lo
	s_and_saveexec_b32 s14, s11
	s_xor_b32 s11, exec_lo, s14
; %bb.6:
	v_mov_b32_e32 v3, 0
	v_mov_b32_e32 v4, v3
	ds_write_b64 v2, v[3:4]
                                        ; implicit-def: $vgpr2
; %bb.7:
	s_andn2_saveexec_b32 s11, s11
	s_cbranch_execz .LBB38_9
; %bb.8:
	flat_load_dwordx2 v[3:4], v[16:17]
	s_waitcnt vmcnt(0) lgkmcnt(0)
	ds_write_b64 v2, v[3:4]
.LBB38_9:
	s_or_b32 exec_lo, exec_lo, s1
	s_load_dword s14, s[4:5], 0x28
	v_lshl_add_u32 v24, v1, 6, v0
	v_and_b32_e32 v2, 31, v0
	s_lshl_b64 s[2:3], s[2:3], 3
	s_add_u32 s1, s8, s2
	v_lshrrev_b32_e32 v9, 5, v24
	s_addc_u32 s8, s9, s3
	s_ashr_i32 s17, s16, 31
	v_lshlrev_b32_e32 v10, 3, v2
	s_lshl_b64 s[2:3], s[16:17], 3
	v_mul_u32_u24_e32 v11, 0x108, v9
	s_add_u32 s9, s1, s2
	s_addc_u32 s8, s8, s3
	v_cmp_gt_i32_e64 s1, s10, v2
	s_waitcnt lgkmcnt(0)
	v_mad_u64_u32 v[3:4], null, s14, v9, v[2:3]
	s_mul_i32 s2, s14, s16
	s_ashr_i32 s3, s2, 31
	s_lshl_b64 s[2:3], s[2:3], 3
	s_cmp_eq_u32 s10, 0
	v_ashrrev_i32_e32 v4, 31, v3
	s_cselect_b32 s26, -1, 0
	s_cmp_lg_u32 s10, 0
	s_cselect_b32 s17, -1, 0
	v_lshlrev_b64 v[14:15], 3, v[3:4]
	v_add_co_u32 v3, vcc_lo, s9, v14
	v_add_co_ci_u32_e64 v4, null, s8, v15, vcc_lo
	s_and_b32 vcc_lo, exec_lo, s17
	v_add_co_u32 v5, s2, v3, s2
	v_add_co_ci_u32_e64 v6, null, s3, v4, s2
                                        ; implicit-def: $vgpr3_vgpr4
	s_cbranch_vccz .LBB38_27
; %bb.10:
	v_sub_co_u32 v3, vcc_lo, v5, v10
	s_ashr_i32 s11, s10, 31
	v_subrev_co_ci_u32_e64 v4, null, 0, v6, vcc_lo
	s_lshl_b64 s[2:3], s[10:11], 3
	v_add_nc_u32_e32 v7, v10, v11
	v_add_co_u32 v3, vcc_lo, v3, s2
	v_add_co_ci_u32_e64 v4, null, s3, v4, vcc_lo
	s_mov_b32 s7, exec_lo
	v_add_co_u32 v3, vcc_lo, v3, -8
	v_add_co_ci_u32_e64 v4, null, -1, v4, vcc_lo
	v_cndmask_b32_e64 v3, v3, v5, s1
	v_cndmask_b32_e64 v4, v4, v6, s1
	v_cmpx_le_i32_e64 s10, v9
	s_xor_b32 s7, exec_lo, s7
; %bb.11:
	v_mov_b32_e32 v12, 0
	v_mov_b32_e32 v13, v12
	ds_write_b64 v7, v[12:13]
; %bb.12:
	s_andn2_saveexec_b32 s7, s7
	s_cbranch_execz .LBB38_14
; %bb.13:
	flat_load_dwordx2 v[12:13], v[3:4]
	s_waitcnt vmcnt(0) lgkmcnt(0)
	ds_write_b64 v7, v[12:13]
.LBB38_14:
	s_or_b32 exec_lo, exec_lo, s7
	v_add_nc_u32_e32 v8, 8, v9
	s_mov_b32 s7, exec_lo
	v_cmpx_le_i32_e64 s10, v8
	s_xor_b32 s7, exec_lo, s7
; %bb.15:
	v_mov_b32_e32 v12, 0
	v_mov_b32_e32 v13, v12
	ds_write_b64 v7, v[12:13] offset:2112
; %bb.16:
	s_andn2_saveexec_b32 s7, s7
	s_cbranch_execz .LBB38_18
; %bb.17:
	s_lshl_b32 s8, s14, 3
	s_ashr_i32 s9, s8, 31
	s_lshl_b64 s[8:9], s[8:9], 3
	v_add_co_u32 v12, vcc_lo, v3, s8
	v_add_co_ci_u32_e64 v13, null, s9, v4, vcc_lo
	flat_load_dwordx2 v[12:13], v[12:13]
	s_waitcnt vmcnt(0) lgkmcnt(0)
	ds_write_b64 v7, v[12:13] offset:2112
.LBB38_18:
	s_or_b32 exec_lo, exec_lo, s7
	v_add_nc_u32_e32 v8, 16, v9
	s_mov_b32 s7, exec_lo
	v_cmpx_le_i32_e64 s10, v8
	s_xor_b32 s7, exec_lo, s7
; %bb.19:
	v_mov_b32_e32 v12, 0
	v_mov_b32_e32 v13, v12
	ds_write_b64 v7, v[12:13] offset:4224
; %bb.20:
	s_andn2_saveexec_b32 s7, s7
	s_cbranch_execz .LBB38_22
; %bb.21:
	s_lshl_b32 s8, s14, 4
	s_ashr_i32 s9, s8, 31
	s_lshl_b64 s[8:9], s[8:9], 3
	v_add_co_u32 v12, vcc_lo, v3, s8
	v_add_co_ci_u32_e64 v13, null, s9, v4, vcc_lo
	flat_load_dwordx2 v[12:13], v[12:13]
	s_waitcnt vmcnt(0) lgkmcnt(0)
	ds_write_b64 v7, v[12:13] offset:4224
.LBB38_22:
	s_or_b32 exec_lo, exec_lo, s7
	v_add_nc_u32_e32 v8, 24, v9
	s_mov_b32 s7, exec_lo
	v_cmpx_le_i32_e64 s10, v8
	s_xor_b32 s7, exec_lo, s7
; %bb.23:
	v_mov_b32_e32 v12, 0
	v_mov_b32_e32 v13, v12
	ds_write_b64 v7, v[12:13] offset:6336
                                        ; implicit-def: $vgpr7
; %bb.24:
	s_andn2_saveexec_b32 s7, s7
	s_cbranch_execz .LBB38_26
; %bb.25:
	s_mul_i32 s8, s14, 24
	s_ashr_i32 s9, s8, 31
	s_lshl_b64 s[8:9], s[8:9], 3
	v_add_co_u32 v12, vcc_lo, v3, s8
	v_add_co_ci_u32_e64 v13, null, s9, v4, vcc_lo
	flat_load_dwordx2 v[12:13], v[12:13]
	s_waitcnt vmcnt(0) lgkmcnt(0)
	ds_write_b64 v7, v[12:13] offset:6336
.LBB38_26:
	s_or_b32 exec_lo, exec_lo, s7
	v_add_co_u32 v3, vcc_lo, v3, v10
	v_add_co_ci_u32_e64 v4, null, 0, v4, vcc_lo
	s_mov_b32 s7, 0
	v_sub_co_u32 v3, vcc_lo, v3, s2
	v_subrev_co_ci_u32_e64 v4, null, s3, v4, vcc_lo
	v_add_co_u32 v3, vcc_lo, v3, 8
	v_add_co_ci_u32_e64 v4, null, 0, v4, vcc_lo
	v_cndmask_b32_e64 v3, v3, v5, s1
	v_cndmask_b32_e64 v4, v4, v6, s1
.LBB38_27:
	s_and_b32 vcc_lo, exec_lo, s7
	s_cbranch_vccz .LBB38_29
; %bb.28:
	s_lshl_b32 s2, s14, 3
	s_ashr_i32 s15, s14, 31
	s_ashr_i32 s3, s2, 31
	v_lshl_add_u32 v22, v2, 3, v11
	s_lshl_b64 s[2:3], s[2:3], 3
	v_add_co_u32 v3, vcc_lo, v5, s2
	v_add_co_ci_u32_e64 v4, null, s3, v6, vcc_lo
	s_lshl_b64 s[2:3], s[14:15], 6
	v_add_co_u32 v7, vcc_lo, v3, s2
	v_add_co_ci_u32_e64 v8, null, s3, v4, vcc_lo
	v_add_co_u32 v12, vcc_lo, v7, s2
	v_add_co_ci_u32_e64 v13, null, s3, v8, vcc_lo
	s_clause 0x3
	flat_load_dwordx2 v[18:19], v[5:6]
	flat_load_dwordx2 v[20:21], v[3:4]
	;; [unrolled: 1-line block ×4, first 2 shown]
	v_mov_b32_e32 v3, v5
	v_mov_b32_e32 v4, v6
	s_waitcnt vmcnt(3) lgkmcnt(3)
	ds_write_b64 v22, v[18:19]
	s_waitcnt vmcnt(2) lgkmcnt(3)
	ds_write_b64 v22, v[20:21] offset:2112
	s_waitcnt vmcnt(1) lgkmcnt(3)
	ds_write_b64 v22, v[7:8] offset:4224
	;; [unrolled: 2-line block ×3, first 2 shown]
.LBB38_29:
	v_lshlrev_b32_e32 v13, 2, v9
	v_mul_u32_u24_e32 v12, 0x108, v2
	s_mov_b32 s1, 0
	s_waitcnt lgkmcnt(0)
	s_barrier
	v_cmp_le_u32_e64 s2, v13, v2
	buffer_gl0_inv
                                        ; implicit-def: $vgpr6
	s_and_saveexec_b32 s3, s2
	s_xor_b32 s3, exec_lo, s3
	s_cbranch_execz .LBB38_33
; %bb.30:
	s_mov_b32 s7, exec_lo
                                        ; implicit-def: $vgpr6
	v_cmpx_eq_u32_e64 v13, v2
	s_xor_b32 s7, exec_lo, s7
; %bb.31:
	s_mov_b32 s1, exec_lo
	v_add_nc_u32_e32 v6, v10, v12
; %bb.32:
	s_or_b32 exec_lo, exec_lo, s7
	s_and_b32 s1, s1, exec_lo
.LBB38_33:
	s_or_saveexec_b32 s3, s3
	v_lshl_or_b32 v7, v2, 8, v10
	v_mov_b32_e32 v8, 0
	v_mad_u32_u24 v5, 0x420, v9, v10
	v_lshl_add_u32 v7, v13, 3, v7
	s_xor_b32 exec_lo, exec_lo, s3
	s_cbranch_execz .LBB38_35
; %bb.34:
	ds_read_b64 v[18:19], v5
	v_mov_b32_e32 v6, v7
	s_or_b32 s1, s1, exec_lo
	s_waitcnt lgkmcnt(0)
	v_xor_b32_e32 v8, 0x80000000, v19
	ds_write_b32 v7, v18
.LBB38_35:
	s_or_b32 exec_lo, exec_lo, s3
	s_and_saveexec_b32 s3, s1
; %bb.36:
	ds_write_b32 v6, v8 offset:4
; %bb.37:
	s_or_b32 exec_lo, exec_lo, s3
	v_or_b32_e32 v18, 1, v13
	v_cmp_ge_u32_e64 s3, v13, v2
	s_mov_b32 s1, 0
                                        ; implicit-def: $vgpr19
                                        ; implicit-def: $vgpr8
	v_mad_u32_u24 v6, 0x108, v18, v10
	s_and_saveexec_b32 s7, s3
	s_xor_b32 s7, exec_lo, s7
	s_cbranch_execz .LBB38_73
; %bb.38:
	ds_read_b64 v[20:21], v6
	s_mov_b32 s1, exec_lo
	v_add_nc_u32_e32 v8, 8, v7
	s_waitcnt lgkmcnt(0)
	v_xor_b32_e32 v19, 0x80000000, v21
	ds_write_b32 v7, v20 offset:8
	s_andn2_saveexec_b32 s7, s7
	s_cbranch_execnz .LBB38_74
.LBB38_39:
	s_or_b32 exec_lo, exec_lo, s7
	s_and_saveexec_b32 s7, s1
.LBB38_40:
	ds_write_b32 v8, v19 offset:4
.LBB38_41:
	s_or_b32 exec_lo, exec_lo, s7
	v_or_b32_e32 v19, 2, v13
	s_mov_b32 s1, 0
                                        ; implicit-def: $vgpr8
	v_cmp_le_u32_e64 s7, v19, v2
	s_and_saveexec_b32 s8, s7
	s_xor_b32 s8, exec_lo, s8
	s_cbranch_execz .LBB38_77
; %bb.42:
	s_mov_b32 s9, exec_lo
                                        ; implicit-def: $vgpr8
	v_cmpx_eq_u32_e64 v19, v2
; %bb.43:
	v_add_nc_u32_e32 v8, v10, v12
	s_mov_b32 s1, exec_lo
; %bb.44:
	s_or_b32 exec_lo, exec_lo, s9
	s_and_b32 s1, s1, exec_lo
	s_or_saveexec_b32 s8, s8
	v_mov_b32_e32 v20, 0
	s_xor_b32 exec_lo, exec_lo, s8
	s_cbranch_execnz .LBB38_78
.LBB38_45:
	s_or_b32 exec_lo, exec_lo, s8
	s_and_saveexec_b32 s8, s1
.LBB38_46:
	ds_write_b32 v8, v20 offset:4
.LBB38_47:
	s_or_b32 exec_lo, exec_lo, s8
	v_or_b32_e32 v21, 3, v13
	s_mov_b32 s1, 0
                                        ; implicit-def: $vgpr8
	v_cmp_le_u32_e64 s8, v21, v2
	s_and_saveexec_b32 s9, s8
	s_xor_b32 s9, exec_lo, s9
	s_cbranch_execz .LBB38_79
; %bb.48:
	s_mov_b32 s11, exec_lo
                                        ; implicit-def: $vgpr8
	v_cmpx_eq_u32_e64 v21, v2
; %bb.49:
	v_add_nc_u32_e32 v8, v10, v12
	s_mov_b32 s1, exec_lo
; %bb.50:
	s_or_b32 exec_lo, exec_lo, s11
	s_and_b32 s1, s1, exec_lo
                                        ; implicit-def: $vgpr7
	s_or_saveexec_b32 s9, s9
	v_mov_b32_e32 v20, 0
	s_xor_b32 exec_lo, exec_lo, s9
	s_cbranch_execnz .LBB38_80
.LBB38_51:
	s_or_b32 exec_lo, exec_lo, s9
	s_and_saveexec_b32 s9, s1
.LBB38_52:
	ds_write_b32 v8, v20 offset:4
.LBB38_53:
	s_or_b32 exec_lo, exec_lo, s9
	v_lshlrev_b32_e32 v23, 3, v13
	s_waitcnt lgkmcnt(0)
	s_barrier
	buffer_gl0_inv
	ds_read_b64 v[7:8], v5
	ds_read_b128 v[25:28], v23 offset:9088
	ds_read2_b64 v[29:32], v6 offset1:33
	ds_read_b128 v[33:36], v23 offset:9104
	ds_read_b64 v[5:6], v6 offset:528
	v_mul_u32_u24_e32 v20, 33, v2
	v_mov_b32_e32 v59, 0
	v_cmp_gt_u32_e64 s1, 32, v24
	v_mov_b32_e32 v60, 0
	s_waitcnt lgkmcnt(0)
	s_barrier
	buffer_gl0_inv
	v_mul_f32_e32 v22, v26, v8
	v_mul_f32_e32 v8, v25, v8
	;; [unrolled: 1-line block ×5, first 2 shown]
	v_fma_f32 v22, v25, v7, -v22
	v_fmac_f32_e32 v8, v26, v7
	v_mul_f32_e32 v32, v33, v32
	v_fma_f32 v25, v27, v29, -v37
	v_fmac_f32_e32 v30, v28, v29
	v_add_f32_e32 v22, 0, v22
	v_add_f32_e32 v8, 0, v8
	v_mul_f32_e32 v7, v36, v6
	v_mul_f32_e32 v6, v35, v6
	v_fma_f32 v26, v33, v31, -v38
	v_fmac_f32_e32 v32, v34, v31
	v_add_f32_e32 v22, v22, v25
	v_add_f32_e32 v8, v8, v30
	v_lshlrev_b32_e32 v25, 3, v20
	v_fma_f32 v7, v35, v5, -v7
	v_fmac_f32_e32 v6, v36, v5
	v_add_f32_e32 v5, v22, v26
	v_add_f32_e32 v8, v8, v32
	v_lshl_add_u32 v26, v9, 3, v25
	v_add_f32_e32 v5, v5, v7
	v_add_f32_e32 v6, v8, v6
	ds_write_b64 v26, v[5:6]
	s_waitcnt lgkmcnt(0)
	s_barrier
	buffer_gl0_inv
	s_and_saveexec_b32 s9, s1
	s_cbranch_execz .LBB38_55
; %bb.54:
	ds_read2_b64 v[5:8], v25 offset1:7
	ds_read2_b64 v[27:30], v25 offset0:1 offset1:2
	ds_read2_b64 v[31:34], v25 offset0:3 offset1:4
	;; [unrolled: 1-line block ×3, first 2 shown]
	s_waitcnt lgkmcnt(2)
	v_add_f32_e32 v5, v27, v5
	v_add_f32_e32 v6, v28, v6
	v_add_f32_e32 v5, v29, v5
	v_add_f32_e32 v6, v30, v6
	s_waitcnt lgkmcnt(1)
	v_add_f32_e32 v5, v5, v31
	v_add_f32_e32 v6, v6, v32
	v_add_f32_e32 v5, v5, v33
	v_add_f32_e32 v6, v6, v34
	;; [unrolled: 5-line block ×3, first 2 shown]
	v_add_f32_e32 v59, v5, v7
	v_add_f32_e32 v60, v6, v8
.LBB38_55:
	s_or_b32 exec_lo, exec_lo, s9
	s_lshl_b32 s20, s14, 5
	s_ashr_i32 s21, s20, 31
	s_barrier
	s_lshl_b64 s[18:19], s[20:21], 3
	buffer_gl0_inv
	v_add_co_u32 v7, vcc_lo, v3, s18
	v_add_co_ci_u32_e64 v8, null, s19, v4, vcc_lo
	v_add_co_u32 v5, vcc_lo, 0x100, v7
	v_add_co_ci_u32_e64 v6, null, 0, v8, vcc_lo
	s_and_b32 vcc_lo, exec_lo, s17
	s_cbranch_vccz .LBB38_81
; %bb.56:
	v_sub_co_u32 v3, vcc_lo, v7, v10
	s_ashr_i32 s11, s10, 31
	v_subrev_co_ci_u32_e64 v4, null, 0, v8, vcc_lo
	s_lshl_b64 s[22:23], s[10:11], 3
	v_or_b32_e32 v20, 32, v2
	v_add_co_u32 v3, vcc_lo, v3, s22
	v_add_co_ci_u32_e64 v4, null, s23, v4, vcc_lo
	s_sub_i32 s11, s10, 32
	v_add_co_u32 v3, vcc_lo, v3, -8
	v_add_co_ci_u32_e64 v4, null, -1, v4, vcc_lo
	v_cmp_gt_i32_e32 vcc_lo, s10, v20
	v_cmp_le_i32_e64 s9, s11, v9
	v_add_nc_u32_e32 v20, v10, v11
	v_cndmask_b32_e32 v4, v4, v6, vcc_lo
	v_cndmask_b32_e32 v3, v3, v5, vcc_lo
	s_and_saveexec_b32 s15, s9
	s_xor_b32 s9, exec_lo, s15
; %bb.57:
	v_mov_b32_e32 v27, 0
	v_mov_b32_e32 v28, v27
	ds_write_b64 v20, v[27:28]
; %bb.58:
	s_andn2_saveexec_b32 s9, s9
	s_cbranch_execz .LBB38_60
; %bb.59:
	flat_load_dwordx2 v[27:28], v[3:4]
	s_waitcnt vmcnt(0) lgkmcnt(0)
	ds_write_b64 v20, v[27:28]
.LBB38_60:
	s_or_b32 exec_lo, exec_lo, s9
	v_add_nc_u32_e32 v22, 8, v9
	v_cmp_le_i32_e64 s9, s11, v22
	s_and_saveexec_b32 s15, s9
	s_xor_b32 s9, exec_lo, s15
; %bb.61:
	v_mov_b32_e32 v27, 0
	v_mov_b32_e32 v28, v27
	ds_write_b64 v20, v[27:28] offset:2112
; %bb.62:
	s_andn2_saveexec_b32 s15, s9
	s_cbranch_execz .LBB38_64
; %bb.63:
	s_lshl_b32 s30, s14, 3
	s_ashr_i32 s31, s30, 31
	s_lshl_b64 s[30:31], s[30:31], 3
	v_add_co_u32 v27, s9, v3, s30
	v_add_co_ci_u32_e64 v28, null, s31, v4, s9
	flat_load_dwordx2 v[27:28], v[27:28]
	s_waitcnt vmcnt(0) lgkmcnt(0)
	ds_write_b64 v20, v[27:28] offset:2112
.LBB38_64:
	s_or_b32 exec_lo, exec_lo, s15
	v_add_nc_u32_e32 v22, 16, v9
	v_cmp_le_i32_e64 s9, s11, v22
	s_and_saveexec_b32 s15, s9
	s_xor_b32 s9, exec_lo, s15
; %bb.65:
	v_mov_b32_e32 v27, 0
	v_mov_b32_e32 v28, v27
	ds_write_b64 v20, v[27:28] offset:4224
; %bb.66:
	s_andn2_saveexec_b32 s15, s9
	s_cbranch_execz .LBB38_68
; %bb.67:
	s_lshl_b32 s30, s14, 4
	s_ashr_i32 s31, s30, 31
	s_lshl_b64 s[30:31], s[30:31], 3
	v_add_co_u32 v27, s9, v3, s30
	v_add_co_ci_u32_e64 v28, null, s31, v4, s9
	flat_load_dwordx2 v[27:28], v[27:28]
	s_waitcnt vmcnt(0) lgkmcnt(0)
	ds_write_b64 v20, v[27:28] offset:4224
.LBB38_68:
	s_or_b32 exec_lo, exec_lo, s15
	v_add_nc_u32_e32 v22, 24, v9
	v_cmp_le_i32_e64 s9, s11, v22
	s_and_saveexec_b32 s11, s9
	s_xor_b32 s9, exec_lo, s11
; %bb.69:
	v_mov_b32_e32 v27, 0
	v_mov_b32_e32 v28, v27
	ds_write_b64 v20, v[27:28] offset:6336
                                        ; implicit-def: $vgpr20
; %bb.70:
	s_andn2_saveexec_b32 s11, s9
	s_cbranch_execz .LBB38_72
; %bb.71:
	s_mul_i32 s30, s14, 24
	s_ashr_i32 s31, s30, 31
	s_lshl_b64 s[30:31], s[30:31], 3
	v_add_co_u32 v27, s9, v3, s30
	v_add_co_ci_u32_e64 v28, null, s31, v4, s9
	flat_load_dwordx2 v[27:28], v[27:28]
	s_waitcnt vmcnt(0) lgkmcnt(0)
	ds_write_b64 v20, v[27:28] offset:6336
.LBB38_72:
	s_or_b32 exec_lo, exec_lo, s11
	v_add_co_u32 v3, s9, v3, v10
	v_add_co_ci_u32_e64 v4, null, 0, v4, s9
	v_sub_co_u32 v3, s9, v3, s22
	v_subrev_co_ci_u32_e64 v4, null, s23, v4, s9
	v_add_co_u32 v3, s9, 0x108, v3
	v_add_co_ci_u32_e64 v4, null, 0, v4, s9
	v_cndmask_b32_e32 v3, v3, v5, vcc_lo
	v_cndmask_b32_e32 v4, v4, v6, vcc_lo
	v_mad_u32_u24 v20, 0x108, v9, v10
	s_branch .LBB38_83
.LBB38_73:
	s_andn2_saveexec_b32 s7, s7
	s_cbranch_execz .LBB38_39
.LBB38_74:
	s_mov_b32 s8, s1
	s_mov_b32 s9, exec_lo
                                        ; implicit-def: $vgpr8
	v_cmpx_eq_u32_e64 v18, v2
; %bb.75:
	v_add_nc_u32_e32 v8, v10, v12
	s_or_b32 s8, s1, exec_lo
; %bb.76:
	s_or_b32 exec_lo, exec_lo, s9
	v_mov_b32_e32 v19, 0
	s_andn2_b32 s1, s1, exec_lo
	s_and_b32 s8, s8, exec_lo
	s_or_b32 s1, s1, s8
	s_or_b32 exec_lo, exec_lo, s7
	s_and_saveexec_b32 s7, s1
	s_cbranch_execnz .LBB38_40
	s_branch .LBB38_41
.LBB38_77:
	s_or_saveexec_b32 s8, s8
	v_mov_b32_e32 v20, 0
	s_xor_b32 exec_lo, exec_lo, s8
	s_cbranch_execz .LBB38_45
.LBB38_78:
	v_mad_u32_u24 v8, 0x108, v19, v10
	s_or_b32 s1, s1, exec_lo
	ds_read_b64 v[21:22], v8
	v_add_nc_u32_e32 v8, 16, v7
	s_waitcnt lgkmcnt(0)
	v_xor_b32_e32 v20, 0x80000000, v22
	ds_write_b32 v7, v21 offset:16
	s_or_b32 exec_lo, exec_lo, s8
	s_and_saveexec_b32 s8, s1
	s_cbranch_execnz .LBB38_46
	s_branch .LBB38_47
.LBB38_79:
	s_or_saveexec_b32 s9, s9
	v_mov_b32_e32 v20, 0
	s_xor_b32 exec_lo, exec_lo, s9
	s_cbranch_execz .LBB38_51
.LBB38_80:
	v_mad_u32_u24 v8, 0x108, v21, v10
	s_or_b32 s1, s1, exec_lo
	ds_read_b64 v[22:23], v8
	v_add_nc_u32_e32 v8, 24, v7
	s_waitcnt lgkmcnt(0)
	v_xor_b32_e32 v20, 0x80000000, v23
	ds_write_b32 v7, v22 offset:24
	s_or_b32 exec_lo, exec_lo, s9
	s_and_saveexec_b32 s9, s1
	s_cbranch_execnz .LBB38_52
	s_branch .LBB38_53
.LBB38_81:
                                        ; implicit-def: $vgpr3_vgpr4
	v_mad_u32_u24 v20, 0x108, v9, v10
	s_cbranch_execz .LBB38_83
; %bb.82:
	s_lshl_b32 s22, s14, 3
	s_ashr_i32 s15, s14, 31
	s_ashr_i32 s23, s22, 31
	s_lshl_b64 s[22:23], s[22:23], 3
	v_add_co_u32 v3, vcc_lo, v7, s22
	v_add_co_ci_u32_e64 v4, null, s23, v8, vcc_lo
	s_lshl_b64 s[22:23], s[14:15], 6
	v_add_co_u32 v27, vcc_lo, v3, s22
	v_add_co_ci_u32_e64 v28, null, s23, v4, vcc_lo
	v_add_co_u32 v29, vcc_lo, v27, s22
	v_add_co_ci_u32_e64 v30, null, s23, v28, vcc_lo
	s_clause 0x3
	flat_load_dwordx2 v[7:8], v[7:8] offset:256
	flat_load_dwordx2 v[31:32], v[3:4] offset:256
	;; [unrolled: 1-line block ×4, first 2 shown]
	v_mov_b32_e32 v3, v5
	v_mov_b32_e32 v4, v6
	s_waitcnt vmcnt(3) lgkmcnt(3)
	ds_write_b64 v20, v[7:8]
	s_waitcnt vmcnt(2) lgkmcnt(3)
	ds_write_b64 v20, v[31:32] offset:2112
	s_waitcnt vmcnt(1) lgkmcnt(3)
	ds_write_b64 v20, v[27:28] offset:4224
	s_waitcnt vmcnt(0) lgkmcnt(3)
	ds_write_b64 v20, v[29:30] offset:6336
.LBB38_83:
	v_mul_u32_u24_e32 v5, 0x420, v9
	s_mov_b32 s9, 0
	s_waitcnt lgkmcnt(0)
	s_barrier
	buffer_gl0_inv
                                        ; implicit-def: $vgpr6
	s_and_saveexec_b32 s11, s2
	s_xor_b32 s2, exec_lo, s11
	s_cbranch_execz .LBB38_87
; %bb.84:
	s_mov_b32 s11, exec_lo
                                        ; implicit-def: $vgpr6
	v_cmpx_eq_u32_e64 v13, v2
	s_xor_b32 s11, exec_lo, s11
; %bb.85:
	v_add_nc_u32_e32 v6, v10, v12
	s_mov_b32 s9, exec_lo
; %bb.86:
	s_or_b32 exec_lo, exec_lo, s11
	s_and_b32 s9, s9, exec_lo
.LBB38_87:
	s_or_saveexec_b32 s2, s2
	v_mov_b32_e32 v7, 0
	v_add_nc_u32_e32 v22, v10, v5
	v_lshl_add_u32 v5, v13, 3, v25
	s_xor_b32 exec_lo, exec_lo, s2
	s_cbranch_execz .LBB38_89
; %bb.88:
	ds_read_b64 v[27:28], v22
	v_mov_b32_e32 v6, v5
	s_or_b32 s9, s9, exec_lo
	s_waitcnt lgkmcnt(0)
	v_xor_b32_e32 v7, 0x80000000, v28
	ds_write_b32 v5, v27
.LBB38_89:
	s_or_b32 exec_lo, exec_lo, s2
	v_mul_u32_u24_e32 v8, 0x108, v18
	s_and_saveexec_b32 s2, s9
; %bb.90:
	ds_write_b32 v6, v7 offset:4
; %bb.91:
	s_or_b32 exec_lo, exec_lo, s2
	v_add_nc_u32_e32 v27, v10, v8
	s_mov_b32 s2, 0
                                        ; implicit-def: $vgpr7
                                        ; implicit-def: $vgpr6
	s_and_saveexec_b32 s9, s3
	s_xor_b32 s3, exec_lo, s9
	s_cbranch_execz .LBB38_127
; %bb.92:
	ds_read_b64 v[28:29], v27
	s_mov_b32 s2, exec_lo
	v_add_nc_u32_e32 v6, 8, v5
                                        ; implicit-def: $vgpr18
	s_waitcnt lgkmcnt(0)
	v_xor_b32_e32 v7, 0x80000000, v29
	ds_write_b32 v5, v28 offset:8
	s_andn2_saveexec_b32 s3, s3
	s_cbranch_execnz .LBB38_128
.LBB38_93:
	s_or_b32 exec_lo, exec_lo, s3
	s_and_saveexec_b32 s3, s2
.LBB38_94:
	ds_write_b32 v6, v7 offset:4
.LBB38_95:
	s_or_b32 exec_lo, exec_lo, s3
	s_mov_b32 s2, 0
                                        ; implicit-def: $vgpr6
	s_and_saveexec_b32 s3, s7
	s_xor_b32 s3, exec_lo, s3
	s_cbranch_execz .LBB38_131
; %bb.96:
	s_mov_b32 s7, exec_lo
                                        ; implicit-def: $vgpr6
	v_cmpx_eq_u32_e64 v19, v2
; %bb.97:
	v_add_nc_u32_e32 v6, v10, v12
	s_mov_b32 s2, exec_lo
; %bb.98:
	s_or_b32 exec_lo, exec_lo, s7
	s_and_b32 s2, s2, exec_lo
	s_or_saveexec_b32 s3, s3
	v_mov_b32_e32 v7, 0
	s_xor_b32 exec_lo, exec_lo, s3
	s_cbranch_execnz .LBB38_132
.LBB38_99:
	s_or_b32 exec_lo, exec_lo, s3
	s_and_saveexec_b32 s3, s2
.LBB38_100:
	ds_write_b32 v6, v7 offset:4
.LBB38_101:
	s_or_b32 exec_lo, exec_lo, s3
	s_mov_b32 s2, 0
                                        ; implicit-def: $vgpr6
	s_and_saveexec_b32 s3, s8
	s_xor_b32 s3, exec_lo, s3
	s_cbranch_execz .LBB38_133
; %bb.102:
	s_mov_b32 s7, exec_lo
                                        ; implicit-def: $vgpr6
	v_cmpx_eq_u32_e64 v21, v2
; %bb.103:
	v_add_nc_u32_e32 v6, v10, v12
	s_mov_b32 s2, exec_lo
; %bb.104:
	s_or_b32 exec_lo, exec_lo, s7
	s_and_b32 s2, s2, exec_lo
                                        ; implicit-def: $vgpr5
	s_or_saveexec_b32 s3, s3
	v_mov_b32_e32 v8, 0
	s_xor_b32 exec_lo, exec_lo, s3
	s_cbranch_execnz .LBB38_134
.LBB38_105:
	s_or_b32 exec_lo, exec_lo, s3
	v_add_nc_u32_e32 v7, 0x2380, v23
	s_and_saveexec_b32 s3, s2
.LBB38_106:
	ds_write_b32 v6, v8 offset:4
.LBB38_107:
	s_or_b32 exec_lo, exec_lo, s3
	s_waitcnt lgkmcnt(0)
	s_barrier
	buffer_gl0_inv
	ds_read_b64 v[5:6], v22
	ds_read_b128 v[28:31], v7 offset:256
	ds_read2_b64 v[32:35], v27 offset1:33
	ds_read_b128 v[36:39], v7 offset:272
	ds_read_b64 v[12:13], v27 offset:528
	v_cmp_eq_u32_e64 s2, 1, v9
	s_waitcnt lgkmcnt(0)
	s_barrier
	buffer_gl0_inv
	v_mul_f32_e32 v8, v29, v6
	v_mul_f32_e32 v6, v28, v6
	;; [unrolled: 1-line block ×5, first 2 shown]
	v_fma_f32 v8, v28, v5, -v8
	v_fmac_f32_e32 v6, v29, v5
	v_mul_f32_e32 v23, v36, v35
	v_fma_f32 v18, v30, v32, -v18
	v_fmac_f32_e32 v19, v31, v32
	v_add_f32_e32 v8, 0, v8
	v_add_f32_e32 v6, 0, v6
	v_mul_f32_e32 v5, v39, v13
	v_mul_f32_e32 v13, v38, v13
	v_fma_f32 v21, v36, v34, -v21
	v_fmac_f32_e32 v23, v37, v34
	v_add_f32_e32 v8, v8, v18
	v_add_f32_e32 v6, v6, v19
	v_fma_f32 v5, v38, v12, -v5
	v_fmac_f32_e32 v13, v39, v12
	v_add_f32_e32 v8, v8, v21
	v_add_f32_e32 v6, v6, v23
	;; [unrolled: 1-line block ×4, first 2 shown]
	ds_write_b64 v26, v[5:6]
	s_waitcnt lgkmcnt(0)
	s_barrier
	buffer_gl0_inv
	s_and_saveexec_b32 s3, s2
	s_cbranch_execz .LBB38_109
; %bb.108:
	ds_read2_b64 v[28:31], v25 offset1:7
	ds_read2_b64 v[32:35], v25 offset0:1 offset1:2
	ds_read2_b64 v[36:39], v25 offset0:3 offset1:4
	;; [unrolled: 1-line block ×3, first 2 shown]
	s_waitcnt lgkmcnt(2)
	v_add_f32_e32 v5, v32, v28
	v_add_f32_e32 v6, v33, v29
	v_add_f32_e32 v5, v34, v5
	v_add_f32_e32 v6, v35, v6
	s_waitcnt lgkmcnt(1)
	v_add_f32_e32 v5, v5, v36
	v_add_f32_e32 v6, v6, v37
	v_add_f32_e32 v5, v5, v38
	v_add_f32_e32 v6, v6, v39
	;; [unrolled: 5-line block ×3, first 2 shown]
	v_add_f32_e32 v59, v5, v30
	v_add_f32_e32 v60, v6, v31
.LBB38_109:
	s_or_b32 exec_lo, exec_lo, s3
	v_add_co_u32 v3, vcc_lo, 0xffffff00, v3
	v_add_co_ci_u32_e64 v4, null, -1, v4, vcc_lo
	s_and_b32 vcc_lo, exec_lo, s17
	s_barrier
	buffer_gl0_inv
	s_cbranch_vccz .LBB38_135
; %bb.110:
	v_sub_co_u32 v5, vcc_lo, v3, v10
	s_ashr_i32 s11, s10, 31
	v_subrev_co_ci_u32_e64 v6, null, 0, v4, vcc_lo
	s_lshl_b64 s[8:9], s[10:11], 3
	s_sub_i32 s7, s10, 32
	v_add_co_u32 v5, vcc_lo, v5, s8
	v_add_co_ci_u32_e64 v6, null, s9, v6, vcc_lo
	v_cmp_le_i32_e64 s3, s7, v9
	v_add_co_u32 v5, vcc_lo, v5, -8
	v_add_co_ci_u32_e64 v6, null, -1, v6, vcc_lo
	v_cmp_gt_i32_e32 vcc_lo, s10, v2
	v_add_nc_u32_e32 v11, v10, v11
	v_cndmask_b32_e32 v6, v6, v4, vcc_lo
	v_cndmask_b32_e32 v5, v5, v3, vcc_lo
	s_and_saveexec_b32 s11, s3
	s_xor_b32 s3, exec_lo, s11
; %bb.111:
	v_mov_b32_e32 v12, 0
	v_mov_b32_e32 v13, v12
	ds_write_b64 v11, v[12:13]
; %bb.112:
	s_andn2_saveexec_b32 s3, s3
	s_cbranch_execz .LBB38_114
; %bb.113:
	flat_load_dwordx2 v[12:13], v[5:6]
	s_waitcnt vmcnt(0) lgkmcnt(0)
	ds_write_b64 v11, v[12:13]
.LBB38_114:
	s_or_b32 exec_lo, exec_lo, s3
	v_add_nc_u32_e32 v2, 8, v9
	v_cmp_le_i32_e64 s3, s7, v2
	s_and_saveexec_b32 s11, s3
	s_xor_b32 s3, exec_lo, s11
; %bb.115:
	v_mov_b32_e32 v12, 0
	v_mov_b32_e32 v13, v12
	ds_write_b64 v11, v[12:13] offset:2112
; %bb.116:
	s_andn2_saveexec_b32 s11, s3
	s_cbranch_execz .LBB38_118
; %bb.117:
	s_lshl_b32 s22, s14, 3
	s_ashr_i32 s23, s22, 31
	s_lshl_b64 s[22:23], s[22:23], 3
	v_add_co_u32 v12, s3, v5, s22
	v_add_co_ci_u32_e64 v13, null, s23, v6, s3
	flat_load_dwordx2 v[12:13], v[12:13]
	s_waitcnt vmcnt(0) lgkmcnt(0)
	ds_write_b64 v11, v[12:13] offset:2112
.LBB38_118:
	s_or_b32 exec_lo, exec_lo, s11
	v_add_nc_u32_e32 v8, 16, v9
	v_cmp_le_i32_e64 s3, s7, v8
	s_and_saveexec_b32 s11, s3
	s_xor_b32 s3, exec_lo, s11
; %bb.119:
	v_mov_b32_e32 v12, 0
	v_mov_b32_e32 v13, v12
	ds_write_b64 v11, v[12:13] offset:4224
; %bb.120:
	s_andn2_saveexec_b32 s11, s3
	s_cbranch_execz .LBB38_122
; %bb.121:
	s_lshl_b32 s22, s14, 4
	s_ashr_i32 s23, s22, 31
	s_lshl_b64 s[22:23], s[22:23], 3
	v_add_co_u32 v12, s3, v5, s22
	v_add_co_ci_u32_e64 v13, null, s23, v6, s3
	flat_load_dwordx2 v[12:13], v[12:13]
	s_waitcnt vmcnt(0) lgkmcnt(0)
	ds_write_b64 v11, v[12:13] offset:4224
.LBB38_122:
	s_or_b32 exec_lo, exec_lo, s11
	v_add_nc_u32_e32 v12, 24, v9
	v_cmp_le_i32_e64 s3, s7, v12
	s_and_saveexec_b32 s7, s3
	s_xor_b32 s3, exec_lo, s7
; %bb.123:
	v_mov_b32_e32 v18, 0
	v_mov_b32_e32 v19, v18
	ds_write_b64 v11, v[18:19] offset:6336
                                        ; implicit-def: $vgpr11
; %bb.124:
	s_andn2_saveexec_b32 s7, s3
	s_cbranch_execz .LBB38_126
; %bb.125:
	s_mul_i32 s22, s14, 24
	s_ashr_i32 s23, s22, 31
	s_lshl_b64 s[22:23], s[22:23], 3
	v_add_co_u32 v18, s3, v5, s22
	v_add_co_ci_u32_e64 v19, null, s23, v6, s3
	flat_load_dwordx2 v[18:19], v[18:19]
	s_waitcnt vmcnt(0) lgkmcnt(0)
	ds_write_b64 v11, v[18:19] offset:6336
.LBB38_126:
	s_or_b32 exec_lo, exec_lo, s7
	v_add_co_u32 v5, s3, v5, v10
	v_add_co_ci_u32_e64 v6, null, 0, v6, s3
	v_sub_co_u32 v5, s3, v5, s8
	v_subrev_co_ci_u32_e64 v6, null, s9, v6, s3
	v_add_co_u32 v5, s3, v5, 8
	v_add_co_ci_u32_e64 v6, null, 0, v6, s3
	v_cndmask_b32_e32 v18, v5, v3, vcc_lo
	v_cndmask_b32_e32 v19, v6, v4, vcc_lo
	s_branch .LBB38_137
.LBB38_127:
	s_andn2_saveexec_b32 s3, s3
	s_cbranch_execz .LBB38_93
.LBB38_128:
	s_mov_b32 s9, s2
	s_mov_b32 s11, exec_lo
                                        ; implicit-def: $vgpr6
	v_cmpx_eq_u32_e64 v18, v2
; %bb.129:
	v_add_nc_u32_e32 v6, v10, v12
	s_or_b32 s9, s2, exec_lo
; %bb.130:
	s_or_b32 exec_lo, exec_lo, s11
	v_mov_b32_e32 v7, 0
	s_andn2_b32 s2, s2, exec_lo
	s_and_b32 s9, s9, exec_lo
	s_or_b32 s2, s2, s9
	s_or_b32 exec_lo, exec_lo, s3
	s_and_saveexec_b32 s3, s2
	s_cbranch_execnz .LBB38_94
	s_branch .LBB38_95
.LBB38_131:
	s_or_saveexec_b32 s3, s3
	v_mov_b32_e32 v7, 0
	s_xor_b32 exec_lo, exec_lo, s3
	s_cbranch_execz .LBB38_99
.LBB38_132:
	ds_read_b64 v[18:19], v27 offset:264
	v_add_nc_u32_e32 v6, 16, v5
	s_or_b32 s2, s2, exec_lo
	s_waitcnt lgkmcnt(0)
	v_xor_b32_e32 v7, 0x80000000, v19
	ds_write_b32 v5, v18 offset:16
	s_or_b32 exec_lo, exec_lo, s3
	s_and_saveexec_b32 s3, s2
	s_cbranch_execnz .LBB38_100
	s_branch .LBB38_101
.LBB38_133:
	s_or_saveexec_b32 s3, s3
	v_mov_b32_e32 v8, 0
	s_xor_b32 exec_lo, exec_lo, s3
	s_cbranch_execz .LBB38_105
.LBB38_134:
	ds_read_b64 v[7:8], v27 offset:528
	v_add_nc_u32_e32 v6, 24, v5
	s_or_b32 s2, s2, exec_lo
	s_waitcnt lgkmcnt(0)
	v_xor_b32_e32 v8, 0x80000000, v8
	ds_write_b32 v5, v7 offset:24
	s_or_b32 exec_lo, exec_lo, s3
	v_add_nc_u32_e32 v7, 0x2380, v23
	s_and_saveexec_b32 s3, s2
	s_cbranch_execnz .LBB38_106
	s_branch .LBB38_107
.LBB38_135:
                                        ; implicit-def: $vgpr18_vgpr19
                                        ; implicit-def: $vgpr2
                                        ; implicit-def: $vgpr8
                                        ; implicit-def: $vgpr12
	s_cbranch_execz .LBB38_137
; %bb.136:
	s_lshl_b32 s8, s14, 3
	s_ashr_i32 s15, s14, 31
	s_ashr_i32 s9, s8, 31
	v_mov_b32_e32 v19, v4
	s_lshl_b64 s[8:9], s[8:9], 3
	v_add_nc_u32_e32 v2, 8, v9
	v_add_co_u32 v5, vcc_lo, v3, s8
	v_add_co_ci_u32_e64 v6, null, s9, v4, vcc_lo
	s_lshl_b64 s[8:9], s[14:15], 6
	v_add_nc_u32_e32 v8, 16, v9
	v_add_co_u32 v10, vcc_lo, v5, s8
	v_add_co_ci_u32_e64 v11, null, s9, v6, vcc_lo
	v_mov_b32_e32 v18, v3
	v_add_co_u32 v12, vcc_lo, v10, s8
	v_add_co_ci_u32_e64 v13, null, s9, v11, vcc_lo
	s_clause 0x3
	flat_load_dwordx2 v[28:29], v[3:4]
	flat_load_dwordx2 v[5:6], v[5:6]
	;; [unrolled: 1-line block ×4, first 2 shown]
	v_add_nc_u32_e32 v12, 24, v9
	s_waitcnt vmcnt(3) lgkmcnt(3)
	ds_write_b64 v20, v[28:29]
	s_waitcnt vmcnt(2) lgkmcnt(3)
	ds_write_b64 v20, v[5:6] offset:2112
	s_waitcnt vmcnt(1) lgkmcnt(3)
	ds_write_b64 v20, v[10:11] offset:4224
	;; [unrolled: 2-line block ×3, first 2 shown]
.LBB38_137:
	v_lshlrev_b32_e32 v3, 3, v9
	v_lshlrev_b32_e32 v2, 3, v2
	s_waitcnt lgkmcnt(0)
	s_barrier
	buffer_gl0_inv
	v_add_nc_u32_e32 v5, v25, v3
	v_add_nc_u32_e32 v6, v25, v2
	v_lshlrev_b32_e32 v4, 3, v8
	v_lshlrev_b32_e32 v8, 3, v12
	ds_read_b64 v[28:29], v5
	ds_read_b64 v[30:31], v6
	ds_read_b64 v[32:33], v2 offset:9088
	ds_read_b64 v[34:35], v3 offset:9088
	v_add_nc_u32_e32 v9, v25, v4
	v_add_nc_u32_e32 v2, v25, v8
	ds_read_b64 v[36:37], v9
	ds_read_b64 v[38:39], v8 offset:9088
	ds_read_b64 v[40:41], v4 offset:9088
	ds_read_b64 v[42:43], v2
	ds_read_b128 v[10:13], v7 offset:256
	ds_read_b128 v[2:5], v7 offset:272
	ds_read2_b64 v[6:9], v27 offset1:33
	ds_read_b64 v[22:23], v22
	ds_read_b64 v[20:21], v27 offset:528
	s_waitcnt lgkmcnt(0)
	s_barrier
	buffer_gl0_inv
	v_mul_f32_e32 v44, v31, v33
	v_mul_f32_e32 v27, v29, v35
	v_mul_f32_e32 v29, v29, v34
	v_mul_f32_e32 v31, v31, v32
	v_mul_f32_e32 v45, v37, v41
	v_mul_f32_e32 v37, v37, v40
	v_fmac_f32_e32 v27, v28, v34
	v_fma_f32 v28, v28, v35, -v29
	v_fmac_f32_e32 v44, v30, v32
	v_fma_f32 v30, v30, v33, -v31
	v_mul_f32_e32 v29, v43, v39
	v_add_f32_e32 v27, 0, v27
	v_add_f32_e32 v28, 0, v28
	v_mul_f32_e32 v31, v43, v38
	v_fmac_f32_e32 v45, v36, v40
	v_fma_f32 v32, v36, v41, -v37
	v_add_f32_e32 v27, v27, v44
	v_add_f32_e32 v28, v28, v30
	v_fmac_f32_e32 v29, v42, v38
	v_fma_f32 v30, v42, v39, -v31
	v_add_f32_e32 v27, v27, v45
	v_add_f32_e32 v28, v28, v32
	;; [unrolled: 1-line block ×4, first 2 shown]
	ds_write_b64 v26, v[27:28]
	s_waitcnt lgkmcnt(0)
	s_barrier
	buffer_gl0_inv
	s_and_saveexec_b32 s3, s2
	s_cbranch_execz .LBB38_139
; %bb.138:
	ds_read2_b64 v[27:30], v25 offset1:1
	ds_read2_b64 v[31:34], v25 offset0:2 offset1:3
	ds_read2_b64 v[35:38], v25 offset0:4 offset1:5
	s_waitcnt lgkmcnt(2)
	v_add_f32_e32 v27, v59, v27
	v_add_f32_e32 v28, v60, v28
	;; [unrolled: 1-line block ×4, first 2 shown]
	ds_read2_b64 v[27:30], v25 offset0:6 offset1:7
	s_waitcnt lgkmcnt(2)
	v_add_f32_e32 v31, v39, v31
	v_add_f32_e32 v32, v40, v32
	v_add_f32_e32 v31, v31, v33
	v_add_f32_e32 v32, v32, v34
	s_waitcnt lgkmcnt(1)
	v_add_f32_e32 v31, v31, v35
	v_add_f32_e32 v32, v32, v36
	v_add_f32_e32 v31, v31, v37
	v_add_f32_e32 v32, v32, v38
	;; [unrolled: 5-line block ×3, first 2 shown]
.LBB38_139:
	s_or_b32 exec_lo, exec_lo, s3
	v_mul_f32_e32 v27, v11, v23
	v_mul_f32_e32 v23, v10, v23
	;; [unrolled: 1-line block ×5, first 2 shown]
	v_fma_f32 v10, v10, v22, -v27
	v_fmac_f32_e32 v23, v11, v22
	v_mul_f32_e32 v9, v2, v9
	v_fma_f32 v12, v12, v6, -v28
	v_fmac_f32_e32 v7, v13, v6
	v_add_f32_e32 v10, 0, v10
	v_add_f32_e32 v6, 0, v23
	v_mul_f32_e32 v11, v5, v21
	v_mul_f32_e32 v13, v4, v21
	v_fma_f32 v2, v2, v8, -v29
	v_add_f32_e32 v10, v10, v12
	v_fmac_f32_e32 v9, v3, v8
	v_add_f32_e32 v3, v6, v7
	v_fma_f32 v4, v4, v20, -v11
	v_fmac_f32_e32 v13, v5, v20
	v_add_f32_e32 v2, v10, v2
	v_add_f32_e32 v3, v3, v9
	s_barrier
	buffer_gl0_inv
	v_add_f32_e32 v2, v2, v4
	v_add_f32_e32 v3, v3, v13
	ds_write_b64 v26, v[2:3]
	s_waitcnt lgkmcnt(0)
	s_barrier
	buffer_gl0_inv
	s_and_saveexec_b32 s2, s1
	s_cbranch_execz .LBB38_141
; %bb.140:
	ds_read2_b64 v[2:5], v25 offset1:1
	ds_read2_b64 v[6:9], v25 offset0:2 offset1:3
	ds_read2_b64 v[10:13], v25 offset0:4 offset1:5
	s_waitcnt lgkmcnt(2)
	v_add_f32_e32 v2, v59, v2
	v_add_f32_e32 v3, v60, v3
	;; [unrolled: 1-line block ×4, first 2 shown]
	ds_read2_b64 v[2:5], v25 offset0:6 offset1:7
	s_waitcnt lgkmcnt(2)
	v_add_f32_e32 v6, v20, v6
	v_add_f32_e32 v7, v21, v7
	v_add_f32_e32 v6, v6, v8
	v_add_f32_e32 v7, v7, v9
	s_waitcnt lgkmcnt(1)
	v_add_f32_e32 v6, v6, v10
	v_add_f32_e32 v7, v7, v11
	v_add_f32_e32 v6, v6, v12
	v_add_f32_e32 v7, v7, v13
	;; [unrolled: 5-line block ×3, first 2 shown]
.LBB38_141:
	s_or_b32 exec_lo, exec_lo, s2
	s_load_dwordx2 s[2:3], s[4:5], 0x68
	s_mul_hi_u32 s1, s27, s12
	s_mul_i32 s28, s28, s12
	s_mul_i32 s4, s27, s12
	s_add_i32 s1, s1, s28
	s_mul_hi_u32 s5, s4, s24
	s_mul_i32 s1, s1, s24
	s_mul_i32 s4, s4, s24
	s_add_i32 s5, s5, s1
	s_mul_hi_i32 s9, s27, s6
	s_lshl_b64 s[4:5], s[4:5], 3
	s_mul_i32 s8, s27, s6
	v_lshlrev_b32_e32 v96, 3, v0
	s_waitcnt lgkmcnt(0)
	s_barrier
	buffer_gl0_inv
	s_add_u32 s1, s2, s4
	s_addc_u32 s4, s3, s5
	s_lshl_b64 s[2:3], s[8:9], 3
	s_add_u32 s7, s1, s2
	s_addc_u32 s11, s4, s3
	s_add_i32 s4, s6, 1
	s_cmp_ge_u32 s4, s24
	s_cbranch_scc1 .LBB38_199
; %bb.142:
	v_lshlrev_b32_e32 v97, 2, v1
	s_mul_i32 s2, s13, s16
	s_ashr_i32 s15, s14, 31
	s_ashr_i32 s3, s2, 31
	s_lshl_b32 s16, s14, 1
	v_mad_u64_u32 v[2:3], null, s14, v97, v[0:1]
	s_lshl_b64 s[2:3], s[2:3], 3
	s_mul_i32 s28, s14, 3
	v_sub_co_u32 v98, vcc_lo, v16, s2
	v_subrev_co_ci_u32_e64 v99, null, s3, v17, vcc_lo
	v_ashrrev_i32_e32 v3, 31, v2
	v_add_co_u32 v4, vcc_lo, s20, v2
	s_lshl_b32 s2, s14, 4
	s_mul_i32 s4, s13, s4
	v_add_co_ci_u32_e64 v5, null, s21, v3, vcc_lo
	v_lshlrev_b64 v[2:3], 3, v[2:3]
	s_lshl_b64 s[20:21], s[14:15], 4
	s_add_i32 s22, s24, -2
	v_lshlrev_b64 v[4:5], 3, v[4:5]
	s_lshl_b32 s23, s13, 6
	s_ashr_i32 s3, s2, 31
	s_ashr_i32 s17, s16, 31
	;; [unrolled: 1-line block ×3, first 2 shown]
	s_lshl_b64 s[12:13], s[14:15], 3
	v_mad_i64_i32 v[6:7], null, s2, 24, v[4:5]
	s_lshl_b32 s4, s4, 6
	s_add_u32 s5, s20, s18
	s_addc_u32 s27, s21, s19
	v_add_co_u32 v11, vcc_lo, s5, v2
	s_mul_i32 s30, s14, 0x180
	s_lshl_b64 s[14:15], s[28:29], 3
	s_lshl_b64 s[8:9], s[2:3], 5
	v_add_co_ci_u32_e64 v12, null, s27, v3, vcc_lo
	v_add_co_u32 v13, vcc_lo, v6, s14
	s_add_u32 s33, s12, s18
	v_add_co_ci_u32_e64 v16, null, s15, v7, vcc_lo
	s_addc_u32 s34, s13, s19
	v_add_co_u32 v17, vcc_lo, s33, v2
	s_lshl_b64 s[16:17], s[16:17], 3
	v_add_co_ci_u32_e64 v20, null, s34, v3, vcc_lo
	v_add_co_u32 v21, vcc_lo, v6, s16
	v_add_co_ci_u32_e64 v22, null, s17, v7, vcc_lo
	v_add_co_u32 v23, vcc_lo, s18, v2
	v_lshrrev_b32_e32 v8, 4, v24
	v_cmp_gt_u32_e64 s1, 64, v24
	v_add_co_ci_u32_e64 v24, null, s19, v3, vcc_lo
	v_add_co_u32 v103, vcc_lo, v18, v6
	s_add_u32 s28, s18, s16
	v_add_co_ci_u32_e64 v104, null, v19, v7, vcc_lo
	s_addc_u32 s29, s19, s17
	v_add_co_u32 v25, vcc_lo, s28, v2
	v_add_co_ci_u32_e64 v26, null, s29, v3, vcc_lo
	v_add_co_u32 v6, vcc_lo, v6, s12
	s_add_u32 s35, s18, s14
	s_addc_u32 s36, s19, s15
	s_lshl_b64 s[28:29], s[2:3], 3
	v_add_co_ci_u32_e64 v7, null, s13, v7, vcc_lo
	v_add_co_u32 v27, vcc_lo, s35, v2
	s_add_u32 s35, s5, s28
	s_mul_hi_i32 s31, s2, 24
	v_add_co_ci_u32_e64 v28, null, s36, v3, vcc_lo
	s_addc_u32 s36, s27, s29
	v_add_co_u32 v29, vcc_lo, s35, v2
	s_add_u32 s20, s30, s20
	s_addc_u32 s21, s31, s21
	s_lshl_b64 s[2:3], s[2:3], 4
	v_add_co_ci_u32_e64 v30, null, s36, v3, vcc_lo
	v_add_co_u32 v4, vcc_lo, s20, v4
	s_add_u32 s20, s2, s18
	v_add_co_ci_u32_e64 v5, null, s21, v5, vcc_lo
	s_addc_u32 s21, s3, s19
	s_add_u32 s30, s20, s14
	s_addc_u32 s31, s21, s15
	v_add_co_u32 v31, vcc_lo, s30, v2
	s_add_u32 s30, s33, s28
	v_add_co_ci_u32_e64 v32, null, s31, v3, vcc_lo
	s_addc_u32 s31, s34, s29
	v_add_co_u32 v33, vcc_lo, s30, v2
	s_add_u32 s30, s20, s16
	v_add_co_ci_u32_e64 v34, null, s31, v3, vcc_lo
	s_addc_u32 s31, s21, s17
	v_add_co_u32 v35, vcc_lo, s30, v2
	s_add_u32 s18, s18, s28
	v_add_co_ci_u32_e64 v36, null, s31, v3, vcc_lo
	s_addc_u32 s19, s19, s29
	v_add_co_u32 v37, vcc_lo, s18, v2
	v_add_co_ci_u32_e64 v38, null, s19, v3, vcc_lo
	v_add_co_u32 v39, vcc_lo, s20, v2
	s_add_u32 s16, s18, s16
	s_addc_u32 s17, s19, s17
	v_add_co_ci_u32_e64 v40, null, s21, v3, vcc_lo
	v_add_co_u32 v41, vcc_lo, s16, v2
	s_add_u32 s12, s20, s12
	v_add_co_ci_u32_e64 v42, null, s17, v3, vcc_lo
	s_addc_u32 s13, s21, s13
	v_add_co_u32 v43, vcc_lo, s12, v2
	s_add_u32 s12, s18, s14
	v_add_co_ci_u32_e64 v44, null, s13, v3, vcc_lo
	s_addc_u32 s13, s19, s15
	;; [unrolled: 4-line block ×3, first 2 shown]
	v_add_co_u32 v2, vcc_lo, s2, v2
	v_add_co_ci_u32_e64 v3, null, s3, v3, vcc_lo
	v_add_co_u32 v105, vcc_lo, v18, v11
	v_add_co_ci_u32_e64 v106, null, v19, v12, vcc_lo
	;; [unrolled: 2-line block ×17, first 2 shown]
	v_add_co_u32 v137, vcc_lo, v18, v43
	v_and_b32_e32 v9, 15, v0
	v_and_b32_e32 v10, 48, v0
	v_lshlrev_b32_e32 v47, 5, v8
	v_add_co_ci_u32_e64 v138, null, v19, v44, vcc_lo
	v_add_co_u32 v139, vcc_lo, v18, v45
	v_add_co_ci_u32_e64 v140, null, v19, v46, vcc_lo
	v_add_co_u32 v141, vcc_lo, v18, v2
	v_lshlrev_b32_e32 v10, 3, v10
	v_add_co_ci_u32_e64 v142, null, v19, v3, vcc_lo
	v_or_b32_e32 v2, 0x78, v96
	v_mad_u32_u24 v144, 0x218, v9, v47
	v_mul_i32_i24_e32 v3, 0xffffffe8, v8
	v_sub_co_u32 v147, vcc_lo, 0, v14
	v_add_nc_u32_e32 v100, 0x2180, v96
	v_lshl_add_u32 v101, v1, 5, 0x2180
	v_add_nc_u32_e32 v102, 0x2380, v96
	v_mad_u32_u24 v143, 0x860, v1, v96
	v_mad_u32_u24 v145, 0x218, v9, v10
	;; [unrolled: 1-line block ×3, first 2 shown]
	v_sub_co_ci_u32_e64 v148, null, 0, v15, vcc_lo
	v_add_nc_u32_e32 v149, v144, v3
	v_add_nc_u32_e32 v150, 49, v97
	;; [unrolled: 1-line block ×5, first 2 shown]
	v_mov_b32_e32 v63, 0
	s_cmp_eq_u32 s22, s6
	s_cselect_b32 s3, s25, 0
	s_and_saveexec_b32 s2, s0
	s_cbranch_execz .LBB38_148
	s_branch .LBB38_144
.LBB38_143:                             ;   in Loop: Header=BB38_148 Depth=1
	s_mov_b32 s6, s2
	s_cmp_eq_u32 s22, s6
	s_cselect_b32 s3, s25, 0
	s_and_saveexec_b32 s2, s0
	s_cbranch_execz .LBB38_148
.LBB38_144:
	v_cmp_le_i32_e32 vcc_lo, s3, v0
	s_cmp_lg_u32 s3, 0
	s_cselect_b32 s5, -1, 0
	s_and_b32 s5, s5, vcc_lo
	s_and_saveexec_b32 s12, s5
	s_xor_b32 s5, exec_lo, s12
; %bb.145:
	v_mov_b32_e32 v64, v63
	ds_write_b64 v100, v[63:64]
; %bb.146:
	s_andn2_saveexec_b32 s5, s5
	s_cbranch_execz .LBB38_148
; %bb.147:
	s_ashr_i32 s5, s4, 31
	s_lshl_b64 s[12:13], s[4:5], 3
	v_add_co_u32 v2, vcc_lo, v98, s12
	v_add_co_ci_u32_e64 v3, null, s13, v99, vcc_lo
	flat_load_dwordx2 v[2:3], v[2:3]
	s_waitcnt vmcnt(0) lgkmcnt(0)
	ds_write_b64 v100, v[2:3]
.LBB38_148:                             ; =>This Inner Loop Header: Depth=1
	s_or_b32 exec_lo, exec_lo, s2
	s_cmp_eq_u32 s3, 0
	v_add_co_u32 v2, vcc_lo, v113, v147
	s_cselect_b32 s5, -1, 0
	s_cmp_lg_u32 s3, 0
	v_add_co_ci_u32_e64 v3, null, v114, v148, vcc_lo
	s_cselect_b32 s2, -1, 0
	s_waitcnt lgkmcnt(0)
	s_and_b32 vcc_lo, exec_lo, s2
	s_barrier
	buffer_gl0_inv
	s_cbranch_vccz .LBB38_156
; %bb.149:                              ;   in Loop: Header=BB38_148 Depth=1
	v_mov_b32_e32 v66, 0
	v_mov_b32_e32 v64, 0
	;; [unrolled: 1-line block ×3, first 2 shown]
	s_mov_b32 s12, exec_lo
	v_cmpx_gt_i32_e64 s3, v97
	s_cbranch_execz .LBB38_151
; %bb.150:                              ;   in Loop: Header=BB38_148 Depth=1
	flat_load_dwordx2 v[64:65], v[2:3]
.LBB38_151:                             ;   in Loop: Header=BB38_148 Depth=1
	s_or_b32 exec_lo, exec_lo, s12
	v_or_b32_e32 v4, 1, v97
	v_mov_b32_e32 v67, 0
	s_mov_b32 s12, exec_lo
	v_cmpx_gt_i32_e64 s3, v4
	s_cbranch_execz .LBB38_153
; %bb.152:                              ;   in Loop: Header=BB38_148 Depth=1
	v_add_co_u32 v4, vcc_lo, v109, v147
	v_add_co_ci_u32_e64 v5, null, v110, v148, vcc_lo
	flat_load_dwordx2 v[66:67], v[4:5]
.LBB38_153:                             ;   in Loop: Header=BB38_148 Depth=1
	s_or_b32 exec_lo, exec_lo, s12
	v_or_b32_e32 v4, 2, v97
	v_mov_b32_e32 v68, 0
	v_mov_b32_e32 v69, 0
	s_mov_b32 s12, exec_lo
	v_cmpx_gt_i32_e64 s3, v4
	s_cbranch_execz .LBB38_155
; %bb.154:                              ;   in Loop: Header=BB38_148 Depth=1
	v_add_co_u32 v4, vcc_lo, v115, v147
	v_add_co_ci_u32_e64 v5, null, v116, v148, vcc_lo
	flat_load_dwordx2 v[68:69], v[4:5]
.LBB38_155:                             ;   in Loop: Header=BB38_148 Depth=1
	s_or_b32 exec_lo, exec_lo, s12
	v_or_b32_e32 v4, 3, v97
	v_cmp_gt_i32_e64 s12, s3, v4
	s_branch .LBB38_158
.LBB38_156:                             ;   in Loop: Header=BB38_148 Depth=1
	s_mov_b32 s12, 0
                                        ; implicit-def: $vgpr65
                                        ; implicit-def: $vgpr67
                                        ; implicit-def: $vgpr69
	s_cbranch_execz .LBB38_158
; %bb.157:                              ;   in Loop: Header=BB38_148 Depth=1
	v_add_co_u32 v4, vcc_lo, v109, v147
	v_add_co_ci_u32_e64 v5, null, v110, v148, vcc_lo
	v_add_co_u32 v6, vcc_lo, v105, v147
	v_add_co_ci_u32_e64 v7, null, v106, v148, vcc_lo
	s_waitcnt vmcnt(0) lgkmcnt(0)
	flat_load_dwordx2 v[64:65], v[2:3]
	flat_load_dwordx2 v[66:67], v[4:5]
	;; [unrolled: 1-line block ×3, first 2 shown]
	s_or_b32 s12, s12, exec_lo
.LBB38_158:                             ;   in Loop: Header=BB38_148 Depth=1
	v_mov_b32_e32 v70, 0
	v_mov_b32_e32 v71, 0
	s_and_saveexec_b32 s13, s12
	s_cbranch_execz .LBB38_160
; %bb.159:                              ;   in Loop: Header=BB38_148 Depth=1
	v_add_co_u32 v2, vcc_lo, v119, v147
	v_add_co_ci_u32_e64 v3, null, v120, v148, vcc_lo
	flat_load_dwordx2 v[70:71], v[2:3]
.LBB38_160:                             ;   in Loop: Header=BB38_148 Depth=1
	s_or_b32 exec_lo, exec_lo, s13
	ds_read_b64 v[2:3], v102
	v_add_co_u32 v18, vcc_lo, v131, v147
	v_cndmask_b32_e64 v42, 0, 1, s2
	v_add_co_ci_u32_e64 v19, null, v132, v148, vcc_lo
	s_andn2_b32 vcc_lo, exec_lo, s2
	s_waitcnt vmcnt(0) lgkmcnt(0)
	v_mul_f32_e32 v10, v65, v3
	v_mul_f32_e32 v4, v65, v2
	;; [unrolled: 1-line block ×8, first 2 shown]
	v_fmac_f32_e32 v10, v64, v2
	v_fma_f32 v11, v64, v3, -v4
	v_fmac_f32_e32 v12, v66, v2
	v_fma_f32 v13, v66, v3, -v5
	;; [unrolled: 2-line block ×4, first 2 shown]
	ds_read_b128 v[6:9], v101
	ds_read_b128 v[2:5], v101 offset:16
	ds_write2_b64 v143, v[10:11], v[12:13] offset1:67
	ds_write2_b64 v143, v[14:15], v[16:17] offset0:134 offset1:201
	s_waitcnt lgkmcnt(0)
	s_barrier
	buffer_gl0_inv
	ds_read2_b64 v[14:17], v144 offset1:1
	ds_read2_b64 v[10:13], v144 offset0:2 offset1:3
	s_waitcnt lgkmcnt(0)
	s_barrier
	buffer_gl0_inv
	s_cbranch_vccnz .LBB38_168
; %bb.161:                              ;   in Loop: Header=BB38_148 Depth=1
	v_add_nc_u32_e32 v20, 16, v97
	v_mov_b32_e32 v72, 0
	v_mov_b32_e32 v74, 0
	;; [unrolled: 1-line block ×3, first 2 shown]
	s_mov_b32 s2, exec_lo
	v_cmpx_gt_i32_e64 s3, v20
	s_cbranch_execz .LBB38_163
; %bb.162:                              ;   in Loop: Header=BB38_148 Depth=1
	flat_load_dwordx2 v[74:75], v[18:19]
.LBB38_163:                             ;   in Loop: Header=BB38_148 Depth=1
	s_or_b32 exec_lo, exec_lo, s2
	v_add_nc_u32_e32 v20, 17, v97
	v_mov_b32_e32 v73, 0
	s_mov_b32 s2, exec_lo
	v_cmpx_gt_i32_e64 s3, v20
	s_cbranch_execz .LBB38_165
; %bb.164:                              ;   in Loop: Header=BB38_148 Depth=1
	v_add_co_u32 v20, vcc_lo, v127, v147
	v_add_co_ci_u32_e64 v21, null, v128, v148, vcc_lo
	flat_load_dwordx2 v[72:73], v[20:21]
.LBB38_165:                             ;   in Loop: Header=BB38_148 Depth=1
	s_or_b32 exec_lo, exec_lo, s2
	v_add_nc_u32_e32 v20, 18, v97
	v_mov_b32_e32 v76, 0
	v_mov_b32_e32 v77, 0
	s_mov_b32 s2, exec_lo
	v_cmpx_gt_i32_e64 s3, v20
	s_cbranch_execz .LBB38_167
; %bb.166:                              ;   in Loop: Header=BB38_148 Depth=1
	v_add_co_u32 v20, vcc_lo, v135, v147
	v_add_co_ci_u32_e64 v21, null, v136, v148, vcc_lo
	flat_load_dwordx2 v[76:77], v[20:21]
.LBB38_167:                             ;   in Loop: Header=BB38_148 Depth=1
	s_or_b32 exec_lo, exec_lo, s2
	v_add_nc_u32_e32 v20, 19, v97
	v_cmp_gt_i32_e64 s2, s3, v20
	s_branch .LBB38_170
.LBB38_168:                             ;   in Loop: Header=BB38_148 Depth=1
	s_mov_b32 s2, 0
                                        ; implicit-def: $vgpr75
                                        ; implicit-def: $vgpr73
                                        ; implicit-def: $vgpr77
	s_cbranch_execz .LBB38_170
; %bb.169:                              ;   in Loop: Header=BB38_148 Depth=1
	v_add_co_u32 v20, vcc_lo, v127, v147
	v_add_co_ci_u32_e64 v21, null, v128, v148, vcc_lo
	v_add_co_u32 v22, vcc_lo, v121, v147
	v_add_co_ci_u32_e64 v23, null, v122, v148, vcc_lo
	s_waitcnt vmcnt(0) lgkmcnt(0)
	flat_load_dwordx2 v[74:75], v[18:19]
	flat_load_dwordx2 v[72:73], v[20:21]
	;; [unrolled: 1-line block ×3, first 2 shown]
	s_or_b32 s2, s2, exec_lo
.LBB38_170:                             ;   in Loop: Header=BB38_148 Depth=1
	v_mov_b32_e32 v78, 0
	v_mov_b32_e32 v79, 0
	s_and_saveexec_b32 s12, s2
	s_cbranch_execz .LBB38_172
; %bb.171:                              ;   in Loop: Header=BB38_148 Depth=1
	v_add_co_u32 v18, vcc_lo, v139, v147
	v_add_co_ci_u32_e64 v19, null, v140, v148, vcc_lo
	flat_load_dwordx2 v[78:79], v[18:19]
.LBB38_172:                             ;   in Loop: Header=BB38_148 Depth=1
	s_or_b32 exec_lo, exec_lo, s12
	ds_read_b64 v[18:19], v102
	v_cmp_ne_u32_e32 vcc_lo, 1, v42
	s_and_b32 vcc_lo, exec_lo, vcc_lo
	s_waitcnt vmcnt(0) lgkmcnt(0)
	v_mul_f32_e32 v26, v75, v19
	v_mul_f32_e32 v20, v75, v18
	;; [unrolled: 1-line block ×8, first 2 shown]
	v_fmac_f32_e32 v26, v74, v18
	v_fma_f32 v27, v74, v19, -v20
	v_fmac_f32_e32 v28, v72, v18
	v_fma_f32 v29, v72, v19, -v21
	;; [unrolled: 2-line block ×4, first 2 shown]
	ds_read_b128 v[22:25], v101 offset:128
	ds_read_b128 v[18:21], v101 offset:144
	ds_write2_b64 v143, v[26:27], v[28:29] offset1:67
	ds_write2_b64 v143, v[30:31], v[32:33] offset0:134 offset1:201
	s_waitcnt lgkmcnt(0)
	s_barrier
	buffer_gl0_inv
	ds_read2_b64 v[38:41], v144 offset1:1
	ds_read2_b64 v[30:33], v144 offset0:2 offset1:3
	v_add_co_u32 v26, s2, v133, v147
	v_add_co_ci_u32_e64 v27, null, v134, v148, s2
	s_waitcnt lgkmcnt(0)
	s_barrier
	buffer_gl0_inv
	s_cbranch_vccnz .LBB38_180
; %bb.173:                              ;   in Loop: Header=BB38_148 Depth=1
	v_add_nc_u32_e32 v28, 32, v97
	v_mov_b32_e32 v80, 0
	v_mov_b32_e32 v82, 0
	;; [unrolled: 1-line block ×3, first 2 shown]
	s_mov_b32 s2, exec_lo
	v_cmpx_gt_i32_e64 s3, v28
	s_cbranch_execz .LBB38_175
; %bb.174:                              ;   in Loop: Header=BB38_148 Depth=1
	flat_load_dwordx2 v[82:83], v[26:27]
.LBB38_175:                             ;   in Loop: Header=BB38_148 Depth=1
	s_or_b32 exec_lo, exec_lo, s2
	v_add_nc_u32_e32 v28, 33, v97
	v_mov_b32_e32 v81, 0
	s_mov_b32 s2, exec_lo
	v_cmpx_gt_i32_e64 s3, v28
	s_cbranch_execz .LBB38_177
; %bb.176:                              ;   in Loop: Header=BB38_148 Depth=1
	v_add_co_u32 v28, vcc_lo, v137, v147
	v_add_co_ci_u32_e64 v29, null, v138, v148, vcc_lo
	flat_load_dwordx2 v[80:81], v[28:29]
.LBB38_177:                             ;   in Loop: Header=BB38_148 Depth=1
	s_or_b32 exec_lo, exec_lo, s2
	v_add_nc_u32_e32 v28, 34, v97
	v_mov_b32_e32 v84, 0
	v_mov_b32_e32 v85, 0
	s_mov_b32 s2, exec_lo
	v_cmpx_gt_i32_e64 s3, v28
	s_cbranch_execz .LBB38_179
; %bb.178:                              ;   in Loop: Header=BB38_148 Depth=1
	v_add_co_u32 v28, vcc_lo, v129, v147
	v_add_co_ci_u32_e64 v29, null, v130, v148, vcc_lo
	flat_load_dwordx2 v[84:85], v[28:29]
.LBB38_179:                             ;   in Loop: Header=BB38_148 Depth=1
	s_or_b32 exec_lo, exec_lo, s2
	v_add_nc_u32_e32 v28, 35, v97
	v_cmp_gt_i32_e64 s2, s3, v28
	s_branch .LBB38_182
.LBB38_180:                             ;   in Loop: Header=BB38_148 Depth=1
	s_mov_b32 s2, 0
                                        ; implicit-def: $vgpr83
                                        ; implicit-def: $vgpr81
                                        ; implicit-def: $vgpr85
	s_cbranch_execz .LBB38_182
; %bb.181:                              ;   in Loop: Header=BB38_148 Depth=1
	v_add_co_u32 v28, vcc_lo, v137, v147
	v_add_co_ci_u32_e64 v29, null, v138, v148, vcc_lo
	v_add_co_u32 v34, vcc_lo, v141, v147
	v_add_co_ci_u32_e64 v35, null, v142, v148, vcc_lo
	s_waitcnt vmcnt(0) lgkmcnt(0)
	flat_load_dwordx2 v[82:83], v[26:27]
	flat_load_dwordx2 v[80:81], v[28:29]
	;; [unrolled: 1-line block ×3, first 2 shown]
	s_or_b32 s2, s2, exec_lo
.LBB38_182:                             ;   in Loop: Header=BB38_148 Depth=1
	v_mov_b32_e32 v86, 0
	v_mov_b32_e32 v87, 0
	s_and_saveexec_b32 s12, s2
	s_cbranch_execz .LBB38_184
; %bb.183:                              ;   in Loop: Header=BB38_148 Depth=1
	v_add_co_u32 v26, vcc_lo, v125, v147
	v_add_co_ci_u32_e64 v27, null, v126, v148, vcc_lo
	flat_load_dwordx2 v[86:87], v[26:27]
.LBB38_184:                             ;   in Loop: Header=BB38_148 Depth=1
	s_or_b32 exec_lo, exec_lo, s12
	ds_read_b64 v[26:27], v102
	v_cmp_ne_u32_e32 vcc_lo, 1, v42
	v_add_co_u32 v42, s2, v103, v147
	s_and_b32 vcc_lo, exec_lo, vcc_lo
	s_waitcnt vmcnt(0) lgkmcnt(0)
	v_mul_f32_e32 v43, v83, v27
	v_mul_f32_e32 v28, v83, v26
	;; [unrolled: 1-line block ×8, first 2 shown]
	v_fmac_f32_e32 v43, v82, v26
	v_fma_f32 v44, v82, v27, -v28
	v_fmac_f32_e32 v45, v80, v26
	v_fma_f32 v46, v80, v27, -v29
	;; [unrolled: 2-line block ×4, first 2 shown]
	ds_read_b128 v[34:37], v101 offset:256
	ds_read_b128 v[26:29], v101 offset:272
	ds_write2_b64 v143, v[43:44], v[45:46] offset1:67
	ds_write2_b64 v143, v[47:48], v[49:50] offset0:134 offset1:201
	s_waitcnt lgkmcnt(0)
	s_barrier
	buffer_gl0_inv
	ds_read2_b64 v[54:57], v144 offset1:1
	ds_read2_b64 v[50:53], v144 offset0:2 offset1:3
	v_add_co_ci_u32_e64 v43, null, v104, v148, s2
	s_waitcnt lgkmcnt(0)
	s_barrier
	buffer_gl0_inv
	s_cbranch_vccnz .LBB38_192
; %bb.185:                              ;   in Loop: Header=BB38_148 Depth=1
	v_add_nc_u32_e32 v44, 48, v97
	v_mov_b32_e32 v90, 0
	v_mov_b32_e32 v88, 0
	;; [unrolled: 1-line block ×3, first 2 shown]
	s_mov_b32 s2, exec_lo
	v_cmpx_gt_i32_e64 s3, v44
	s_cbranch_execz .LBB38_187
; %bb.186:                              ;   in Loop: Header=BB38_148 Depth=1
	flat_load_dwordx2 v[88:89], v[42:43]
.LBB38_187:                             ;   in Loop: Header=BB38_148 Depth=1
	s_or_b32 exec_lo, exec_lo, s2
	v_mov_b32_e32 v91, 0
	s_mov_b32 s2, exec_lo
	v_cmpx_gt_i32_e64 s3, v150
	s_cbranch_execz .LBB38_189
; %bb.188:                              ;   in Loop: Header=BB38_148 Depth=1
	v_add_co_u32 v44, vcc_lo, v117, v147
	v_add_co_ci_u32_e64 v45, null, v118, v148, vcc_lo
	flat_load_dwordx2 v[90:91], v[44:45]
.LBB38_189:                             ;   in Loop: Header=BB38_148 Depth=1
	s_or_b32 exec_lo, exec_lo, s2
	v_mov_b32_e32 v92, 0
	v_mov_b32_e32 v93, 0
	s_mov_b32 s2, exec_lo
	v_cmpx_gt_i32_e64 s3, v151
	s_cbranch_execz .LBB38_191
; %bb.190:                              ;   in Loop: Header=BB38_148 Depth=1
	v_add_co_u32 v44, vcc_lo, v111, v147
	v_add_co_ci_u32_e64 v45, null, v112, v148, vcc_lo
	flat_load_dwordx2 v[92:93], v[44:45]
.LBB38_191:                             ;   in Loop: Header=BB38_148 Depth=1
	s_or_b32 exec_lo, exec_lo, s2
	v_cmp_gt_i32_e64 s2, s3, v152
	s_branch .LBB38_194
.LBB38_192:                             ;   in Loop: Header=BB38_148 Depth=1
	s_mov_b32 s2, 0
                                        ; implicit-def: $vgpr89
                                        ; implicit-def: $vgpr91
                                        ; implicit-def: $vgpr93
	s_cbranch_execz .LBB38_194
; %bb.193:                              ;   in Loop: Header=BB38_148 Depth=1
	v_add_co_u32 v44, vcc_lo, v117, v147
	v_add_co_ci_u32_e64 v45, null, v118, v148, vcc_lo
	v_add_co_u32 v46, vcc_lo, v123, v147
	v_add_co_ci_u32_e64 v47, null, v124, v148, vcc_lo
	s_waitcnt vmcnt(0) lgkmcnt(0)
	flat_load_dwordx2 v[88:89], v[42:43]
	flat_load_dwordx2 v[90:91], v[44:45]
	;; [unrolled: 1-line block ×3, first 2 shown]
	s_or_b32 s2, s2, exec_lo
.LBB38_194:                             ;   in Loop: Header=BB38_148 Depth=1
	v_mov_b32_e32 v94, 0
	v_mov_b32_e32 v95, 0
	s_and_saveexec_b32 s12, s2
	s_cbranch_execz .LBB38_196
; %bb.195:                              ;   in Loop: Header=BB38_148 Depth=1
	v_add_co_u32 v42, vcc_lo, v107, v147
	v_add_co_ci_u32_e64 v43, null, v108, v148, vcc_lo
	flat_load_dwordx2 v[94:95], v[42:43]
.LBB38_196:                             ;   in Loop: Header=BB38_148 Depth=1
	s_or_b32 exec_lo, exec_lo, s12
	ds_read_b64 v[42:43], v102
	v_add_f32_e32 v54, 0, v54
	v_add_f32_e32 v55, 0, v55
	;; [unrolled: 1-line block ×10, first 2 shown]
	v_cmp_gt_i32_e32 vcc_lo, s3, v0
	v_add_f32_e32 v14, v14, v16
	v_add_f32_e32 v30, v38, v30
	;; [unrolled: 1-line block ×8, first 2 shown]
	s_waitcnt vmcnt(0) lgkmcnt(0)
	v_mul_f32_e32 v153, v89, v43
	v_mul_f32_e32 v44, v89, v42
	;; [unrolled: 1-line block ×8, first 2 shown]
	v_fmac_f32_e32 v153, v88, v42
	v_fma_f32 v154, v88, v43, -v44
	v_fmac_f32_e32 v155, v90, v42
	v_fma_f32 v156, v90, v43, -v45
	;; [unrolled: 2-line block ×4, first 2 shown]
	ds_read_b128 v[46:49], v101 offset:384
	ds_read_b128 v[42:45], v101 offset:400
	ds_write2_b64 v143, v[153:154], v[155:156] offset1:67
	ds_write2_b64 v143, v[157:158], v[159:160] offset0:134 offset1:201
	s_waitcnt lgkmcnt(0)
	s_barrier
	buffer_gl0_inv
	ds_read2_b64 v[153:156], v144 offset1:1
	v_add_f32_e32 v157, v55, v57
	ds_read2_b64 v[54:57], v144 offset0:2 offset1:3
	v_add_f32_e32 v12, v39, v12
	v_add_f32_e32 v13, v41, v13
	s_or_b32 s2, s5, vcc_lo
	v_add_f32_e32 v17, v157, v51
	s_and_b32 s3, s1, s2
	s_waitcnt lgkmcnt(0)
	s_barrier
	buffer_gl0_inv
	v_add_f32_e32 v11, v17, v53
	v_add_f32_e32 v38, 0, v153
	;; [unrolled: 1-line block ×10, first 2 shown]
	ds_write2_b64 v149, v[12:13], v[14:15] offset1:16
	ds_write2_b64 v149, v[10:11], v[16:17] offset0:32 offset1:48
	s_waitcnt lgkmcnt(0)
	s_barrier
	buffer_gl0_inv
	s_and_saveexec_b32 s2, s3
	s_cbranch_execz .LBB38_198
; %bb.197:                              ;   in Loop: Header=BB38_148 Depth=1
	ds_read_b64 v[38:39], v145
	ds_read2_b64 v[10:13], v145 offset0:1 offset1:2
	ds_read2_b64 v[14:17], v145 offset0:3 offset1:4
	;; [unrolled: 1-line block ×3, first 2 shown]
	v_ashrrev_i32_e32 v62, 31, v61
	s_waitcnt lgkmcnt(2)
	v_add_f32_e32 v10, v10, v38
	v_add_f32_e32 v11, v11, v39
	v_add_f32_e32 v38, v12, v10
	v_add_f32_e32 v39, v13, v11
	ds_read2_b64 v[10:13], v145 offset0:7 offset1:8
	s_waitcnt lgkmcnt(2)
	v_add_f32_e32 v14, v38, v14
	v_add_f32_e32 v15, v39, v15
	v_add_f32_e32 v38, v14, v16
	v_add_f32_e32 v39, v15, v17
	ds_read2_b64 v[14:17], v145 offset0:9 offset1:10
	;; [unrolled: 6-line block ×4, first 2 shown]
	s_waitcnt lgkmcnt(2)
	v_add_f32_e32 v14, v38, v14
	v_add_f32_e32 v15, v39, v15
	;; [unrolled: 1-line block ×4, first 2 shown]
	ds_read_b64 v[14:15], v146
	s_waitcnt lgkmcnt(2)
	v_add_f32_e32 v16, v16, v30
	v_add_f32_e32 v17, v17, v31
	;; [unrolled: 1-line block ×4, first 2 shown]
	s_waitcnt lgkmcnt(1)
	v_add_f32_e32 v10, v16, v10
	v_add_f32_e32 v11, v17, v11
	v_add_f32_e32 v12, v10, v12
	v_add_f32_e32 v13, v11, v13
	v_lshlrev_b64 v[10:11], 3, v[61:62]
	s_waitcnt lgkmcnt(0)
	v_add_f32_e32 v12, v12, v14
	v_add_f32_e32 v13, v13, v15
	v_add_co_u32 v10, vcc_lo, s7, v10
	v_add_co_ci_u32_e64 v11, null, s11, v11, vcc_lo
	global_store_dwordx2 v[10:11], v[12:13], off
.LBB38_198:                             ;   in Loop: Header=BB38_148 Depth=1
	s_or_b32 exec_lo, exec_lo, s2
	v_mul_f32_e32 v10, v65, v7
	v_mul_f32_e32 v7, v64, v7
	;; [unrolled: 1-line block ×5, first 2 shown]
	v_fma_f32 v10, v64, v6, -v10
	v_fmac_f32_e32 v7, v65, v6
	v_fma_f32 v11, v66, v8, -v11
	v_mul_f32_e32 v3, v68, v3
	v_mul_f32_e32 v13, v71, v5
	v_add_f32_e32 v10, v59, v10
	v_fma_f32 v6, v68, v2, -v12
	v_fmac_f32_e32 v9, v67, v8
	v_add_f32_e32 v7, v60, v7
	v_mul_f32_e32 v5, v70, v5
	v_add_f32_e32 v10, v10, v11
	v_mul_f32_e32 v14, v75, v23
	v_fma_f32 v8, v70, v4, -v13
	v_fmac_f32_e32 v3, v69, v2
	v_add_f32_e32 v2, v7, v9
	v_add_f32_e32 v6, v10, v6
	v_mul_f32_e32 v15, v74, v23
	v_mul_f32_e32 v11, v73, v25
	v_fma_f32 v7, v74, v22, -v14
	v_fmac_f32_e32 v5, v71, v4
	v_add_f32_e32 v6, v6, v8
	v_add_f32_e32 v2, v2, v3
	v_mul_f32_e32 v10, v72, v25
	v_mul_f32_e32 v8, v77, v19
	v_fma_f32 v3, v72, v24, -v11
	v_add_f32_e32 v4, v6, v7
	v_fmac_f32_e32 v15, v75, v22
	v_add_f32_e32 v2, v2, v5
	v_mul_f32_e32 v6, v79, v21
	v_fma_f32 v5, v76, v18, -v8
	v_add_f32_e32 v3, v4, v3
	v_mul_f32_e32 v4, v76, v19
	v_fmac_f32_e32 v10, v73, v24
	v_add_f32_e32 v2, v2, v15
	v_fma_f32 v6, v78, v20, -v6
	v_add_f32_e32 v3, v3, v5
	v_mul_f32_e32 v5, v83, v35
	v_fmac_f32_e32 v4, v77, v18
	v_add_f32_e32 v2, v2, v10
	v_mul_f32_e32 v7, v78, v21
	v_add_f32_e32 v3, v3, v6
	v_fma_f32 v5, v82, v34, -v5
	v_mul_f32_e32 v6, v81, v37
	v_add_f32_e32 v2, v2, v4
	v_fmac_f32_e32 v7, v79, v20
	v_mul_f32_e32 v4, v82, v35
	v_add_f32_e32 v3, v3, v5
	v_fma_f32 v5, v80, v36, -v6
	v_mul_f32_e32 v6, v85, v27
	v_add_f32_e32 v2, v2, v7
	v_fmac_f32_e32 v4, v83, v34
	v_mul_f32_e32 v7, v80, v37
	v_add_co_u32 v105, vcc_lo, v105, s8
	v_add_co_ci_u32_e64 v106, null, s9, v106, vcc_lo
	v_add_co_u32 v107, vcc_lo, v107, s8
	v_add_co_ci_u32_e64 v108, null, s9, v108, vcc_lo
	v_add_co_u32 v109, vcc_lo, v109, s8
	v_add_f32_e32 v3, v3, v5
	v_fma_f32 v5, v84, v26, -v6
	v_mul_f32_e32 v6, v87, v29
	v_add_f32_e32 v2, v2, v4
	v_fmac_f32_e32 v7, v81, v36
	v_mul_f32_e32 v4, v84, v27
	v_add_co_ci_u32_e64 v110, null, s9, v110, vcc_lo
	v_add_co_u32 v111, vcc_lo, v111, s8
	v_add_co_ci_u32_e64 v112, null, s9, v112, vcc_lo
	v_add_co_u32 v113, vcc_lo, v113, s8
	v_add_f32_e32 v3, v3, v5
	v_fma_f32 v5, v86, v28, -v6
	v_add_f32_e32 v2, v2, v7
	v_fmac_f32_e32 v4, v85, v26
	v_mul_f32_e32 v6, v89, v47
	v_mul_f32_e32 v7, v86, v29
	v_add_co_ci_u32_e64 v114, null, s9, v114, vcc_lo
	v_add_co_u32 v103, vcc_lo, v103, s8
	v_add_co_ci_u32_e64 v104, null, s9, v104, vcc_lo
	v_add_co_u32 v115, vcc_lo, v115, s8
	v_add_co_ci_u32_e64 v116, null, s9, v116, vcc_lo
	v_add_co_u32 v117, vcc_lo, v117, s8
	v_add_f32_e32 v3, v3, v5
	v_add_f32_e32 v2, v2, v4
	v_fma_f32 v4, v88, v46, -v6
	v_mul_f32_e32 v5, v91, v49
	v_fmac_f32_e32 v7, v87, v28
	v_mul_f32_e32 v6, v88, v47
	v_add_co_ci_u32_e64 v118, null, s9, v118, vcc_lo
	v_add_co_u32 v119, vcc_lo, v119, s8
	v_add_co_ci_u32_e64 v120, null, s9, v120, vcc_lo
	v_add_co_u32 v121, vcc_lo, v121, s8
	v_add_f32_e32 v3, v3, v4
	v_fma_f32 v4, v90, v48, -v5
	v_add_f32_e32 v2, v2, v7
	v_mul_f32_e32 v5, v90, v49
	v_fmac_f32_e32 v6, v89, v46
	v_add_co_ci_u32_e64 v122, null, s9, v122, vcc_lo
	v_add_co_u32 v123, vcc_lo, v123, s8
	v_add_co_ci_u32_e64 v124, null, s9, v124, vcc_lo
	v_add_co_u32 v125, vcc_lo, v125, s8
	;; [unrolled: 2-line block ×3, first 2 shown]
	v_mul_f32_e32 v7, v93, v43
	v_add_f32_e32 v3, v3, v4
	v_mul_f32_e32 v4, v92, v43
	v_fmac_f32_e32 v5, v91, v48
	v_add_f32_e32 v2, v2, v6
	v_add_co_ci_u32_e64 v128, null, s9, v128, vcc_lo
	v_add_co_u32 v129, vcc_lo, v129, s8
	v_add_co_ci_u32_e64 v130, null, s9, v130, vcc_lo
	v_add_co_u32 v131, vcc_lo, v131, s8
	v_fma_f32 v6, v92, v42, -v7
	v_mul_f32_e32 v7, v95, v45
	v_mul_f32_e32 v8, v94, v45
	v_fmac_f32_e32 v4, v93, v42
	v_add_f32_e32 v2, v2, v5
	v_add_co_ci_u32_e64 v132, null, s9, v132, vcc_lo
	v_add_co_u32 v133, vcc_lo, v133, s8
	v_add_co_ci_u32_e64 v134, null, s9, v134, vcc_lo
	v_add_co_u32 v135, vcc_lo, v135, s8
	;; [unrolled: 2-line block ×3, first 2 shown]
	v_add_f32_e32 v3, v3, v6
	v_fma_f32 v5, v94, v44, -v7
	v_fmac_f32_e32 v8, v95, v44
	v_add_f32_e32 v2, v2, v4
	v_add_co_ci_u32_e64 v138, null, s9, v138, vcc_lo
	v_add_co_u32 v139, vcc_lo, v139, s8
	v_add_co_ci_u32_e64 v140, null, s9, v140, vcc_lo
	v_add_co_u32 v141, vcc_lo, v141, s8
	v_add_f32_e32 v59, v3, v5
	v_add_f32_e32 v60, v2, v8
	v_add_nc_u32_e32 v61, 64, v61
	v_add_co_ci_u32_e64 v142, null, s9, v142, vcc_lo
	s_add_i32 s3, s6, 2
	s_add_i32 s2, s6, 1
	;; [unrolled: 1-line block ×3, first 2 shown]
	s_cmp_ge_u32 s3, s24
	s_waitcnt_vscnt null, 0x0
	s_barrier
	buffer_gl0_inv
	s_cbranch_scc0 .LBB38_143
.LBB38_199:
	v_cmp_gt_i32_e32 vcc_lo, s10, v0
	v_mad_u32_u24 v1, 0x218, v1, v96
	s_or_b32 s1, s26, vcc_lo
	ds_write_b64 v1, v[59:60]
	s_and_b32 s0, s0, s1
	s_waitcnt lgkmcnt(0)
	s_barrier
	buffer_gl0_inv
	s_and_saveexec_b32 s1, s0
	s_cbranch_execz .LBB38_201
; %bb.200:
	ds_read2_b64 v[0:3], v96 offset1:67
	ds_read2_b64 v[4:7], v96 offset0:134 offset1:201
	v_ashrrev_i32_e32 v59, 31, v58
	s_waitcnt lgkmcnt(1)
	v_add_f32_e32 v0, v2, v0
	v_add_f32_e32 v1, v3, v1
	s_waitcnt lgkmcnt(0)
	v_add_f32_e32 v2, v4, v0
	v_add_f32_e32 v3, v5, v1
	v_lshlrev_b64 v[0:1], 3, v[58:59]
	v_add_f32_e32 v2, v2, v6
	v_add_f32_e32 v3, v3, v7
	v_add_co_u32 v0, vcc_lo, s7, v0
	v_add_co_ci_u32_e64 v1, null, s11, v1, vcc_lo
	global_store_dwordx2 v[0:1], v[2:3], off
.LBB38_201:
	s_endpgm
	.section	.rodata,"a",@progbits
	.p2align	6, 0x0
	.amdhsa_kernel _ZL26rocblas_hemvn_kernel_upperILb1ELi64ELi4ELi33ELi32ELi16Ei19rocblas_complex_numIfEPKPKS1_PS1_EviT6_lT7_lT5_lS8_lS9_lS7_lT8_i
		.amdhsa_group_segment_fixed_size 9600
		.amdhsa_private_segment_fixed_size 0
		.amdhsa_kernarg_size 376
		.amdhsa_user_sgpr_count 6
		.amdhsa_user_sgpr_private_segment_buffer 1
		.amdhsa_user_sgpr_dispatch_ptr 0
		.amdhsa_user_sgpr_queue_ptr 0
		.amdhsa_user_sgpr_kernarg_segment_ptr 1
		.amdhsa_user_sgpr_dispatch_id 0
		.amdhsa_user_sgpr_flat_scratch_init 0
		.amdhsa_user_sgpr_private_segment_size 0
		.amdhsa_wavefront_size32 1
		.amdhsa_uses_dynamic_stack 0
		.amdhsa_system_sgpr_private_segment_wavefront_offset 0
		.amdhsa_system_sgpr_workgroup_id_x 1
		.amdhsa_system_sgpr_workgroup_id_y 0
		.amdhsa_system_sgpr_workgroup_id_z 1
		.amdhsa_system_sgpr_workgroup_info 0
		.amdhsa_system_vgpr_workitem_id 1
		.amdhsa_next_free_vgpr 161
		.amdhsa_next_free_sgpr 37
		.amdhsa_reserve_vcc 1
		.amdhsa_reserve_flat_scratch 1
		.amdhsa_float_round_mode_32 0
		.amdhsa_float_round_mode_16_64 0
		.amdhsa_float_denorm_mode_32 3
		.amdhsa_float_denorm_mode_16_64 3
		.amdhsa_dx10_clamp 1
		.amdhsa_ieee_mode 1
		.amdhsa_fp16_overflow 0
		.amdhsa_workgroup_processor_mode 1
		.amdhsa_memory_ordered 1
		.amdhsa_forward_progress 1
		.amdhsa_shared_vgpr_count 0
		.amdhsa_exception_fp_ieee_invalid_op 0
		.amdhsa_exception_fp_denorm_src 0
		.amdhsa_exception_fp_ieee_div_zero 0
		.amdhsa_exception_fp_ieee_overflow 0
		.amdhsa_exception_fp_ieee_underflow 0
		.amdhsa_exception_fp_ieee_inexact 0
		.amdhsa_exception_int_div_zero 0
	.end_amdhsa_kernel
	.section	.text._ZL26rocblas_hemvn_kernel_upperILb1ELi64ELi4ELi33ELi32ELi16Ei19rocblas_complex_numIfEPKPKS1_PS1_EviT6_lT7_lT5_lS8_lS9_lS7_lT8_i,"axG",@progbits,_ZL26rocblas_hemvn_kernel_upperILb1ELi64ELi4ELi33ELi32ELi16Ei19rocblas_complex_numIfEPKPKS1_PS1_EviT6_lT7_lT5_lS8_lS9_lS7_lT8_i,comdat
.Lfunc_end38:
	.size	_ZL26rocblas_hemvn_kernel_upperILb1ELi64ELi4ELi33ELi32ELi16Ei19rocblas_complex_numIfEPKPKS1_PS1_EviT6_lT7_lT5_lS8_lS9_lS7_lT8_i, .Lfunc_end38-_ZL26rocblas_hemvn_kernel_upperILb1ELi64ELi4ELi33ELi32ELi16Ei19rocblas_complex_numIfEPKPKS1_PS1_EviT6_lT7_lT5_lS8_lS9_lS7_lT8_i
                                        ; -- End function
	.set _ZL26rocblas_hemvn_kernel_upperILb1ELi64ELi4ELi33ELi32ELi16Ei19rocblas_complex_numIfEPKPKS1_PS1_EviT6_lT7_lT5_lS8_lS9_lS7_lT8_i.num_vgpr, 161
	.set _ZL26rocblas_hemvn_kernel_upperILb1ELi64ELi4ELi33ELi32ELi16Ei19rocblas_complex_numIfEPKPKS1_PS1_EviT6_lT7_lT5_lS8_lS9_lS7_lT8_i.num_agpr, 0
	.set _ZL26rocblas_hemvn_kernel_upperILb1ELi64ELi4ELi33ELi32ELi16Ei19rocblas_complex_numIfEPKPKS1_PS1_EviT6_lT7_lT5_lS8_lS9_lS7_lT8_i.numbered_sgpr, 37
	.set _ZL26rocblas_hemvn_kernel_upperILb1ELi64ELi4ELi33ELi32ELi16Ei19rocblas_complex_numIfEPKPKS1_PS1_EviT6_lT7_lT5_lS8_lS9_lS7_lT8_i.num_named_barrier, 0
	.set _ZL26rocblas_hemvn_kernel_upperILb1ELi64ELi4ELi33ELi32ELi16Ei19rocblas_complex_numIfEPKPKS1_PS1_EviT6_lT7_lT5_lS8_lS9_lS7_lT8_i.private_seg_size, 0
	.set _ZL26rocblas_hemvn_kernel_upperILb1ELi64ELi4ELi33ELi32ELi16Ei19rocblas_complex_numIfEPKPKS1_PS1_EviT6_lT7_lT5_lS8_lS9_lS7_lT8_i.uses_vcc, 1
	.set _ZL26rocblas_hemvn_kernel_upperILb1ELi64ELi4ELi33ELi32ELi16Ei19rocblas_complex_numIfEPKPKS1_PS1_EviT6_lT7_lT5_lS8_lS9_lS7_lT8_i.uses_flat_scratch, 1
	.set _ZL26rocblas_hemvn_kernel_upperILb1ELi64ELi4ELi33ELi32ELi16Ei19rocblas_complex_numIfEPKPKS1_PS1_EviT6_lT7_lT5_lS8_lS9_lS7_lT8_i.has_dyn_sized_stack, 0
	.set _ZL26rocblas_hemvn_kernel_upperILb1ELi64ELi4ELi33ELi32ELi16Ei19rocblas_complex_numIfEPKPKS1_PS1_EviT6_lT7_lT5_lS8_lS9_lS7_lT8_i.has_recursion, 0
	.set _ZL26rocblas_hemvn_kernel_upperILb1ELi64ELi4ELi33ELi32ELi16Ei19rocblas_complex_numIfEPKPKS1_PS1_EviT6_lT7_lT5_lS8_lS9_lS7_lT8_i.has_indirect_call, 0
	.section	.AMDGPU.csdata,"",@progbits
; Kernel info:
; codeLenInByte = 10088
; TotalNumSgprs: 39
; NumVgprs: 161
; ScratchSize: 0
; MemoryBound: 1
; FloatMode: 240
; IeeeMode: 1
; LDSByteSize: 9600 bytes/workgroup (compile time only)
; SGPRBlocks: 0
; VGPRBlocks: 20
; NumSGPRsForWavesPerEU: 39
; NumVGPRsForWavesPerEU: 161
; Occupancy: 5
; WaveLimiterHint : 1
; COMPUTE_PGM_RSRC2:SCRATCH_EN: 0
; COMPUTE_PGM_RSRC2:USER_SGPR: 6
; COMPUTE_PGM_RSRC2:TRAP_HANDLER: 0
; COMPUTE_PGM_RSRC2:TGID_X_EN: 1
; COMPUTE_PGM_RSRC2:TGID_Y_EN: 0
; COMPUTE_PGM_RSRC2:TGID_Z_EN: 1
; COMPUTE_PGM_RSRC2:TIDIG_COMP_CNT: 1
	.section	.text._ZL36rocblas_hemvn_kernel_upper_block_sumILi64Ei19rocblas_complex_numIfEPKPS1_S1_EviT1_lS5_lT2_lT0_lPT3_i,"axG",@progbits,_ZL36rocblas_hemvn_kernel_upper_block_sumILi64Ei19rocblas_complex_numIfEPKPS1_S1_EviT1_lS5_lT2_lT0_lPT3_i,comdat
	.globl	_ZL36rocblas_hemvn_kernel_upper_block_sumILi64Ei19rocblas_complex_numIfEPKPS1_S1_EviT1_lS5_lT2_lT0_lPT3_i ; -- Begin function _ZL36rocblas_hemvn_kernel_upper_block_sumILi64Ei19rocblas_complex_numIfEPKPS1_S1_EviT1_lS5_lT2_lT0_lPT3_i
	.p2align	8
	.type	_ZL36rocblas_hemvn_kernel_upper_block_sumILi64Ei19rocblas_complex_numIfEPKPS1_S1_EviT1_lS5_lT2_lT0_lPT3_i,@function
_ZL36rocblas_hemvn_kernel_upper_block_sumILi64Ei19rocblas_complex_numIfEPKPS1_S1_EviT1_lS5_lT2_lT0_lPT3_i: ; @_ZL36rocblas_hemvn_kernel_upper_block_sumILi64Ei19rocblas_complex_numIfEPKPS1_S1_EviT1_lS5_lT2_lT0_lPT3_i
; %bb.0:
	s_clause 0x1
	s_load_dwordx4 s[8:11], s[4:5], 0x0
	s_load_dwordx2 s[2:3], s[4:5], 0x18
	s_mov_b32 s12, s7
	s_waitcnt lgkmcnt(0)
	s_or_b32 s0, s9, s10
	s_bitset0_b32 s0, 31
	s_cmp_eq_u32 s0, 0
	s_cselect_b32 s1, -1, 0
	s_cmp_lg_u32 s0, 0
	s_mov_b32 s0, -1
	s_cbranch_scc1 .LBB39_2
; %bb.1:
	v_cmp_neq_f32_e64 s0, s2, 1.0
	v_cmp_neq_f32_e64 s7, s3, 0
	s_or_b32 s0, s0, s7
.LBB39_2:
	s_andn2_b32 vcc_lo, exec_lo, s0
	s_cbranch_vccnz .LBB39_19
; %bb.3:
	s_load_dwordx4 s[16:19], s[4:5], 0x28
	s_mov_b32 s13, 0
	v_lshl_or_b32 v0, s6, 6, v0
	s_lshl_b64 s[14:15], s[12:13], 3
	s_load_dword s13, s[4:5], 0x38
	v_cmp_gt_i32_e64 s0, s8, v0
	s_waitcnt lgkmcnt(0)
	s_add_u32 s14, s16, s14
	s_addc_u32 s15, s17, s15
	s_lshl_b64 s[16:17], s[18:19], 3
	s_load_dwordx2 s[14:15], s[14:15], 0x0
	s_waitcnt lgkmcnt(0)
	s_add_u32 s7, s14, s16
	s_addc_u32 s11, s15, s17
	s_andn2_b32 vcc_lo, exec_lo, s1
	s_mov_b32 s1, -1
	s_cbranch_vccnz .LBB39_9
; %bb.4:
	s_and_saveexec_b32 s1, s0
	s_cbranch_execz .LBB39_8
; %bb.5:
	v_mul_lo_u32 v1, s13, v0
	v_cmp_neq_f32_e64 s0, s2, 0
	v_cmp_neq_f32_e64 s14, s3, 0
	v_mov_b32_e32 v3, 0
	v_mov_b32_e32 v4, 0
	s_or_b32 s0, s0, s14
	v_ashrrev_i32_e32 v2, 31, v1
	s_andn2_b32 vcc_lo, exec_lo, s0
	v_lshlrev_b64 v[1:2], 3, v[1:2]
	s_cbranch_vccnz .LBB39_7
; %bb.6:
	v_add_co_u32 v3, vcc_lo, s7, v1
	v_add_co_ci_u32_e64 v4, null, s11, v2, vcc_lo
	flat_load_dwordx2 v[5:6], v[3:4]
	s_waitcnt vmcnt(0) lgkmcnt(0)
	v_mul_f32_e32 v3, s3, v6
	v_mul_f32_e32 v4, s2, v6
	v_fma_f32 v3, v5, s2, -v3
	v_fmac_f32_e32 v4, s3, v5
.LBB39_7:
	v_add_co_u32 v1, vcc_lo, s7, v1
	v_add_co_ci_u32_e64 v2, null, s11, v2, vcc_lo
	flat_store_dwordx2 v[1:2], v[3:4]
.LBB39_8:
	s_or_b32 exec_lo, exec_lo, s1
	s_mov_b32 s1, 0
.LBB39_9:
	s_andn2_b32 vcc_lo, exec_lo, s1
	s_cbranch_vccnz .LBB39_19
; %bb.10:
	s_mov_b32 s0, exec_lo
	v_cmpx_gt_i32_e64 s8, v0
	s_cbranch_execz .LBB39_19
; %bb.11:
	v_mov_b32_e32 v1, 0
	v_mov_b32_e32 v4, 0
	s_cmp_lt_i32 s6, 0
	s_cbranch_scc1 .LBB39_14
; %bb.12:
	s_clause 0x1
	s_load_dword s14, s[4:5], 0x58
	s_load_dwordx2 s[0:1], s[4:5], 0x48
	s_ashr_i32 s15, s8, 31
	s_mul_hi_u32 s4, s8, s12
	s_mul_i32 s5, s15, s12
	v_mov_b32_e32 v1, 0
	s_add_i32 s4, s4, s5
	s_mul_i32 s5, s8, s12
	v_lshlrev_b64 v[2:3], 3, v[0:1]
	v_mov_b32_e32 v4, v1
	s_waitcnt lgkmcnt(0)
	s_mul_i32 s12, s4, s14
	s_mul_hi_u32 s16, s5, s14
	s_mul_i32 s4, s5, s14
	s_add_i32 s5, s16, s12
	s_mov_b32 s14, s8
	s_lshl_b64 s[16:17], s[4:5], 3
	s_add_i32 s4, s6, 1
	s_add_u32 s0, s0, s16
	s_addc_u32 s1, s1, s17
	v_add_co_u32 v2, vcc_lo, s0, v2
	v_add_co_ci_u32_e64 v3, null, s1, v3, vcc_lo
	s_lshl_b64 s[0:1], s[14:15], 3
	v_add_co_u32 v2, vcc_lo, v2, 4
	v_add_co_ci_u32_e64 v3, null, 0, v3, vcc_lo
.LBB39_13:                              ; =>This Inner Loop Header: Depth=1
	global_load_dwordx2 v[5:6], v[2:3], off offset:-4
	v_add_co_u32 v2, vcc_lo, v2, s0
	v_add_co_ci_u32_e64 v3, null, s1, v3, vcc_lo
	s_add_i32 s4, s4, -1
	s_cmp_eq_u32 s4, 0
	s_waitcnt vmcnt(0)
	v_add_f32_e32 v4, v4, v5
	v_add_f32_e32 v1, v1, v6
	s_cbranch_scc0 .LBB39_13
.LBB39_14:
	v_mul_lo_u32 v2, s13, v0
	v_mul_f32_e32 v0, s10, v1
	v_mul_f32_e32 v1, s9, v1
	v_cmp_neq_f32_e64 s0, s2, 0
	v_cmp_neq_f32_e64 s1, s3, 0
	v_fma_f32 v0, v4, s9, -v0
	v_fmac_f32_e32 v1, s10, v4
	v_ashrrev_i32_e32 v3, 31, v2
	s_or_b32 s0, s0, s1
	s_andn2_b32 vcc_lo, exec_lo, s0
	s_mov_b32 s0, 0
	s_cbranch_vccnz .LBB39_16
; %bb.15:
	s_mov_b32 s0, -1
.LBB39_16:
	s_andn2_b32 vcc_lo, exec_lo, s0
	s_cbranch_vccnz .LBB39_18
; %bb.17:
	v_lshlrev_b64 v[4:5], 3, v[2:3]
	v_add_co_u32 v4, vcc_lo, s7, v4
	v_add_co_ci_u32_e64 v5, null, s11, v5, vcc_lo
	flat_load_dwordx2 v[4:5], v[4:5]
	s_waitcnt vmcnt(0) lgkmcnt(0)
	v_mul_f32_e32 v6, s3, v5
	v_mul_f32_e32 v5, s2, v5
	v_fma_f32 v6, v4, s2, -v6
	v_fmac_f32_e32 v5, s3, v4
	v_add_f32_e32 v0, v0, v6
	v_add_f32_e32 v1, v1, v5
.LBB39_18:
	v_lshlrev_b64 v[2:3], 3, v[2:3]
	v_add_co_u32 v2, vcc_lo, s7, v2
	v_add_co_ci_u32_e64 v3, null, s11, v3, vcc_lo
	flat_store_dwordx2 v[2:3], v[0:1]
.LBB39_19:
	s_endpgm
	.section	.rodata,"a",@progbits
	.p2align	6, 0x0
	.amdhsa_kernel _ZL36rocblas_hemvn_kernel_upper_block_sumILi64Ei19rocblas_complex_numIfEPKPS1_S1_EviT1_lS5_lT2_lT0_lPT3_i
		.amdhsa_group_segment_fixed_size 0
		.amdhsa_private_segment_fixed_size 0
		.amdhsa_kernarg_size 344
		.amdhsa_user_sgpr_count 6
		.amdhsa_user_sgpr_private_segment_buffer 1
		.amdhsa_user_sgpr_dispatch_ptr 0
		.amdhsa_user_sgpr_queue_ptr 0
		.amdhsa_user_sgpr_kernarg_segment_ptr 1
		.amdhsa_user_sgpr_dispatch_id 0
		.amdhsa_user_sgpr_flat_scratch_init 0
		.amdhsa_user_sgpr_private_segment_size 0
		.amdhsa_wavefront_size32 1
		.amdhsa_uses_dynamic_stack 0
		.amdhsa_system_sgpr_private_segment_wavefront_offset 0
		.amdhsa_system_sgpr_workgroup_id_x 1
		.amdhsa_system_sgpr_workgroup_id_y 0
		.amdhsa_system_sgpr_workgroup_id_z 1
		.amdhsa_system_sgpr_workgroup_info 0
		.amdhsa_system_vgpr_workitem_id 0
		.amdhsa_next_free_vgpr 7
		.amdhsa_next_free_sgpr 20
		.amdhsa_reserve_vcc 1
		.amdhsa_reserve_flat_scratch 0
		.amdhsa_float_round_mode_32 0
		.amdhsa_float_round_mode_16_64 0
		.amdhsa_float_denorm_mode_32 3
		.amdhsa_float_denorm_mode_16_64 3
		.amdhsa_dx10_clamp 1
		.amdhsa_ieee_mode 1
		.amdhsa_fp16_overflow 0
		.amdhsa_workgroup_processor_mode 1
		.amdhsa_memory_ordered 1
		.amdhsa_forward_progress 1
		.amdhsa_shared_vgpr_count 0
		.amdhsa_exception_fp_ieee_invalid_op 0
		.amdhsa_exception_fp_denorm_src 0
		.amdhsa_exception_fp_ieee_div_zero 0
		.amdhsa_exception_fp_ieee_overflow 0
		.amdhsa_exception_fp_ieee_underflow 0
		.amdhsa_exception_fp_ieee_inexact 0
		.amdhsa_exception_int_div_zero 0
	.end_amdhsa_kernel
	.section	.text._ZL36rocblas_hemvn_kernel_upper_block_sumILi64Ei19rocblas_complex_numIfEPKPS1_S1_EviT1_lS5_lT2_lT0_lPT3_i,"axG",@progbits,_ZL36rocblas_hemvn_kernel_upper_block_sumILi64Ei19rocblas_complex_numIfEPKPS1_S1_EviT1_lS5_lT2_lT0_lPT3_i,comdat
.Lfunc_end39:
	.size	_ZL36rocblas_hemvn_kernel_upper_block_sumILi64Ei19rocblas_complex_numIfEPKPS1_S1_EviT1_lS5_lT2_lT0_lPT3_i, .Lfunc_end39-_ZL36rocblas_hemvn_kernel_upper_block_sumILi64Ei19rocblas_complex_numIfEPKPS1_S1_EviT1_lS5_lT2_lT0_lPT3_i
                                        ; -- End function
	.set _ZL36rocblas_hemvn_kernel_upper_block_sumILi64Ei19rocblas_complex_numIfEPKPS1_S1_EviT1_lS5_lT2_lT0_lPT3_i.num_vgpr, 7
	.set _ZL36rocblas_hemvn_kernel_upper_block_sumILi64Ei19rocblas_complex_numIfEPKPS1_S1_EviT1_lS5_lT2_lT0_lPT3_i.num_agpr, 0
	.set _ZL36rocblas_hemvn_kernel_upper_block_sumILi64Ei19rocblas_complex_numIfEPKPS1_S1_EviT1_lS5_lT2_lT0_lPT3_i.numbered_sgpr, 20
	.set _ZL36rocblas_hemvn_kernel_upper_block_sumILi64Ei19rocblas_complex_numIfEPKPS1_S1_EviT1_lS5_lT2_lT0_lPT3_i.num_named_barrier, 0
	.set _ZL36rocblas_hemvn_kernel_upper_block_sumILi64Ei19rocblas_complex_numIfEPKPS1_S1_EviT1_lS5_lT2_lT0_lPT3_i.private_seg_size, 0
	.set _ZL36rocblas_hemvn_kernel_upper_block_sumILi64Ei19rocblas_complex_numIfEPKPS1_S1_EviT1_lS5_lT2_lT0_lPT3_i.uses_vcc, 1
	.set _ZL36rocblas_hemvn_kernel_upper_block_sumILi64Ei19rocblas_complex_numIfEPKPS1_S1_EviT1_lS5_lT2_lT0_lPT3_i.uses_flat_scratch, 0
	.set _ZL36rocblas_hemvn_kernel_upper_block_sumILi64Ei19rocblas_complex_numIfEPKPS1_S1_EviT1_lS5_lT2_lT0_lPT3_i.has_dyn_sized_stack, 0
	.set _ZL36rocblas_hemvn_kernel_upper_block_sumILi64Ei19rocblas_complex_numIfEPKPS1_S1_EviT1_lS5_lT2_lT0_lPT3_i.has_recursion, 0
	.set _ZL36rocblas_hemvn_kernel_upper_block_sumILi64Ei19rocblas_complex_numIfEPKPS1_S1_EviT1_lS5_lT2_lT0_lPT3_i.has_indirect_call, 0
	.section	.AMDGPU.csdata,"",@progbits
; Kernel info:
; codeLenInByte = 712
; TotalNumSgprs: 22
; NumVgprs: 7
; ScratchSize: 0
; MemoryBound: 0
; FloatMode: 240
; IeeeMode: 1
; LDSByteSize: 0 bytes/workgroup (compile time only)
; SGPRBlocks: 0
; VGPRBlocks: 0
; NumSGPRsForWavesPerEU: 22
; NumVGPRsForWavesPerEU: 7
; Occupancy: 16
; WaveLimiterHint : 1
; COMPUTE_PGM_RSRC2:SCRATCH_EN: 0
; COMPUTE_PGM_RSRC2:USER_SGPR: 6
; COMPUTE_PGM_RSRC2:TRAP_HANDLER: 0
; COMPUTE_PGM_RSRC2:TGID_X_EN: 1
; COMPUTE_PGM_RSRC2:TGID_Y_EN: 0
; COMPUTE_PGM_RSRC2:TGID_Z_EN: 1
; COMPUTE_PGM_RSRC2:TIDIG_COMP_CNT: 0
	.section	.text._ZL26rocblas_hemvn_kernel_lowerILb1ELi64ELi4ELi33ELi32ELi16ElPK19rocblas_complex_numIfEPKS3_PS1_EviT6_lT7_lT5_lS8_lS9_lS7_lT8_i,"axG",@progbits,_ZL26rocblas_hemvn_kernel_lowerILb1ELi64ELi4ELi33ELi32ELi16ElPK19rocblas_complex_numIfEPKS3_PS1_EviT6_lT7_lT5_lS8_lS9_lS7_lT8_i,comdat
	.globl	_ZL26rocblas_hemvn_kernel_lowerILb1ELi64ELi4ELi33ELi32ELi16ElPK19rocblas_complex_numIfEPKS3_PS1_EviT6_lT7_lT5_lS8_lS9_lS7_lT8_i ; -- Begin function _ZL26rocblas_hemvn_kernel_lowerILb1ELi64ELi4ELi33ELi32ELi16ElPK19rocblas_complex_numIfEPKS3_PS1_EviT6_lT7_lT5_lS8_lS9_lS7_lT8_i
	.p2align	8
	.type	_ZL26rocblas_hemvn_kernel_lowerILb1ELi64ELi4ELi33ELi32ELi16ElPK19rocblas_complex_numIfEPKS3_PS1_EviT6_lT7_lT5_lS8_lS9_lS7_lT8_i,@function
_ZL26rocblas_hemvn_kernel_lowerILb1ELi64ELi4ELi33ELi32ELi16ElPK19rocblas_complex_numIfEPKS3_PS1_EviT6_lT7_lT5_lS8_lS9_lS7_lT8_i: ; @_ZL26rocblas_hemvn_kernel_lowerILb1ELi64ELi4ELi33ELi32ELi16ElPK19rocblas_complex_numIfEPKS3_PS1_EviT6_lT7_lT5_lS8_lS9_lS7_lT8_i
; %bb.0:
	s_load_dwordx2 s[0:1], s[4:5], 0x84
	s_add_u32 s22, s4, 0x78
	s_addc_u32 s23, s5, 0
	s_waitcnt lgkmcnt(0)
	s_lshr_b32 s2, s0, 16
	s_and_b32 s0, s0, 0xffff
	s_and_b32 s1, s1, 0xffff
	s_mul_i32 s0, s2, s0
	s_mul_i32 s0, s0, s1
	s_cmpk_lg_i32 s0, 0x100
	s_cbranch_scc1 .LBB40_150
; %bb.1:
	s_load_dwordx8 s[8:15], s[4:5], 0x8
	s_mov_b32 s16, s7
	s_mov_b32 s17, 0
	s_waitcnt lgkmcnt(0)
	s_mul_i32 s0, s11, s7
	s_mul_hi_u32 s1, s10, s7
	s_add_i32 s1, s1, s0
	s_mul_i32 s0, s10, s7
	s_lshl_b64 s[0:1], s[0:1], 3
	s_add_u32 s0, s8, s0
	s_addc_u32 s1, s9, s1
	s_load_dwordx2 s[8:9], s[0:1], 0x0
	s_clause 0x1
	s_load_dwordx2 s[18:19], s[4:5], 0x68
	s_load_dwordx4 s[0:3], s[4:5], 0x58
	s_waitcnt lgkmcnt(0)
	s_or_b32 s7, s8, s9
	s_bitset0_b32 s7, 31
	s_cmp_lg_u32 s7, 0
	s_mov_b32 s7, -1
	s_cbranch_scc1 .LBB40_3
; %bb.2:
	s_mul_i32 s3, s3, s16
	s_mul_hi_u32 s7, s2, s16
	s_mul_i32 s2, s2, s16
	s_add_i32 s3, s7, s3
	s_mov_b32 s7, 0
	s_lshl_b64 s[2:3], s[2:3], 3
	s_add_u32 s0, s0, s2
	s_addc_u32 s1, s1, s3
	s_load_dwordx2 s[0:1], s[0:1], 0x0
	s_waitcnt lgkmcnt(0)
	v_cmp_eq_f32_e64 s0, s0, 1.0
	v_cmp_eq_f32_e64 s1, s1, 0
	s_and_b32 s0, s0, s1
	s_andn2_b32 vcc_lo, exec_lo, s0
.LBB40_3:
	s_andn2_b32 vcc_lo, exec_lo, s7
	s_cbranch_vccnz .LBB40_150
; %bb.4:
	s_load_dwordx4 s[0:3], s[4:5], 0x38
	s_lshl_b64 s[8:9], s[16:17], 3
	s_load_dword s17, s[4:5], 0x0
	s_add_u32 s24, s12, s8
	s_addc_u32 s25, s13, s9
	s_load_dwordx2 s[10:11], s[4:5], 0x48
	s_load_dword s26, s[22:23], 0x0
	s_waitcnt lgkmcnt(0)
	s_add_u32 s0, s0, s8
	s_addc_u32 s1, s1, s9
	s_lshl_b64 s[2:3], s[2:3], 3
	s_load_dwordx2 s[0:1], s[0:1], 0x0
	s_waitcnt lgkmcnt(0)
	s_add_u32 s7, s0, s2
	s_addc_u32 s1, s1, s3
	s_lshl_b32 s20, s6, 6
	s_load_dwordx2 s[12:13], s[4:5], 0x28
	s_load_dwordx2 s[2:3], s[24:25], 0x0
	v_add_nc_u32_e32 v34, s20, v0
	s_ashr_i32 s27, s17, 31
	s_add_i32 s5, s26, -1
	s_lshr_b32 s0, s27, 26
	v_ashrrev_i32_e32 v35, 31, v34
	v_mul_lo_u32 v4, s11, v34
	v_mad_u64_u32 v[2:3], null, s10, v34, 0
	s_add_i32 s4, s17, s0
	v_mul_lo_u32 v5, s10, v35
	s_andn2_b32 s4, s4, 63
	v_cmp_ne_u32_e64 s0, 0, v1
	s_sub_i32 s8, s17, s4
	s_cmp_eq_u32 s6, s5
	s_mov_b32 s4, -1
	s_cselect_b32 s22, s8, 0
	v_add3_u32 v3, v3, v5, v4
	v_lshlrev_b64 v[2:3], 3, v[2:3]
	v_add_co_u32 v18, vcc_lo, s7, v2
	v_add_co_ci_u32_e64 v19, null, s1, v3, vcc_lo
	v_cmp_eq_u32_e64 s1, 0, v1
	s_and_saveexec_b32 s5, s1
	s_cbranch_execz .LBB40_9
; %bb.5:
	v_cmp_le_i32_e32 vcc_lo, s22, v0
	s_cmp_lg_u32 s22, 0
	v_lshl_add_u32 v2, v0, 3, 0x2380
	s_cselect_b32 s7, -1, 0
	s_and_b32 s7, s7, vcc_lo
	s_and_saveexec_b32 s8, s7
	s_xor_b32 s7, exec_lo, s8
; %bb.6:
	v_mov_b32_e32 v3, 0
	v_mov_b32_e32 v4, v3
	ds_write_b64 v2, v[3:4]
                                        ; implicit-def: $vgpr2
; %bb.7:
	s_andn2_saveexec_b32 s7, s7
	s_cbranch_execz .LBB40_9
; %bb.8:
	flat_load_dwordx2 v[3:4], v[18:19]
	s_waitcnt vmcnt(0) lgkmcnt(0)
	ds_write_b64 v2, v[3:4]
.LBB40_9:
	s_or_b32 exec_lo, exec_lo, s5
	v_lshl_add_u32 v24, v1, 6, v0
	v_and_b32_e32 v2, 31, v0
	v_mov_b32_e32 v3, 0
	s_lshl_b64 s[8:9], s[14:15], 3
	s_waitcnt lgkmcnt(0)
	s_mul_hi_u32 s5, s12, s20
	v_lshrrev_b32_e32 v7, 5, v24
	s_add_u32 s7, s2, s8
	s_addc_u32 s8, s3, s9
	s_ashr_i32 s21, s20, 31
	s_mul_i32 s9, s13, s20
	v_mad_u64_u32 v[3:4], null, s12, v7, v[2:3]
	s_lshl_b64 s[2:3], s[20:21], 3
	s_mul_i32 s14, s12, s21
	s_add_u32 s7, s7, s2
	s_addc_u32 s8, s8, s3
	s_add_i32 s3, s5, s14
	s_mul_i32 s2, s12, s20
	v_mad_u64_u32 v[4:5], null, s13, v7, v[4:5]
	s_add_i32 s3, s3, s9
	s_lshl_b64 s[14:15], s[2:3], 3
	s_cmp_lg_u32 s22, 0
	s_cselect_b32 s28, -1, 0
	v_lshlrev_b64 v[20:21], 3, v[3:4]
	s_cmp_eq_u32 s22, 0
	v_add_co_u32 v3, vcc_lo, s7, v20
	v_add_co_ci_u32_e64 v4, null, s8, v21, vcc_lo
	s_cselect_b32 s8, -1, 0
	v_add_co_u32 v3, vcc_lo, v3, s14
	v_add_co_ci_u32_e64 v4, null, s15, v4, vcc_lo
	s_and_b32 vcc_lo, exec_lo, s28
	s_cbranch_vccnz .LBB40_11
; %bb.10:
	s_lshl_b64 s[2:3], s[12:13], 6
	v_mul_u32_u24_e32 v14, 0x108, v7
	v_add_co_u32 v5, vcc_lo, v3, s2
	v_add_co_ci_u32_e64 v6, null, s3, v4, vcc_lo
	v_lshl_add_u32 v14, v2, 3, v14
	v_add_co_u32 v8, vcc_lo, v5, s2
	v_add_co_ci_u32_e64 v9, null, s3, v6, vcc_lo
	s_mov_b32 s4, 0
	v_add_co_u32 v10, vcc_lo, v8, s2
	v_add_co_ci_u32_e64 v11, null, s3, v9, vcc_lo
	s_clause 0x3
	flat_load_dwordx2 v[12:13], v[3:4]
	flat_load_dwordx2 v[5:6], v[5:6]
	;; [unrolled: 1-line block ×4, first 2 shown]
	s_waitcnt vmcnt(3) lgkmcnt(3)
	ds_write_b64 v14, v[12:13]
	s_waitcnt vmcnt(2) lgkmcnt(3)
	ds_write_b64 v14, v[5:6] offset:2112
	s_waitcnt vmcnt(1) lgkmcnt(3)
	ds_write_b64 v14, v[8:9] offset:4224
	s_waitcnt vmcnt(0) lgkmcnt(3)
	ds_write_b64 v14, v[10:11] offset:6336
.LBB40_11:
	v_lshlrev_b32_e32 v8, 3, v2
	s_andn2_b32 vcc_lo, exec_lo, s4
	s_cbranch_vccnz .LBB40_29
; %bb.12:
	v_lshlrev_b32_e32 v9, 3, v2
	s_ashr_i32 s23, s22, 31
	v_cmp_le_i32_e64 s2, s22, v7
	s_lshl_b64 s[4:5], s[22:23], 3
	v_mul_u32_u24_e32 v10, 0x108, v7
	v_sub_co_u32 v5, vcc_lo, v3, v9
	v_subrev_co_ci_u32_e64 v6, null, 0, v4, vcc_lo
	v_add_co_u32 v5, vcc_lo, v5, s4
	v_add_co_ci_u32_e64 v6, null, s5, v6, vcc_lo
	v_add_co_u32 v5, vcc_lo, v5, -8
	v_add_co_ci_u32_e64 v6, null, -1, v6, vcc_lo
	v_cmp_gt_i32_e32 vcc_lo, s22, v2
	v_cndmask_b32_e32 v6, v6, v4, vcc_lo
	v_cndmask_b32_e32 v5, v5, v3, vcc_lo
	s_and_saveexec_b32 s3, s2
	s_xor_b32 s2, exec_lo, s3
	s_cbranch_execz .LBB40_14
; %bb.13:
	v_mov_b32_e32 v11, 0
	v_add_nc_u32_e32 v13, v8, v10
	v_mov_b32_e32 v12, v11
	ds_write_b64 v13, v[11:12]
.LBB40_14:
	s_andn2_saveexec_b32 s2, s2
	s_cbranch_execz .LBB40_16
; %bb.15:
	flat_load_dwordx2 v[11:12], v[5:6]
	v_add_nc_u32_e32 v13, v8, v10
	s_waitcnt vmcnt(0) lgkmcnt(0)
	ds_write_b64 v13, v[11:12]
.LBB40_16:
	s_or_b32 exec_lo, exec_lo, s2
	v_add_nc_u32_e32 v11, 8, v7
	v_cmp_le_i32_e64 s2, s22, v11
	s_and_saveexec_b32 s3, s2
	s_xor_b32 s2, exec_lo, s3
	s_cbranch_execz .LBB40_18
; %bb.17:
	v_mov_b32_e32 v11, 0
	v_add_nc_u32_e32 v13, v10, v8
	v_mov_b32_e32 v12, v11
	ds_write_b64 v13, v[11:12] offset:2112
.LBB40_18:
	s_andn2_saveexec_b32 s3, s2
	s_cbranch_execz .LBB40_20
; %bb.19:
	s_lshl_b64 s[24:25], s[12:13], 6
	v_add_nc_u32_e32 v13, v10, v8
	v_add_co_u32 v11, s2, v5, s24
	v_add_co_ci_u32_e64 v12, null, s25, v6, s2
	flat_load_dwordx2 v[11:12], v[11:12]
	s_waitcnt vmcnt(0) lgkmcnt(0)
	ds_write_b64 v13, v[11:12] offset:2112
.LBB40_20:
	s_or_b32 exec_lo, exec_lo, s3
	v_add_nc_u32_e32 v11, 16, v7
	v_cmp_le_i32_e64 s2, s22, v11
	s_and_saveexec_b32 s3, s2
	s_xor_b32 s2, exec_lo, s3
	s_cbranch_execz .LBB40_22
; %bb.21:
	v_mov_b32_e32 v11, 0
	v_add_nc_u32_e32 v13, v10, v8
	v_mov_b32_e32 v12, v11
	ds_write_b64 v13, v[11:12] offset:4224
.LBB40_22:
	s_andn2_saveexec_b32 s3, s2
	s_cbranch_execz .LBB40_24
; %bb.23:
	s_lshl_b64 s[24:25], s[12:13], 7
	v_add_nc_u32_e32 v13, v10, v8
	v_add_co_u32 v11, s2, v5, s24
	v_add_co_ci_u32_e64 v12, null, s25, v6, s2
	flat_load_dwordx2 v[11:12], v[11:12]
	s_waitcnt vmcnt(0) lgkmcnt(0)
	ds_write_b64 v13, v[11:12] offset:4224
.LBB40_24:
	s_or_b32 exec_lo, exec_lo, s3
	v_add_nc_u32_e32 v11, 24, v7
	v_cmp_le_i32_e64 s2, s22, v11
	s_and_saveexec_b32 s3, s2
	s_xor_b32 s2, exec_lo, s3
	s_cbranch_execz .LBB40_26
; %bb.25:
	v_mov_b32_e32 v11, 0
	v_add_nc_u32_e32 v10, v10, v8
	v_mov_b32_e32 v12, v11
	ds_write_b64 v10, v[11:12] offset:6336
                                        ; implicit-def: $vgpr10
.LBB40_26:
	s_andn2_saveexec_b32 s2, s2
	s_cbranch_execz .LBB40_28
; %bb.27:
	v_mad_u64_u32 v[11:12], null, 0xc0, s12, v[5:6]
	v_add_nc_u32_e32 v10, v10, v8
	v_mad_u64_u32 v[12:13], null, 0xc0, s13, v[12:13]
	flat_load_dwordx2 v[11:12], v[11:12]
	s_waitcnt vmcnt(0) lgkmcnt(0)
	ds_write_b64 v10, v[11:12] offset:6336
.LBB40_28:
	s_or_b32 exec_lo, exec_lo, s2
	v_add_co_u32 v5, s2, v5, v9
	v_add_co_ci_u32_e64 v6, null, 0, v6, s2
	v_sub_co_u32 v5, s2, v5, s4
	v_subrev_co_ci_u32_e64 v6, null, s5, v6, s2
	v_add_co_u32 v5, s2, v5, 8
	v_add_co_ci_u32_e64 v6, null, 0, v6, s2
	v_cndmask_b32_e32 v3, v5, v3, vcc_lo
	v_cndmask_b32_e32 v4, v6, v4, vcc_lo
.LBB40_29:
	v_lshlrev_b32_e32 v5, 2, v7
	v_mul_u32_u24_e32 v6, 0x108, v2
	s_mov_b32 s2, 0
	s_waitcnt lgkmcnt(0)
	s_barrier
	v_cmp_ge_u32_e64 s3, v5, v2
	buffer_gl0_inv
                                        ; implicit-def: $vgpr10
	s_and_saveexec_b32 s4, s3
	s_xor_b32 s4, exec_lo, s4
	s_cbranch_execz .LBB40_33
; %bb.30:
	s_mov_b32 s5, exec_lo
                                        ; implicit-def: $vgpr10
	v_cmpx_eq_u32_e64 v5, v2
	s_xor_b32 s5, exec_lo, s5
; %bb.31:
	v_add_nc_u32_e32 v10, v8, v6
	s_mov_b32 s2, exec_lo
; %bb.32:
	s_or_b32 exec_lo, exec_lo, s5
	s_and_b32 s2, s2, exec_lo
.LBB40_33:
	s_or_saveexec_b32 s4, s4
	v_lshl_or_b32 v9, v2, 8, v8
	v_mov_b32_e32 v11, 0
	v_mad_u32_u24 v13, 0x420, v7, v8
	s_xor_b32 exec_lo, exec_lo, s4
	s_cbranch_execz .LBB40_35
; %bb.34:
	ds_read_b64 v[14:15], v13
	v_lshl_add_u32 v10, v5, 3, v9
	s_or_b32 s2, s2, exec_lo
	s_waitcnt lgkmcnt(0)
	v_xor_b32_e32 v11, 0x80000000, v15
	ds_write_b32 v10, v14
.LBB40_35:
	s_or_b32 exec_lo, exec_lo, s4
	s_and_saveexec_b32 s4, s2
; %bb.36:
	ds_write_b32 v10, v11 offset:4
; %bb.37:
	s_or_b32 exec_lo, exec_lo, s4
	v_or_b32_e32 v10, 1, v5
	s_mov_b32 s2, 0
                                        ; implicit-def: $vgpr11
	v_cmp_ge_u32_e64 s4, v10, v2
	s_and_saveexec_b32 s5, s4
	s_xor_b32 s5, exec_lo, s5
	s_cbranch_execz .LBB40_41
; %bb.38:
	s_mov_b32 s7, exec_lo
                                        ; implicit-def: $vgpr11
	v_cmpx_eq_u32_e64 v10, v2
; %bb.39:
	v_add_nc_u32_e32 v11, v8, v6
	s_mov_b32 s2, exec_lo
; %bb.40:
	s_or_b32 exec_lo, exec_lo, s7
	s_and_b32 s2, s2, exec_lo
.LBB40_41:
	s_or_saveexec_b32 s5, s5
	v_mov_b32_e32 v12, 0
	v_mad_u32_u24 v14, 0x108, v10, v8
	s_xor_b32 exec_lo, exec_lo, s5
	s_cbranch_execz .LBB40_43
; %bb.42:
	ds_read_b64 v[15:16], v14
	v_lshl_add_u32 v17, v5, 3, v9
	s_or_b32 s2, s2, exec_lo
	v_add_nc_u32_e32 v11, 8, v17
	s_waitcnt lgkmcnt(0)
	v_xor_b32_e32 v12, 0x80000000, v16
	ds_write_b32 v17, v15 offset:8
.LBB40_43:
	s_or_b32 exec_lo, exec_lo, s5
	s_and_saveexec_b32 s5, s2
; %bb.44:
	ds_write_b32 v11, v12 offset:4
; %bb.45:
	s_or_b32 exec_lo, exec_lo, s5
	v_or_b32_e32 v11, 2, v5
	s_mov_b32 s2, 0
                                        ; implicit-def: $vgpr12
	v_cmp_ge_u32_e64 s5, v11, v2
	s_and_saveexec_b32 s7, s5
	s_xor_b32 s7, exec_lo, s7
	s_cbranch_execnz .LBB40_103
; %bb.46:
	s_or_saveexec_b32 s7, s7
	v_mov_b32_e32 v15, 0
	s_xor_b32 exec_lo, exec_lo, s7
	s_cbranch_execnz .LBB40_106
.LBB40_47:
	s_or_b32 exec_lo, exec_lo, s7
	s_and_saveexec_b32 s7, s2
.LBB40_48:
	ds_write_b32 v12, v15 offset:4
.LBB40_49:
	s_or_b32 exec_lo, exec_lo, s7
	v_or_b32_e32 v12, 3, v5
	s_mov_b32 s2, 0
                                        ; implicit-def: $vgpr15
	v_cmp_ge_u32_e64 s7, v12, v2
	s_and_saveexec_b32 s9, s7
	s_xor_b32 s9, exec_lo, s9
	s_cbranch_execnz .LBB40_107
; %bb.50:
	s_or_saveexec_b32 s9, s9
	v_mov_b32_e32 v16, 0
	s_xor_b32 exec_lo, exec_lo, s9
	s_cbranch_execnz .LBB40_110
.LBB40_51:
	s_or_b32 exec_lo, exec_lo, s9
	s_and_saveexec_b32 s9, s2
.LBB40_52:
	ds_write_b32 v15, v16 offset:4
.LBB40_53:
	s_or_b32 exec_lo, exec_lo, s9
	v_lshlrev_b32_e32 v9, 3, v5
	s_waitcnt lgkmcnt(0)
	s_barrier
	buffer_gl0_inv
	ds_read_b64 v[15:16], v13
	ds_read_b128 v[25:28], v9 offset:9088
	ds_read2_b64 v[29:32], v14 offset1:33
	ds_read_b128 v[36:39], v9 offset:9104
	ds_read_b64 v[13:14], v14 offset:528
	v_mul_u32_u24_e32 v17, 33, v2
	v_cmp_gt_u32_e64 s2, 32, v24
	s_waitcnt lgkmcnt(0)
	s_barrier
	buffer_gl0_inv
	v_mul_f32_e32 v22, v26, v16
	v_mul_f32_e32 v16, v25, v16
	v_mul_f32_e32 v23, v28, v30
	v_mul_f32_e32 v30, v27, v30
	v_mul_f32_e32 v33, v37, v32
	v_fma_f32 v22, v25, v15, -v22
	v_fmac_f32_e32 v16, v26, v15
	v_mul_f32_e32 v32, v36, v32
	v_fma_f32 v23, v27, v29, -v23
	v_fmac_f32_e32 v30, v28, v29
	v_add_f32_e32 v22, 0, v22
	v_add_f32_e32 v16, 0, v16
	v_mul_f32_e32 v15, v39, v14
	v_mul_f32_e32 v14, v38, v14
	v_fma_f32 v26, v36, v31, -v33
	v_fmac_f32_e32 v32, v37, v31
	v_add_f32_e32 v22, v22, v23
	v_add_f32_e32 v16, v16, v30
	v_lshlrev_b32_e32 v25, 3, v17
	v_fma_f32 v15, v38, v13, -v15
	v_fmac_f32_e32 v14, v39, v13
	v_add_f32_e32 v13, v22, v26
	v_add_f32_e32 v16, v16, v32
	v_mov_b32_e32 v36, 0
	v_lshl_add_u32 v26, v7, 3, v25
	v_mov_b32_e32 v37, 0
	v_add_f32_e32 v13, v13, v15
	v_add_f32_e32 v14, v16, v14
	ds_write_b64 v26, v[13:14]
	s_waitcnt lgkmcnt(0)
	s_barrier
	buffer_gl0_inv
	s_and_saveexec_b32 s9, s2
	s_cbranch_execz .LBB40_55
; %bb.54:
	ds_read2_b64 v[13:16], v25 offset1:7
	ds_read2_b64 v[27:30], v25 offset0:1 offset1:2
	ds_read2_b64 v[36:39], v25 offset0:3 offset1:4
	;; [unrolled: 1-line block ×3, first 2 shown]
	s_waitcnt lgkmcnt(2)
	v_add_f32_e32 v13, v27, v13
	v_add_f32_e32 v14, v28, v14
	v_add_f32_e32 v13, v29, v13
	v_add_f32_e32 v14, v30, v14
	s_waitcnt lgkmcnt(1)
	v_add_f32_e32 v13, v13, v36
	v_add_f32_e32 v14, v14, v37
	v_add_f32_e32 v13, v13, v38
	v_add_f32_e32 v14, v14, v39
	;; [unrolled: 5-line block ×3, first 2 shown]
	v_add_f32_e32 v36, v13, v15
	v_add_f32_e32 v37, v14, v16
.LBB40_55:
	s_or_b32 exec_lo, exec_lo, s9
	s_lshl_b64 s[24:25], s[12:13], 8
	v_cndmask_b32_e64 v13, 0, 1, s8
	v_add_co_u32 v3, vcc_lo, v3, s24
	v_add_co_ci_u32_e64 v4, null, s25, v4, vcc_lo
	v_add_co_u32 v14, vcc_lo, 0x100, v3
	v_add_co_ci_u32_e64 v15, null, 0, v4, vcc_lo
	s_andn2_b32 vcc_lo, exec_lo, s8
	s_mov_b32 s8, -1
	s_barrier
	buffer_gl0_inv
	s_cbranch_vccnz .LBB40_57
; %bb.56:
	s_lshl_b64 s[8:9], s[12:13], 6
	v_mad_u32_u24 v31, 0x108, v7, v8
	v_add_co_u32 v16, vcc_lo, v3, s8
	v_add_co_ci_u32_e64 v17, null, s9, v4, vcc_lo
	v_add_co_u32 v22, vcc_lo, v16, s8
	v_add_co_ci_u32_e64 v23, null, s9, v17, vcc_lo
	;; [unrolled: 2-line block ×3, first 2 shown]
	s_clause 0x3
	flat_load_dwordx2 v[29:30], v[3:4] offset:256
	flat_load_dwordx2 v[16:17], v[16:17] offset:256
	;; [unrolled: 1-line block ×4, first 2 shown]
	s_mov_b32 s8, 0
	s_waitcnt vmcnt(3) lgkmcnt(3)
	ds_write_b64 v31, v[29:30]
	s_waitcnt vmcnt(2) lgkmcnt(3)
	ds_write_b64 v31, v[16:17] offset:2112
	s_waitcnt vmcnt(1) lgkmcnt(3)
	ds_write_b64 v31, v[22:23] offset:4224
	;; [unrolled: 2-line block ×3, first 2 shown]
.LBB40_57:
	s_andn2_b32 vcc_lo, exec_lo, s8
	s_cbranch_vccnz .LBB40_75
; %bb.58:
	v_lshlrev_b32_e32 v16, 3, v2
	s_ashr_i32 s23, s22, 31
	v_or_b32_e32 v17, 32, v2
	s_lshl_b64 s[24:25], s[22:23], 3
	s_sub_i32 s9, s22, 32
	v_sub_co_u32 v3, vcc_lo, v3, v16
	v_subrev_co_ci_u32_e64 v4, null, 0, v4, vcc_lo
	v_cmp_le_i32_e64 s8, s9, v7
	v_add_co_u32 v3, vcc_lo, v3, s24
	v_add_co_ci_u32_e64 v4, null, s25, v4, vcc_lo
	v_add_co_u32 v3, vcc_lo, v3, -8
	v_add_co_ci_u32_e64 v4, null, -1, v4, vcc_lo
	v_cmp_gt_i32_e32 vcc_lo, s22, v17
	v_mul_u32_u24_e32 v17, 0x108, v7
	v_cndmask_b32_e32 v4, v4, v15, vcc_lo
	v_cndmask_b32_e32 v3, v3, v14, vcc_lo
	s_and_saveexec_b32 s23, s8
	s_xor_b32 s8, exec_lo, s23
	s_cbranch_execz .LBB40_60
; %bb.59:
	v_mov_b32_e32 v22, 0
	v_add_nc_u32_e32 v27, v8, v17
	v_mov_b32_e32 v23, v22
	ds_write_b64 v27, v[22:23]
.LBB40_60:
	s_andn2_saveexec_b32 s8, s8
	s_cbranch_execz .LBB40_62
; %bb.61:
	flat_load_dwordx2 v[22:23], v[3:4]
	v_add_nc_u32_e32 v27, v8, v17
	s_waitcnt vmcnt(0) lgkmcnt(0)
	ds_write_b64 v27, v[22:23]
.LBB40_62:
	s_or_b32 exec_lo, exec_lo, s8
	v_add_nc_u32_e32 v22, 8, v7
	v_cmp_le_i32_e64 s8, s9, v22
	s_and_saveexec_b32 s23, s8
	s_xor_b32 s8, exec_lo, s23
	s_cbranch_execz .LBB40_64
; %bb.63:
	v_mov_b32_e32 v22, 0
	v_add_nc_u32_e32 v27, v17, v8
	v_mov_b32_e32 v23, v22
	ds_write_b64 v27, v[22:23] offset:2112
.LBB40_64:
	s_andn2_saveexec_b32 s23, s8
	s_cbranch_execz .LBB40_66
; %bb.65:
	s_lshl_b64 s[30:31], s[12:13], 6
	v_add_nc_u32_e32 v27, v17, v8
	v_add_co_u32 v22, s8, v3, s30
	v_add_co_ci_u32_e64 v23, null, s31, v4, s8
	flat_load_dwordx2 v[22:23], v[22:23]
	s_waitcnt vmcnt(0) lgkmcnt(0)
	ds_write_b64 v27, v[22:23] offset:2112
.LBB40_66:
	s_or_b32 exec_lo, exec_lo, s23
	v_add_nc_u32_e32 v22, 16, v7
	v_cmp_le_i32_e64 s8, s9, v22
	s_and_saveexec_b32 s23, s8
	s_xor_b32 s8, exec_lo, s23
	s_cbranch_execz .LBB40_68
; %bb.67:
	v_mov_b32_e32 v22, 0
	v_add_nc_u32_e32 v27, v17, v8
	v_mov_b32_e32 v23, v22
	ds_write_b64 v27, v[22:23] offset:4224
.LBB40_68:
	s_andn2_saveexec_b32 s23, s8
	s_cbranch_execz .LBB40_70
; %bb.69:
	s_lshl_b64 s[30:31], s[12:13], 7
	v_add_nc_u32_e32 v27, v17, v8
	v_add_co_u32 v22, s8, v3, s30
	v_add_co_ci_u32_e64 v23, null, s31, v4, s8
	flat_load_dwordx2 v[22:23], v[22:23]
	s_waitcnt vmcnt(0) lgkmcnt(0)
	ds_write_b64 v27, v[22:23] offset:4224
.LBB40_70:
	s_or_b32 exec_lo, exec_lo, s23
	v_add_nc_u32_e32 v22, 24, v7
	v_cmp_le_i32_e64 s8, s9, v22
	s_and_saveexec_b32 s9, s8
	s_xor_b32 s8, exec_lo, s9
	s_cbranch_execz .LBB40_72
; %bb.71:
	v_mov_b32_e32 v22, 0
	v_add_nc_u32_e32 v17, v17, v8
	v_mov_b32_e32 v23, v22
	ds_write_b64 v17, v[22:23] offset:6336
                                        ; implicit-def: $vgpr17
.LBB40_72:
	s_andn2_saveexec_b32 s8, s8
	s_cbranch_execz .LBB40_74
; %bb.73:
	v_mad_u64_u32 v[22:23], null, 0xc0, s12, v[3:4]
	v_add_nc_u32_e32 v17, v17, v8
	v_mad_u64_u32 v[27:28], null, 0xc0, s13, v[23:24]
	v_mov_b32_e32 v23, v27
	flat_load_dwordx2 v[22:23], v[22:23]
	s_waitcnt vmcnt(0) lgkmcnt(0)
	ds_write_b64 v17, v[22:23] offset:6336
.LBB40_74:
	s_or_b32 exec_lo, exec_lo, s8
	v_add_co_u32 v3, s8, v3, v16
	v_add_co_ci_u32_e64 v4, null, 0, v4, s8
	v_sub_co_u32 v3, s8, v3, s24
	v_subrev_co_ci_u32_e64 v4, null, s25, v4, s8
	v_add_co_u32 v3, s8, 0x108, v3
	v_add_co_ci_u32_e64 v4, null, 0, v4, s8
	v_cndmask_b32_e32 v14, v3, v14, vcc_lo
	v_cndmask_b32_e32 v15, v4, v15, vcc_lo
.LBB40_75:
	v_mul_u32_u24_e32 v3, 0x420, v7
	v_add_nc_u32_e32 v9, 0x2380, v9
	v_mul_u32_u24_e32 v4, 0x108, v10
	s_lshl_b64 s[8:9], s[12:13], 5
	s_mov_b32 s23, 0
	s_waitcnt lgkmcnt(0)
	s_barrier
	buffer_gl0_inv
                                        ; implicit-def: $vgpr16
	s_and_saveexec_b32 s24, s3
	s_xor_b32 s3, exec_lo, s24
	s_cbranch_execz .LBB40_79
; %bb.76:
	s_mov_b32 s24, exec_lo
                                        ; implicit-def: $vgpr16
	v_cmpx_eq_u32_e64 v5, v2
	s_xor_b32 s24, exec_lo, s24
; %bb.77:
	s_mov_b32 s23, exec_lo
	v_add_nc_u32_e32 v16, v8, v6
; %bb.78:
	s_or_b32 exec_lo, exec_lo, s24
	s_and_b32 s23, s23, exec_lo
.LBB40_79:
	s_or_saveexec_b32 s3, s3
	v_mov_b32_e32 v17, 0
	v_add_nc_u32_e32 v3, v8, v3
	s_xor_b32 exec_lo, exec_lo, s3
	s_cbranch_execz .LBB40_81
; %bb.80:
	ds_read_b64 v[22:23], v3
	v_lshl_add_u32 v16, v5, 3, v25
	s_or_b32 s23, s23, exec_lo
	s_waitcnt lgkmcnt(0)
	v_xor_b32_e32 v17, 0x80000000, v23
	ds_write_b32 v16, v22
.LBB40_81:
	s_or_b32 exec_lo, exec_lo, s3
	s_and_saveexec_b32 s3, s23
; %bb.82:
	ds_write_b32 v16, v17 offset:4
; %bb.83:
	s_or_b32 exec_lo, exec_lo, s3
	s_mov_b32 s3, 0
                                        ; implicit-def: $vgpr16
	s_and_saveexec_b32 s23, s4
	s_xor_b32 s4, exec_lo, s23
	s_cbranch_execz .LBB40_87
; %bb.84:
	s_mov_b32 s23, exec_lo
                                        ; implicit-def: $vgpr16
	v_cmpx_eq_u32_e64 v10, v2
; %bb.85:
	v_add_nc_u32_e32 v16, v8, v6
	s_mov_b32 s3, exec_lo
; %bb.86:
	s_or_b32 exec_lo, exec_lo, s23
	s_and_b32 s3, s3, exec_lo
.LBB40_87:
	s_or_saveexec_b32 s4, s4
	v_mov_b32_e32 v10, 0
	v_add_nc_u32_e32 v4, v8, v4
	s_xor_b32 exec_lo, exec_lo, s4
	s_cbranch_execz .LBB40_89
; %bb.88:
	ds_read_b64 v[22:23], v4
	v_lshl_add_u32 v17, v5, 3, v25
	s_or_b32 s3, s3, exec_lo
	v_add_nc_u32_e32 v16, 8, v17
	s_waitcnt lgkmcnt(0)
	v_xor_b32_e32 v10, 0x80000000, v23
	ds_write_b32 v17, v22 offset:8
.LBB40_89:
	s_or_b32 exec_lo, exec_lo, s4
	s_and_saveexec_b32 s4, s3
; %bb.90:
	ds_write_b32 v16, v10 offset:4
; %bb.91:
	s_or_b32 exec_lo, exec_lo, s4
	s_mov_b32 s3, 0
                                        ; implicit-def: $vgpr10
	s_and_saveexec_b32 s4, s5
	s_xor_b32 s4, exec_lo, s4
	s_cbranch_execnz .LBB40_111
; %bb.92:
	s_or_saveexec_b32 s4, s4
	v_mov_b32_e32 v11, 0
	s_xor_b32 exec_lo, exec_lo, s4
	s_cbranch_execnz .LBB40_114
.LBB40_93:
	s_or_b32 exec_lo, exec_lo, s4
	s_and_saveexec_b32 s4, s3
.LBB40_94:
	ds_write_b32 v10, v11 offset:4
.LBB40_95:
	s_or_b32 exec_lo, exec_lo, s4
	s_mov_b32 s3, 0
                                        ; implicit-def: $vgpr10
	s_and_saveexec_b32 s4, s7
	s_xor_b32 s4, exec_lo, s4
	s_cbranch_execnz .LBB40_115
; %bb.96:
	s_or_saveexec_b32 s4, s4
	v_mov_b32_e32 v6, 0
	s_xor_b32 exec_lo, exec_lo, s4
	s_cbranch_execnz .LBB40_118
.LBB40_97:
	s_or_b32 exec_lo, exec_lo, s4
	s_and_saveexec_b32 s4, s3
.LBB40_98:
	ds_write_b32 v10, v6 offset:4
.LBB40_99:
	s_or_b32 exec_lo, exec_lo, s4
	s_waitcnt lgkmcnt(0)
	s_barrier
	buffer_gl0_inv
	ds_read_b64 v[10:11], v3
	ds_read_b128 v[27:30], v9 offset:256
	ds_read2_b64 v[38:41], v4 offset1:33
	ds_read_b128 v[42:45], v9 offset:272
	ds_read_b64 v[3:4], v4 offset:528
	v_cmp_eq_u32_e64 s3, 1, v7
	s_waitcnt lgkmcnt(0)
	s_barrier
	buffer_gl0_inv
	v_mul_f32_e32 v6, v28, v11
	v_mul_f32_e32 v11, v27, v11
	;; [unrolled: 1-line block ×5, first 2 shown]
	v_fma_f32 v6, v27, v10, -v6
	v_fmac_f32_e32 v11, v28, v10
	v_mul_f32_e32 v22, v42, v41
	v_fma_f32 v12, v29, v38, -v12
	v_fmac_f32_e32 v16, v30, v38
	v_add_f32_e32 v6, 0, v6
	v_add_f32_e32 v11, 0, v11
	v_mul_f32_e32 v10, v45, v4
	v_mul_f32_e32 v4, v44, v4
	v_fma_f32 v17, v42, v40, -v17
	v_fmac_f32_e32 v22, v43, v40
	v_add_f32_e32 v6, v6, v12
	v_add_f32_e32 v11, v11, v16
	v_fma_f32 v10, v44, v3, -v10
	v_fmac_f32_e32 v4, v45, v3
	v_add_f32_e32 v3, v6, v17
	v_add_f32_e32 v6, v11, v22
	;; [unrolled: 1-line block ×4, first 2 shown]
	ds_write_b64 v26, v[3:4]
	s_waitcnt lgkmcnt(0)
	s_barrier
	buffer_gl0_inv
	s_and_saveexec_b32 s4, s3
	s_cbranch_execz .LBB40_101
; %bb.100:
	ds_read2_b64 v[27:30], v25 offset1:7
	ds_read2_b64 v[36:39], v25 offset0:1 offset1:2
	ds_read2_b64 v[40:43], v25 offset0:3 offset1:4
	;; [unrolled: 1-line block ×3, first 2 shown]
	s_waitcnt lgkmcnt(2)
	v_add_f32_e32 v3, v36, v27
	v_add_f32_e32 v4, v37, v28
	v_add_f32_e32 v3, v38, v3
	v_add_f32_e32 v4, v39, v4
	s_waitcnt lgkmcnt(1)
	v_add_f32_e32 v3, v3, v40
	v_add_f32_e32 v4, v4, v41
	v_add_f32_e32 v3, v3, v42
	v_add_f32_e32 v4, v4, v43
	;; [unrolled: 5-line block ×3, first 2 shown]
	v_add_f32_e32 v36, v3, v29
	v_add_f32_e32 v37, v4, v30
.LBB40_101:
	s_or_b32 exec_lo, exec_lo, s4
	s_lshl_b64 s[4:5], s[8:9], 3
	v_cmp_ne_u32_e32 vcc_lo, 1, v13
	v_sub_co_u32 v22, s4, v14, s4
	v_subrev_co_ci_u32_e64 v23, null, s5, v15, s4
	s_barrier
	buffer_gl0_inv
	s_cbranch_vccnz .LBB40_119
; %bb.102:
	s_lshl_b64 s[4:5], s[12:13], 6
	flat_load_dwordx2 v[10:11], v[22:23]
	v_add_co_u32 v3, vcc_lo, v22, s4
	v_add_co_ci_u32_e64 v4, null, s5, v23, vcc_lo
	v_mul_u32_u24_e32 v6, 0x108, v7
	v_add_co_u32 v12, vcc_lo, v3, s4
	v_add_co_ci_u32_e64 v13, null, s5, v4, vcc_lo
	v_add_co_u32 v14, vcc_lo, v12, s4
	v_add_co_ci_u32_e64 v15, null, s5, v13, vcc_lo
	s_movk_i32 s4, 0x840
	s_clause 0x2
	flat_load_dwordx2 v[16:17], v[3:4]
	flat_load_dwordx2 v[27:28], v[12:13]
	;; [unrolled: 1-line block ×3, first 2 shown]
	v_mad_u32_u24 v4, 0x108, v7, s4
	s_movk_i32 s4, 0x18c0
	s_movk_i32 s5, 0x1080
	v_mad_u32_u24 v12, 0x108, v7, v8
	v_mad_u32_u24 v13, 0x108, v7, s4
	;; [unrolled: 1-line block ×3, first 2 shown]
	v_add_nc_u32_e32 v29, v8, v4
	v_add_nc_u32_e32 v31, v8, v13
	v_add_nc_u32_e32 v30, v8, v3
	s_waitcnt vmcnt(3) lgkmcnt(3)
	ds_write_b64 v12, v[10:11]
	v_add_nc_u32_e32 v10, 8, v7
	v_add_nc_u32_e32 v11, 16, v7
	;; [unrolled: 1-line block ×3, first 2 shown]
	s_waitcnt vmcnt(2) lgkmcnt(3)
	ds_write_b64 v29, v[16:17]
	s_waitcnt vmcnt(1) lgkmcnt(3)
	ds_write_b64 v30, v[27:28]
	;; [unrolled: 2-line block ×3, first 2 shown]
	s_cbranch_execz .LBB40_120
	s_branch .LBB40_137
.LBB40_103:
	s_mov_b32 s9, exec_lo
                                        ; implicit-def: $vgpr12
	v_cmpx_eq_u32_e64 v11, v2
; %bb.104:
	v_add_nc_u32_e32 v12, v8, v6
	s_mov_b32 s2, exec_lo
; %bb.105:
	s_or_b32 exec_lo, exec_lo, s9
	s_and_b32 s2, s2, exec_lo
	s_or_saveexec_b32 s7, s7
	v_mov_b32_e32 v15, 0
	s_xor_b32 exec_lo, exec_lo, s7
	s_cbranch_execz .LBB40_47
.LBB40_106:
	v_mad_u32_u24 v12, 0x108, v11, v8
	v_lshl_add_u32 v22, v5, 3, v9
	s_or_b32 s2, s2, exec_lo
	ds_read_b64 v[16:17], v12
	v_add_nc_u32_e32 v12, 16, v22
	s_waitcnt lgkmcnt(0)
	v_xor_b32_e32 v15, 0x80000000, v17
	ds_write_b32 v22, v16 offset:16
	s_or_b32 exec_lo, exec_lo, s7
	s_and_saveexec_b32 s7, s2
	s_cbranch_execnz .LBB40_48
	s_branch .LBB40_49
.LBB40_107:
	s_mov_b32 s23, exec_lo
                                        ; implicit-def: $vgpr15
	v_cmpx_eq_u32_e64 v12, v2
; %bb.108:
	v_add_nc_u32_e32 v15, v8, v6
	s_mov_b32 s2, exec_lo
; %bb.109:
	s_or_b32 exec_lo, exec_lo, s23
	s_and_b32 s2, s2, exec_lo
                                        ; implicit-def: $vgpr9
	s_or_saveexec_b32 s9, s9
	v_mov_b32_e32 v16, 0
	s_xor_b32 exec_lo, exec_lo, s9
	s_cbranch_execz .LBB40_51
.LBB40_110:
	v_mad_u32_u24 v15, 0x108, v12, v8
	v_lshl_add_u32 v9, v5, 3, v9
	s_or_b32 s2, s2, exec_lo
	ds_read_b64 v[22:23], v15
	v_add_nc_u32_e32 v15, 24, v9
	s_waitcnt lgkmcnt(0)
	v_xor_b32_e32 v16, 0x80000000, v23
	ds_write_b32 v9, v22 offset:24
	s_or_b32 exec_lo, exec_lo, s9
	s_and_saveexec_b32 s9, s2
	s_cbranch_execnz .LBB40_52
	s_branch .LBB40_53
.LBB40_111:
	s_mov_b32 s5, exec_lo
                                        ; implicit-def: $vgpr10
	v_cmpx_eq_u32_e64 v11, v2
; %bb.112:
	v_add_nc_u32_e32 v10, v8, v6
	s_mov_b32 s3, exec_lo
; %bb.113:
	s_or_b32 exec_lo, exec_lo, s5
	s_and_b32 s3, s3, exec_lo
	s_or_saveexec_b32 s4, s4
	v_mov_b32_e32 v11, 0
	s_xor_b32 exec_lo, exec_lo, s4
	s_cbranch_execz .LBB40_93
.LBB40_114:
	ds_read_b64 v[16:17], v4 offset:264
	v_lshl_add_u32 v22, v5, 3, v25
	s_or_b32 s3, s3, exec_lo
	v_add_nc_u32_e32 v10, 16, v22
	s_waitcnt lgkmcnt(0)
	v_xor_b32_e32 v11, 0x80000000, v17
	ds_write_b32 v22, v16 offset:16
	s_or_b32 exec_lo, exec_lo, s4
	s_and_saveexec_b32 s4, s3
	s_cbranch_execnz .LBB40_94
	s_branch .LBB40_95
.LBB40_115:
	s_mov_b32 s5, exec_lo
                                        ; implicit-def: $vgpr10
	v_cmpx_eq_u32_e64 v12, v2
; %bb.116:
	v_add_nc_u32_e32 v10, v8, v6
	s_mov_b32 s3, exec_lo
; %bb.117:
	s_or_b32 exec_lo, exec_lo, s5
	s_and_b32 s3, s3, exec_lo
	s_or_saveexec_b32 s4, s4
	v_mov_b32_e32 v6, 0
	s_xor_b32 exec_lo, exec_lo, s4
	s_cbranch_execz .LBB40_97
.LBB40_118:
	ds_read_b64 v[11:12], v4 offset:528
	v_lshl_add_u32 v16, v5, 3, v25
	s_or_b32 s3, s3, exec_lo
	v_add_nc_u32_e32 v10, 24, v16
	s_waitcnt lgkmcnt(0)
	v_xor_b32_e32 v6, 0x80000000, v12
	ds_write_b32 v16, v11 offset:24
	s_or_b32 exec_lo, exec_lo, s4
	s_and_saveexec_b32 s4, s3
	s_cbranch_execnz .LBB40_98
	s_branch .LBB40_99
.LBB40_119:
                                        ; implicit-def: $vgpr6
                                        ; implicit-def: $vgpr10
                                        ; implicit-def: $vgpr4
                                        ; implicit-def: $vgpr11
                                        ; implicit-def: $vgpr3
                                        ; implicit-def: $vgpr12
                                        ; implicit-def: $vgpr13
.LBB40_120:
	v_or_b32_e32 v3, 32, v2
	s_ashr_i32 s23, s22, 31
	v_cmp_le_i32_e64 s4, s22, v7
	s_lshl_b64 s[8:9], s[22:23], 3
	v_lshlrev_b32_e32 v4, 3, v3
	v_sub_co_u32 v4, vcc_lo, v22, v4
	v_subrev_co_ci_u32_e64 v6, null, 0, v23, vcc_lo
	v_add_co_u32 v4, vcc_lo, v4, s8
	v_add_co_ci_u32_e64 v6, null, s9, v6, vcc_lo
	v_add_co_u32 v10, vcc_lo, v4, -8
	v_add_co_ci_u32_e64 v4, null, -1, v6, vcc_lo
	v_cmp_gt_i32_e32 vcc_lo, s22, v3
	v_mul_u32_u24_e32 v6, 0x108, v7
	v_cndmask_b32_e32 v4, v4, v23, vcc_lo
	v_cndmask_b32_e32 v3, v10, v22, vcc_lo
	s_and_saveexec_b32 s5, s4
	s_xor_b32 s4, exec_lo, s5
	s_cbranch_execz .LBB40_122
; %bb.121:
	v_mov_b32_e32 v10, 0
	v_add_nc_u32_e32 v12, v8, v6
	v_mov_b32_e32 v11, v10
	ds_write_b64 v12, v[10:11]
.LBB40_122:
	s_andn2_saveexec_b32 s4, s4
	s_cbranch_execz .LBB40_124
; %bb.123:
	flat_load_dwordx2 v[10:11], v[3:4]
	v_add_nc_u32_e32 v12, v8, v6
	s_waitcnt vmcnt(0) lgkmcnt(0)
	ds_write_b64 v12, v[10:11]
.LBB40_124:
	s_or_b32 exec_lo, exec_lo, s4
	v_add_nc_u32_e32 v10, 8, v7
	v_cmp_le_i32_e64 s4, s22, v10
	s_and_saveexec_b32 s5, s4
	s_xor_b32 s4, exec_lo, s5
	s_cbranch_execz .LBB40_126
; %bb.125:
	v_mov_b32_e32 v11, 0
	v_add_nc_u32_e32 v13, v6, v8
	v_mov_b32_e32 v12, v11
	ds_write_b64 v13, v[11:12] offset:2112
.LBB40_126:
	s_andn2_saveexec_b32 s5, s4
	s_cbranch_execz .LBB40_128
; %bb.127:
	s_lshl_b64 s[24:25], s[12:13], 6
	v_add_nc_u32_e32 v13, v6, v8
	v_add_co_u32 v11, s4, v3, s24
	v_add_co_ci_u32_e64 v12, null, s25, v4, s4
	flat_load_dwordx2 v[11:12], v[11:12]
	s_waitcnt vmcnt(0) lgkmcnt(0)
	ds_write_b64 v13, v[11:12] offset:2112
.LBB40_128:
	s_or_b32 exec_lo, exec_lo, s5
	v_add_nc_u32_e32 v11, 16, v7
	v_cmp_le_i32_e64 s4, s22, v11
	s_and_saveexec_b32 s5, s4
	s_xor_b32 s4, exec_lo, s5
	s_cbranch_execz .LBB40_130
; %bb.129:
	v_mov_b32_e32 v12, 0
	v_add_nc_u32_e32 v14, v6, v8
	v_mov_b32_e32 v13, v12
	ds_write_b64 v14, v[12:13] offset:4224
.LBB40_130:
	s_andn2_saveexec_b32 s5, s4
	s_cbranch_execz .LBB40_132
; %bb.131:
	s_lshl_b64 s[24:25], s[12:13], 7
	v_add_nc_u32_e32 v14, v6, v8
	v_add_co_u32 v12, s4, v3, s24
	v_add_co_ci_u32_e64 v13, null, s25, v4, s4
	flat_load_dwordx2 v[12:13], v[12:13]
	s_waitcnt vmcnt(0) lgkmcnt(0)
	ds_write_b64 v14, v[12:13] offset:4224
.LBB40_132:
	s_or_b32 exec_lo, exec_lo, s5
	v_add_nc_u32_e32 v12, 24, v7
                                        ; implicit-def: $vgpr13
	v_cmp_le_i32_e64 s4, s22, v12
	s_and_saveexec_b32 s5, s4
	s_xor_b32 s4, exec_lo, s5
	s_cbranch_execz .LBB40_134
; %bb.133:
	v_add_nc_u32_e32 v13, 0x18c0, v6
	v_mov_b32_e32 v14, 0
	v_add_nc_u32_e32 v16, v8, v13
	v_mov_b32_e32 v15, v14
	ds_write_b64 v16, v[14:15]
.LBB40_134:
	s_andn2_saveexec_b32 s4, s4
	s_cbranch_execz .LBB40_136
; %bb.135:
	v_mad_u64_u32 v[13:14], null, 0xc0, s12, v[3:4]
	v_mad_u64_u32 v[14:15], null, 0xc0, s13, v[14:15]
	flat_load_dwordx2 v[14:15], v[13:14]
	v_add_nc_u32_e32 v13, 0x18c0, v6
	v_add_nc_u32_e32 v16, v8, v13
	s_waitcnt vmcnt(0) lgkmcnt(0)
	ds_write_b64 v16, v[14:15]
.LBB40_136:
	s_or_b32 exec_lo, exec_lo, s4
	v_lshlrev_b32_e32 v2, 3, v2
	v_add_co_u32 v2, s4, v3, v2
	v_add_co_ci_u32_e64 v3, null, 0, v4, s4
	v_add_nc_u32_e32 v4, 0x840, v6
	v_sub_co_u32 v2, s4, v2, s8
	v_subrev_co_ci_u32_e64 v3, null, s9, v3, s4
	v_add_co_u32 v2, s4, 0x108, v2
	v_add_co_ci_u32_e64 v3, null, 0, v3, s4
	v_cndmask_b32_e32 v22, v2, v22, vcc_lo
	v_cndmask_b32_e32 v23, v3, v23, vcc_lo
	v_add_nc_u32_e32 v3, 0x1080, v6
.LBB40_137:
	v_add_nc_u32_e32 v2, v8, v6
	v_lshlrev_b32_e32 v6, 3, v7
	v_add_nc_u32_e32 v4, v8, v4
	v_lshlrev_b32_e32 v7, 3, v10
	v_add_nc_u32_e32 v3, v8, v3
	s_waitcnt lgkmcnt(0)
	s_barrier
	buffer_gl0_inv
	v_lshlrev_b32_e32 v10, 3, v11
	v_add_nc_u32_e32 v8, v8, v13
	v_lshlrev_b32_e32 v11, 3, v12
	ds_read_b64 v[27:28], v2
	ds_read_b64 v[29:30], v6 offset:9088
	ds_read_b64 v[31:32], v4
	ds_read_b64 v[38:39], v7 offset:9088
	;; [unrolled: 2-line block ×3, first 2 shown]
	ds_read2_b32 v[44:45], v8 offset1:1
	ds_read_b64 v[46:47], v11 offset:9088
	v_lshl_add_u32 v6, v5, 3, v25
	ds_read_b128 v[10:13], v9 offset:256
	ds_read_b128 v[2:5], v9 offset:272
	ds_read2_b64 v[14:17], v6 offset1:1
	ds_read2_b64 v[6:9], v6 offset0:2 offset1:3
	s_waitcnt lgkmcnt(0)
	s_barrier
	buffer_gl0_inv
	v_mul_f32_e32 v33, v30, v28
	v_mul_f32_e32 v28, v29, v28
	;; [unrolled: 1-line block ×5, first 2 shown]
	v_fma_f32 v29, v29, v27, -v33
	v_fmac_f32_e32 v28, v30, v27
	v_mul_f32_e32 v27, v42, v41
	v_fma_f32 v30, v38, v31, -v48
	v_fmac_f32_e32 v32, v39, v31
	v_add_f32_e32 v29, 0, v29
	v_add_f32_e32 v28, 0, v28
	v_mul_f32_e32 v50, v47, v45
	v_mul_f32_e32 v31, v46, v45
	v_fma_f32 v33, v42, v40, -v49
	v_fmac_f32_e32 v27, v43, v40
	v_add_f32_e32 v29, v29, v30
	v_add_f32_e32 v28, v28, v32
	v_fma_f32 v30, v46, v44, -v50
	v_fmac_f32_e32 v31, v47, v44
	v_add_f32_e32 v29, v29, v33
	v_add_f32_e32 v28, v28, v27
	;; [unrolled: 1-line block ×4, first 2 shown]
	ds_write_b64 v26, v[27:28]
	s_waitcnt lgkmcnt(0)
	s_barrier
	buffer_gl0_inv
	s_and_saveexec_b32 s4, s3
	s_cbranch_execz .LBB40_139
; %bb.138:
	ds_read2_b64 v[27:30], v25 offset1:1
	ds_read2_b64 v[38:41], v25 offset0:2 offset1:3
	ds_read2_b64 v[42:45], v25 offset0:4 offset1:5
	s_waitcnt lgkmcnt(2)
	v_add_f32_e32 v27, v36, v27
	v_add_f32_e32 v28, v37, v28
	;; [unrolled: 1-line block ×4, first 2 shown]
	ds_read2_b64 v[27:30], v25 offset0:6 offset1:7
	s_waitcnt lgkmcnt(2)
	v_add_f32_e32 v31, v31, v38
	v_add_f32_e32 v32, v32, v39
	v_add_f32_e32 v31, v31, v40
	v_add_f32_e32 v32, v32, v41
	s_waitcnt lgkmcnt(1)
	v_add_f32_e32 v31, v31, v42
	v_add_f32_e32 v32, v32, v43
	v_add_f32_e32 v31, v31, v44
	v_add_f32_e32 v32, v32, v45
	;; [unrolled: 5-line block ×3, first 2 shown]
.LBB40_139:
	s_or_b32 exec_lo, exec_lo, s4
	v_mul_f32_e32 v27, v15, v11
	v_mul_f32_e32 v15, v15, v10
	;; [unrolled: 1-line block ×5, first 2 shown]
	v_fmac_f32_e32 v27, v14, v10
	v_fma_f32 v10, v14, v11, -v15
	v_mul_f32_e32 v7, v7, v2
	v_fmac_f32_e32 v28, v16, v12
	v_fma_f32 v13, v16, v13, -v17
	v_add_f32_e32 v12, 0, v27
	v_add_f32_e32 v10, 0, v10
	v_mul_f32_e32 v11, v9, v5
	v_mul_f32_e32 v9, v9, v4
	v_fmac_f32_e32 v29, v6, v2
	v_add_f32_e32 v2, v12, v28
	v_fma_f32 v3, v6, v3, -v7
	v_add_f32_e32 v6, v10, v13
	v_fmac_f32_e32 v11, v8, v4
	v_fma_f32 v4, v8, v5, -v9
	v_add_f32_e32 v2, v2, v29
	v_add_f32_e32 v3, v6, v3
	s_barrier
	buffer_gl0_inv
	v_add_f32_e32 v2, v2, v11
	v_add_f32_e32 v3, v3, v4
	ds_write_b64 v26, v[2:3]
	s_waitcnt lgkmcnt(0)
	s_barrier
	buffer_gl0_inv
	s_and_saveexec_b32 s3, s2
	s_cbranch_execz .LBB40_141
; %bb.140:
	ds_read2_b64 v[2:5], v25 offset1:1
	ds_read2_b64 v[6:9], v25 offset0:2 offset1:3
	ds_read2_b64 v[10:13], v25 offset0:4 offset1:5
	s_waitcnt lgkmcnt(2)
	v_add_f32_e32 v2, v36, v2
	v_add_f32_e32 v3, v37, v3
	;; [unrolled: 1-line block ×4, first 2 shown]
	ds_read2_b64 v[2:5], v25 offset0:6 offset1:7
	s_waitcnt lgkmcnt(2)
	v_add_f32_e32 v6, v14, v6
	v_add_f32_e32 v7, v15, v7
	v_add_f32_e32 v6, v6, v8
	v_add_f32_e32 v7, v7, v9
	s_waitcnt lgkmcnt(1)
	v_add_f32_e32 v6, v6, v10
	v_add_f32_e32 v7, v7, v11
	v_add_f32_e32 v6, v6, v12
	v_add_f32_e32 v7, v7, v13
	;; [unrolled: 5-line block ×3, first 2 shown]
.LBB40_141:
	s_or_b32 exec_lo, exec_lo, s3
	s_mul_hi_u32 s2, s17, s16
	s_mul_i32 s27, s27, s16
	s_mul_i32 s3, s17, s16
	s_add_i32 s2, s2, s27
	s_mul_hi_u32 s5, s3, s26
	s_mul_i32 s4, s2, s26
	s_mul_i32 s2, s3, s26
	s_add_i32 s3, s5, s4
	s_mul_i32 s4, s17, s6
	s_lshl_b64 s[2:3], s[2:3], 3
	v_cmp_le_i32_e32 vcc_lo, s22, v0
	s_add_u32 s7, s18, s2
	s_addc_u32 s8, s19, s3
	s_ashr_i32 s5, s4, 31
	v_lshlrev_b32_e32 v74, 3, v0
	s_lshl_b64 s[2:3], s[4:5], 3
	s_add_u32 s7, s7, s2
	s_addc_u32 s8, s8, s3
	s_and_b32 vcc_lo, s28, vcc_lo
	s_cmp_lt_i32 s6, 1
	s_barrier
	buffer_gl0_inv
	s_cbranch_scc1 .LBB40_148
; %bb.142:
	v_lshlrev_b32_e32 v4, 2, v1
	s_ashr_i32 s23, s22, 31
	v_lshrrev_b32_e32 v5, 4, v24
	s_mul_i32 s3, s10, s21
	s_mul_hi_u32 s5, s10, s20
	v_mad_u64_u32 v[2:3], null, s12, v4, 0
	v_and_b32_e32 v6, 15, v0
	s_mul_i32 s9, s11, s20
	s_add_i32 s3, s5, s3
	s_mul_i32 s4, s10, s20
	s_add_i32 s5, s3, s9
	v_or_b32_e32 v8, 0x78, v74
	v_mad_u64_u32 v[3:4], null, s13, v4, v[3:4]
	v_sub_co_u32 v4, s2, v22, s14
	v_subrev_co_ci_u32_e64 v7, null, s15, v23, s2
	s_lshl_b64 s[14:15], s[22:23], 3
	v_add_co_u32 v4, s2, 0xffffff00, v4
	v_add_co_ci_u32_e64 v7, null, -1, v7, s2
	v_lshlrev_b64 v[2:3], 3, v[2:3]
	v_sub_co_u32 v4, s2, v4, v20
	v_sub_co_ci_u32_e64 v7, null, v7, v21, s2
	s_lshl_b64 s[4:5], s[4:5], 3
	v_add_co_u32 v2, s2, v4, v2
	v_add_co_ci_u32_e64 v3, null, v7, v3, s2
	v_mov_b32_e32 v39, 0
	v_add_co_u32 v4, s2, v2, s14
	v_add_co_ci_u32_e64 v7, null, s15, v3, s2
	v_add_co_u32 v2, s2, v2, v74
	v_add_co_ci_u32_e64 v3, null, 0, v3, s2
	v_add_co_u32 v4, s2, v4, -8
	v_add_co_ci_u32_e64 v7, null, -1, v7, s2
	v_sub_co_u32 v75, s2, v18, s4
	v_cndmask_b32_e32 v2, v2, v4, vcc_lo
	v_cndmask_b32_e32 v3, v3, v7, vcc_lo
	v_and_b32_e32 v4, 48, v0
	v_lshlrev_b32_e32 v7, 5, v5
	v_mul_i32_i24_e32 v5, 0xffffffe8, v5
	v_subrev_co_ci_u32_e64 v76, null, s5, v19, s2
	v_lshlrev_b32_e32 v4, 3, v4
	v_mad_u32_u24 v81, 0x218, v6, v7
	v_add_nc_u32_e32 v77, 0x2180, v74
	v_lshl_add_u32 v78, v1, 5, 0x2180
	v_add_nc_u32_e32 v79, 0x2380, v74
	v_mad_u32_u24 v80, 0x860, v1, v74
	v_cmp_gt_u32_e64 s2, 64, v24
	v_mad_u32_u24 v82, 0x218, v6, v4
	v_mad_u32_u24 v83, 0x218, v6, v8
	v_add_nc_u32_e32 v84, v81, v5
	s_mul_i32 s3, s13, 0x68
	s_mul_hi_u32 s9, s12, 0x68
	s_lshl_b64 s[4:5], s[12:13], 3
	s_add_i32 s9, s9, s3
	s_mulk_i32 s12, 0x68
	s_mov_b32 s13, 0
	s_branch .LBB40_144
.LBB40_143:                             ;   in Loop: Header=BB40_144 Depth=1
	s_or_b32 exec_lo, exec_lo, s14
	v_mul_f32_e32 v38, v41, v3
	v_mul_f32_e32 v3, v40, v3
	;; [unrolled: 1-line block ×5, first 2 shown]
	v_fma_f32 v38, v40, v2, -v38
	v_fmac_f32_e32 v3, v41, v2
	v_fma_f32 v44, v44, v4, -v85
	v_mul_f32_e32 v7, v46, v7
	v_mul_f32_e32 v40, v43, v9
	v_add_f32_e32 v36, v36, v38
	v_fma_f32 v2, v46, v6, -v86
	v_fmac_f32_e32 v5, v45, v4
	v_add_f32_e32 v3, v37, v3
	v_mul_f32_e32 v9, v42, v9
	v_add_f32_e32 v36, v36, v44
	v_mul_f32_e32 v38, v55, v15
	v_fma_f32 v4, v42, v8, -v40
	v_fmac_f32_e32 v7, v47, v6
	v_add_f32_e32 v3, v3, v5
	v_add_f32_e32 v2, v36, v2
	v_mul_f32_e32 v15, v54, v15
	v_mul_f32_e32 v41, v53, v17
	v_fma_f32 v5, v54, v14, -v38
	v_fmac_f32_e32 v9, v43, v8
	v_add_f32_e32 v2, v2, v4
	v_add_f32_e32 v3, v3, v7
	v_mul_f32_e32 v17, v52, v17
	v_mul_f32_e32 v4, v51, v11
	v_fma_f32 v6, v52, v16, -v41
	v_add_f32_e32 v2, v2, v5
	v_fmac_f32_e32 v15, v55, v14
	v_add_f32_e32 v3, v3, v9
	v_mul_f32_e32 v5, v49, v13
	v_fma_f32 v4, v50, v10, -v4
	v_add_f32_e32 v2, v2, v6
	v_mul_f32_e32 v6, v50, v11
	v_fmac_f32_e32 v17, v53, v16
	v_add_f32_e32 v3, v3, v15
	v_fma_f32 v5, v48, v12, -v5
	v_add_f32_e32 v2, v2, v4
	v_mul_f32_e32 v4, v63, v23
	v_fmac_f32_e32 v6, v51, v10
	v_add_f32_e32 v3, v3, v17
	v_mul_f32_e32 v7, v48, v13
	v_add_f32_e32 v2, v2, v5
	v_fma_f32 v4, v62, v22, -v4
	v_mul_f32_e32 v5, v61, v25
	v_add_f32_e32 v3, v3, v6
	v_fmac_f32_e32 v7, v49, v12
	v_mul_f32_e32 v6, v62, v23
	v_add_f32_e32 v2, v2, v4
	v_fma_f32 v4, v60, v24, -v5
	v_mul_f32_e32 v5, v59, v19
	v_add_f32_e32 v3, v3, v7
	v_fmac_f32_e32 v6, v63, v22
	;; [unrolled: 6-line block ×6, first 2 shown]
	v_mul_f32_e32 v7, v67, v27
	v_add_f32_e32 v2, v2, v4
	v_mul_f32_e32 v4, v66, v27
	v_fmac_f32_e32 v5, v71, v32
	v_add_f32_e32 v3, v3, v6
	v_fma_f32 v6, v66, v26, -v7
	v_mul_f32_e32 v7, v69, v29
	v_mul_f32_e32 v8, v68, v29
	v_fmac_f32_e32 v4, v67, v26
	v_add_f32_e32 v3, v3, v5
	v_add_f32_e32 v2, v2, v6
	v_fma_f32 v5, v68, v28, -v7
	v_fmac_f32_e32 v8, v69, v28
	s_add_i32 s6, s6, -1
	v_add_f32_e32 v3, v3, v4
	s_add_i32 s13, s13, 64
	v_add_f32_e32 v36, v2, v5
	v_add_co_u32 v2, s3, v64, s12
	v_add_f32_e32 v37, v3, v8
	v_add_co_ci_u32_e64 v3, null, s9, v65, s3
	s_cmp_eq_u32 s6, 0
	s_waitcnt_vscnt null, 0x0
	s_barrier
	buffer_gl0_inv
	s_cbranch_scc1 .LBB40_148
.LBB40_144:                             ; =>This Inner Loop Header: Depth=1
	s_and_saveexec_b32 s14, s1
	s_cbranch_execz .LBB40_146
; %bb.145:                              ;   in Loop: Header=BB40_144 Depth=1
	s_mul_i32 s3, s11, s13
	s_mul_hi_u32 s15, s10, s13
	s_mul_i32 s16, s10, s13
	s_add_i32 s17, s15, s3
	s_lshl_b64 s[16:17], s[16:17], 3
	v_add_co_u32 v4, s3, v75, s16
	v_add_co_ci_u32_e64 v5, null, s17, v76, s3
	flat_load_dwordx2 v[4:5], v[4:5]
	s_waitcnt vmcnt(0) lgkmcnt(0)
	ds_write_b64 v77, v[4:5]
.LBB40_146:                             ;   in Loop: Header=BB40_144 Depth=1
	s_or_b32 exec_lo, exec_lo, s14
	v_add_co_u32 v4, s3, v2, s4
	v_add_co_ci_u32_e64 v5, null, s5, v3, s3
	s_waitcnt lgkmcnt(0)
	s_barrier
	buffer_gl0_inv
	s_clause 0x1
	flat_load_dwordx2 v[40:41], v[2:3]
	flat_load_dwordx2 v[44:45], v[4:5]
	v_add_co_u32 v2, s3, v4, s4
	v_add_co_ci_u32_e64 v3, null, s5, v5, s3
	v_add_co_u32 v10, s3, v2, s4
	v_add_co_ci_u32_e64 v11, null, s5, v3, s3
	s_clause 0x1
	flat_load_dwordx2 v[46:47], v[2:3]
	flat_load_dwordx2 v[42:43], v[10:11]
	ds_read_b64 v[12:13], v79
	ds_read_b128 v[2:5], v78
	ds_read_b128 v[6:9], v78 offset:16
	v_add_co_u32 v10, s3, v10, s12
	v_add_co_ci_u32_e64 v11, null, s9, v11, s3
	v_add_co_u32 v18, s3, v10, s4
	v_add_co_ci_u32_e64 v19, null, s5, v11, s3
	s_waitcnt vmcnt(3) lgkmcnt(2)
	v_mul_f32_e32 v14, v41, v13
	v_mul_f32_e32 v15, v41, v12
	s_waitcnt vmcnt(2)
	v_mul_f32_e32 v16, v45, v13
	v_mul_f32_e32 v17, v45, v12
	v_fmac_f32_e32 v14, v40, v12
	v_fma_f32 v15, v40, v13, -v15
	v_fmac_f32_e32 v16, v44, v12
	v_fma_f32 v17, v44, v13, -v17
	s_waitcnt vmcnt(1)
	v_mul_f32_e32 v20, v47, v13
	s_waitcnt vmcnt(0)
	v_mul_f32_e32 v22, v43, v13
	v_mul_f32_e32 v21, v47, v12
	;; [unrolled: 1-line block ×3, first 2 shown]
	v_fmac_f32_e32 v20, v46, v12
	v_fmac_f32_e32 v22, v42, v12
	v_add_co_u32 v12, s3, v18, s4
	v_fma_f32 v21, v46, v13, -v21
	v_fma_f32 v23, v42, v13, -v23
	v_add_co_ci_u32_e64 v13, null, s5, v19, s3
	ds_write2_b64 v80, v[14:15], v[16:17] offset1:67
	ds_write2_b64 v80, v[20:21], v[22:23] offset0:134 offset1:201
	s_waitcnt lgkmcnt(0)
	s_barrier
	buffer_gl0_inv
	ds_read2_b64 v[85:88], v81 offset1:1
	ds_read2_b64 v[89:92], v81 offset0:2 offset1:3
	s_waitcnt lgkmcnt(0)
	s_barrier
	buffer_gl0_inv
	flat_load_dwordx2 v[54:55], v[10:11]
	v_add_co_u32 v10, s3, v12, s4
	v_add_co_ci_u32_e64 v11, null, s5, v13, s3
	s_clause 0x2
	flat_load_dwordx2 v[52:53], v[18:19]
	flat_load_dwordx2 v[50:51], v[12:13]
	;; [unrolled: 1-line block ×3, first 2 shown]
	ds_read_b64 v[12:13], v79
	v_add_co_u32 v18, s3, v10, s12
	v_add_co_ci_u32_e64 v19, null, s9, v11, s3
	v_add_co_u32 v20, s3, v18, s4
	v_add_co_ci_u32_e64 v21, null, s5, v19, s3
	v_add_f32_e32 v38, 0, v85
	v_add_co_u32 v22, s3, v20, s4
	v_add_co_ci_u32_e64 v23, null, s5, v21, s3
	v_add_f32_e32 v85, 0, v86
	;; [unrolled: 3-line block ×3, first 2 shown]
	v_add_f32_e32 v38, v38, v87
	v_add_f32_e32 v90, v85, v90
	;; [unrolled: 1-line block ×5, first 2 shown]
	s_waitcnt vmcnt(3) lgkmcnt(0)
	v_mul_f32_e32 v24, v55, v13
	v_mul_f32_e32 v10, v55, v12
	s_waitcnt vmcnt(2)
	v_mul_f32_e32 v26, v53, v13
	v_mul_f32_e32 v11, v53, v12
	s_waitcnt vmcnt(1)
	v_mul_f32_e32 v28, v51, v13
	v_mul_f32_e32 v14, v51, v12
	s_waitcnt vmcnt(0)
	v_mul_f32_e32 v30, v49, v13
	v_mul_f32_e32 v15, v49, v12
	v_fmac_f32_e32 v24, v54, v12
	v_fma_f32 v25, v54, v13, -v10
	v_fmac_f32_e32 v26, v52, v12
	v_fma_f32 v27, v52, v13, -v11
	;; [unrolled: 2-line block ×4, first 2 shown]
	ds_read_b128 v[14:17], v78 offset:128
	ds_read_b128 v[10:13], v78 offset:144
	ds_write2_b64 v80, v[24:25], v[26:27] offset1:67
	ds_write2_b64 v80, v[28:29], v[30:31] offset0:134 offset1:201
	s_waitcnt lgkmcnt(0)
	s_barrier
	buffer_gl0_inv
	ds_read2_b64 v[93:96], v81 offset1:1
	ds_read2_b64 v[97:100], v81 offset0:2 offset1:3
	s_waitcnt lgkmcnt(0)
	s_barrier
	buffer_gl0_inv
	s_clause 0x2
	flat_load_dwordx2 v[62:63], v[18:19]
	flat_load_dwordx2 v[60:61], v[20:21]
	;; [unrolled: 1-line block ×4, first 2 shown]
	ds_read_b64 v[18:19], v79
	v_add_co_u32 v26, s3, v32, s12
	v_add_co_ci_u32_e64 v27, null, s9, v33, s3
	v_add_co_u32 v28, s3, v26, s4
	v_add_co_ci_u32_e64 v29, null, s5, v27, s3
	;; [unrolled: 2-line block ×3, first 2 shown]
	v_add_f32_e32 v93, 0, v93
	v_add_f32_e32 v94, 0, v94
	;; [unrolled: 1-line block ×7, first 2 shown]
	s_waitcnt vmcnt(3) lgkmcnt(0)
	v_mul_f32_e32 v20, v63, v18
	v_mul_f32_e32 v30, v63, v19
	s_waitcnt vmcnt(2)
	v_mul_f32_e32 v21, v61, v18
	v_mul_f32_e32 v32, v61, v19
	s_waitcnt vmcnt(1)
	v_mul_f32_e32 v22, v59, v18
	s_waitcnt vmcnt(0)
	v_mul_f32_e32 v23, v57, v18
	v_mul_f32_e32 v64, v59, v19
	;; [unrolled: 1-line block ×3, first 2 shown]
	v_fma_f32 v31, v62, v19, -v20
	v_fma_f32 v33, v60, v19, -v21
	v_fmac_f32_e32 v30, v62, v18
	v_fmac_f32_e32 v32, v60, v18
	v_fma_f32 v65, v58, v19, -v22
	v_fma_f32 v67, v56, v19, -v23
	v_fmac_f32_e32 v64, v58, v18
	v_fmac_f32_e32 v66, v56, v18
	ds_read_b128 v[22:25], v78 offset:256
	ds_read_b128 v[18:21], v78 offset:272
	ds_write2_b64 v80, v[30:31], v[32:33] offset1:67
	ds_write2_b64 v80, v[64:65], v[66:67] offset0:134 offset1:201
	v_add_co_u32 v64, s3, v68, s4
	v_add_co_ci_u32_e64 v65, null, s5, v69, s3
	s_waitcnt lgkmcnt(0)
	s_barrier
	buffer_gl0_inv
	ds_read2_b64 v[101:104], v81 offset1:1
	ds_read2_b64 v[105:108], v81 offset0:2 offset1:3
	s_waitcnt lgkmcnt(0)
	s_barrier
	buffer_gl0_inv
	flat_load_dwordx2 v[72:73], v[26:27]
	flat_load_dwordx2 v[70:71], v[28:29]
	;; [unrolled: 1-line block ×4, first 2 shown]
	ds_read_b64 v[26:27], v79
	v_add_f32_e32 v92, 0, v101
	v_add_f32_e32 v93, 0, v102
	;; [unrolled: 1-line block ×7, first 2 shown]
	s_waitcnt vmcnt(2) lgkmcnt(0)
	v_mul_f32_e32 v29, v71, v26
	v_mul_f32_e32 v28, v73, v26
	;; [unrolled: 1-line block ×4, first 2 shown]
	s_waitcnt vmcnt(1)
	v_mul_f32_e32 v30, v67, v26
	v_mul_f32_e32 v113, v67, v27
	s_waitcnt vmcnt(0)
	v_mul_f32_e32 v31, v69, v26
	v_mul_f32_e32 v115, v69, v27
	v_fma_f32 v110, v72, v27, -v28
	v_fma_f32 v112, v70, v27, -v29
	v_fmac_f32_e32 v109, v72, v26
	v_fmac_f32_e32 v111, v70, v26
	v_fma_f32 v114, v66, v27, -v30
	v_fma_f32 v116, v68, v27, -v31
	v_fmac_f32_e32 v113, v66, v26
	v_fmac_f32_e32 v115, v68, v26
	ds_read_b128 v[30:33], v78 offset:384
	ds_read_b128 v[26:29], v78 offset:400
	ds_write2_b64 v80, v[109:110], v[111:112] offset1:67
	ds_write2_b64 v80, v[113:114], v[115:116] offset0:134 offset1:201
	s_waitcnt lgkmcnt(0)
	s_barrier
	buffer_gl0_inv
	ds_read2_b64 v[109:112], v81 offset1:1
	ds_read2_b64 v[85:88], v81 offset0:2 offset1:3
	s_waitcnt lgkmcnt(0)
	s_barrier
	buffer_gl0_inv
	v_add_f32_e32 v94, 0, v109
	v_add_f32_e32 v95, 0, v110
	;; [unrolled: 1-line block ×10, first 2 shown]
	ds_write2_b64 v84, v[89:90], v[91:92] offset1:16
	ds_write2_b64 v84, v[85:86], v[87:88] offset0:32 offset1:48
	s_waitcnt lgkmcnt(0)
	s_barrier
	buffer_gl0_inv
	s_and_saveexec_b32 s14, s2
	s_cbranch_execz .LBB40_143
; %bb.147:                              ;   in Loop: Header=BB40_144 Depth=1
	ds_read_b64 v[97:98], v82
	ds_read2_b64 v[85:88], v82 offset0:1 offset1:2
	ds_read2_b64 v[89:92], v82 offset0:3 offset1:4
	;; [unrolled: 1-line block ×3, first 2 shown]
	s_waitcnt lgkmcnt(2)
	v_add_f32_e32 v38, v85, v97
	v_add_f32_e32 v85, v86, v98
	v_add_f32_e32 v38, v87, v38
	v_add_f32_e32 v97, v88, v85
	ds_read2_b64 v[85:88], v82 offset0:7 offset1:8
	s_waitcnt lgkmcnt(2)
	v_add_f32_e32 v38, v38, v89
	v_add_f32_e32 v89, v97, v90
	v_add_f32_e32 v38, v38, v91
	v_add_f32_e32 v97, v89, v92
	ds_read2_b64 v[89:92], v82 offset0:9 offset1:10
	;; [unrolled: 6-line block ×4, first 2 shown]
	s_waitcnt lgkmcnt(2)
	v_add_f32_e32 v38, v38, v89
	v_add_f32_e32 v89, v97, v90
	;; [unrolled: 1-line block ×4, first 2 shown]
	ds_read_b64 v[89:90], v83
	s_waitcnt lgkmcnt(2)
	v_add_f32_e32 v38, v38, v93
	v_add_f32_e32 v91, v91, v94
	;; [unrolled: 1-line block ×4, first 2 shown]
	s_waitcnt lgkmcnt(1)
	v_add_f32_e32 v85, v38, v85
	v_add_f32_e32 v86, v91, v86
	v_add_nc_u32_e32 v38, s13, v0
	v_add_f32_e32 v87, v85, v87
	v_add_f32_e32 v88, v86, v88
	v_lshlrev_b64 v[85:86], 3, v[38:39]
	s_waitcnt lgkmcnt(0)
	v_add_f32_e32 v87, v87, v89
	v_add_f32_e32 v88, v88, v90
	v_add_co_u32 v85, s3, s7, v85
	v_add_co_ci_u32_e64 v86, null, s8, v86, s3
	global_store_dwordx2 v[85:86], v[87:88], off
	s_branch .LBB40_143
.LBB40_148:
	v_mad_u32_u24 v0, 0x218, v1, v74
	s_nor_b32 s0, s0, vcc_lo
	ds_write_b64 v0, v[36:37]
	s_waitcnt lgkmcnt(0)
	s_barrier
	buffer_gl0_inv
	s_and_saveexec_b32 s1, s0
	s_cbranch_execz .LBB40_150
; %bb.149:
	ds_read2_b64 v[0:3], v74 offset1:67
	ds_read2_b64 v[4:7], v74 offset0:134 offset1:201
	s_waitcnt lgkmcnt(1)
	v_add_f32_e32 v0, v2, v0
	v_add_f32_e32 v1, v3, v1
	s_waitcnt lgkmcnt(0)
	v_add_f32_e32 v2, v4, v0
	v_add_f32_e32 v3, v5, v1
	v_lshlrev_b64 v[0:1], 3, v[34:35]
	v_add_f32_e32 v2, v2, v6
	v_add_f32_e32 v3, v3, v7
	v_add_co_u32 v0, vcc_lo, s7, v0
	v_add_co_ci_u32_e64 v1, null, s8, v1, vcc_lo
	global_store_dwordx2 v[0:1], v[2:3], off
.LBB40_150:
	s_endpgm
	.section	.rodata,"a",@progbits
	.p2align	6, 0x0
	.amdhsa_kernel _ZL26rocblas_hemvn_kernel_lowerILb1ELi64ELi4ELi33ELi32ELi16ElPK19rocblas_complex_numIfEPKS3_PS1_EviT6_lT7_lT5_lS8_lS9_lS7_lT8_i
		.amdhsa_group_segment_fixed_size 9600
		.amdhsa_private_segment_fixed_size 0
		.amdhsa_kernarg_size 376
		.amdhsa_user_sgpr_count 6
		.amdhsa_user_sgpr_private_segment_buffer 1
		.amdhsa_user_sgpr_dispatch_ptr 0
		.amdhsa_user_sgpr_queue_ptr 0
		.amdhsa_user_sgpr_kernarg_segment_ptr 1
		.amdhsa_user_sgpr_dispatch_id 0
		.amdhsa_user_sgpr_flat_scratch_init 0
		.amdhsa_user_sgpr_private_segment_size 0
		.amdhsa_wavefront_size32 1
		.amdhsa_uses_dynamic_stack 0
		.amdhsa_system_sgpr_private_segment_wavefront_offset 0
		.amdhsa_system_sgpr_workgroup_id_x 1
		.amdhsa_system_sgpr_workgroup_id_y 0
		.amdhsa_system_sgpr_workgroup_id_z 1
		.amdhsa_system_sgpr_workgroup_info 0
		.amdhsa_system_vgpr_workitem_id 1
		.amdhsa_next_free_vgpr 117
		.amdhsa_next_free_sgpr 32
		.amdhsa_reserve_vcc 1
		.amdhsa_reserve_flat_scratch 1
		.amdhsa_float_round_mode_32 0
		.amdhsa_float_round_mode_16_64 0
		.amdhsa_float_denorm_mode_32 3
		.amdhsa_float_denorm_mode_16_64 3
		.amdhsa_dx10_clamp 1
		.amdhsa_ieee_mode 1
		.amdhsa_fp16_overflow 0
		.amdhsa_workgroup_processor_mode 1
		.amdhsa_memory_ordered 1
		.amdhsa_forward_progress 1
		.amdhsa_shared_vgpr_count 0
		.amdhsa_exception_fp_ieee_invalid_op 0
		.amdhsa_exception_fp_denorm_src 0
		.amdhsa_exception_fp_ieee_div_zero 0
		.amdhsa_exception_fp_ieee_overflow 0
		.amdhsa_exception_fp_ieee_underflow 0
		.amdhsa_exception_fp_ieee_inexact 0
		.amdhsa_exception_int_div_zero 0
	.end_amdhsa_kernel
	.section	.text._ZL26rocblas_hemvn_kernel_lowerILb1ELi64ELi4ELi33ELi32ELi16ElPK19rocblas_complex_numIfEPKS3_PS1_EviT6_lT7_lT5_lS8_lS9_lS7_lT8_i,"axG",@progbits,_ZL26rocblas_hemvn_kernel_lowerILb1ELi64ELi4ELi33ELi32ELi16ElPK19rocblas_complex_numIfEPKS3_PS1_EviT6_lT7_lT5_lS8_lS9_lS7_lT8_i,comdat
.Lfunc_end40:
	.size	_ZL26rocblas_hemvn_kernel_lowerILb1ELi64ELi4ELi33ELi32ELi16ElPK19rocblas_complex_numIfEPKS3_PS1_EviT6_lT7_lT5_lS8_lS9_lS7_lT8_i, .Lfunc_end40-_ZL26rocblas_hemvn_kernel_lowerILb1ELi64ELi4ELi33ELi32ELi16ElPK19rocblas_complex_numIfEPKS3_PS1_EviT6_lT7_lT5_lS8_lS9_lS7_lT8_i
                                        ; -- End function
	.set _ZL26rocblas_hemvn_kernel_lowerILb1ELi64ELi4ELi33ELi32ELi16ElPK19rocblas_complex_numIfEPKS3_PS1_EviT6_lT7_lT5_lS8_lS9_lS7_lT8_i.num_vgpr, 117
	.set _ZL26rocblas_hemvn_kernel_lowerILb1ELi64ELi4ELi33ELi32ELi16ElPK19rocblas_complex_numIfEPKS3_PS1_EviT6_lT7_lT5_lS8_lS9_lS7_lT8_i.num_agpr, 0
	.set _ZL26rocblas_hemvn_kernel_lowerILb1ELi64ELi4ELi33ELi32ELi16ElPK19rocblas_complex_numIfEPKS3_PS1_EviT6_lT7_lT5_lS8_lS9_lS7_lT8_i.numbered_sgpr, 32
	.set _ZL26rocblas_hemvn_kernel_lowerILb1ELi64ELi4ELi33ELi32ELi16ElPK19rocblas_complex_numIfEPKS3_PS1_EviT6_lT7_lT5_lS8_lS9_lS7_lT8_i.num_named_barrier, 0
	.set _ZL26rocblas_hemvn_kernel_lowerILb1ELi64ELi4ELi33ELi32ELi16ElPK19rocblas_complex_numIfEPKS3_PS1_EviT6_lT7_lT5_lS8_lS9_lS7_lT8_i.private_seg_size, 0
	.set _ZL26rocblas_hemvn_kernel_lowerILb1ELi64ELi4ELi33ELi32ELi16ElPK19rocblas_complex_numIfEPKS3_PS1_EviT6_lT7_lT5_lS8_lS9_lS7_lT8_i.uses_vcc, 1
	.set _ZL26rocblas_hemvn_kernel_lowerILb1ELi64ELi4ELi33ELi32ELi16ElPK19rocblas_complex_numIfEPKS3_PS1_EviT6_lT7_lT5_lS8_lS9_lS7_lT8_i.uses_flat_scratch, 1
	.set _ZL26rocblas_hemvn_kernel_lowerILb1ELi64ELi4ELi33ELi32ELi16ElPK19rocblas_complex_numIfEPKS3_PS1_EviT6_lT7_lT5_lS8_lS9_lS7_lT8_i.has_dyn_sized_stack, 0
	.set _ZL26rocblas_hemvn_kernel_lowerILb1ELi64ELi4ELi33ELi32ELi16ElPK19rocblas_complex_numIfEPKS3_PS1_EviT6_lT7_lT5_lS8_lS9_lS7_lT8_i.has_recursion, 0
	.set _ZL26rocblas_hemvn_kernel_lowerILb1ELi64ELi4ELi33ELi32ELi16ElPK19rocblas_complex_numIfEPKS3_PS1_EviT6_lT7_lT5_lS8_lS9_lS7_lT8_i.has_indirect_call, 0
	.section	.AMDGPU.csdata,"",@progbits
; Kernel info:
; codeLenInByte = 8400
; TotalNumSgprs: 34
; NumVgprs: 117
; ScratchSize: 0
; MemoryBound: 1
; FloatMode: 240
; IeeeMode: 1
; LDSByteSize: 9600 bytes/workgroup (compile time only)
; SGPRBlocks: 0
; VGPRBlocks: 14
; NumSGPRsForWavesPerEU: 34
; NumVGPRsForWavesPerEU: 117
; Occupancy: 8
; WaveLimiterHint : 1
; COMPUTE_PGM_RSRC2:SCRATCH_EN: 0
; COMPUTE_PGM_RSRC2:USER_SGPR: 6
; COMPUTE_PGM_RSRC2:TRAP_HANDLER: 0
; COMPUTE_PGM_RSRC2:TGID_X_EN: 1
; COMPUTE_PGM_RSRC2:TGID_Y_EN: 0
; COMPUTE_PGM_RSRC2:TGID_Z_EN: 1
; COMPUTE_PGM_RSRC2:TIDIG_COMP_CNT: 1
	.section	.text._ZL36rocblas_hemvn_kernel_lower_block_sumILi64ElPK19rocblas_complex_numIfEPKPS1_S1_EviT1_lS7_lT2_lT0_lPT3_i,"axG",@progbits,_ZL36rocblas_hemvn_kernel_lower_block_sumILi64ElPK19rocblas_complex_numIfEPKPS1_S1_EviT1_lS7_lT2_lT0_lPT3_i,comdat
	.globl	_ZL36rocblas_hemvn_kernel_lower_block_sumILi64ElPK19rocblas_complex_numIfEPKPS1_S1_EviT1_lS7_lT2_lT0_lPT3_i ; -- Begin function _ZL36rocblas_hemvn_kernel_lower_block_sumILi64ElPK19rocblas_complex_numIfEPKPS1_S1_EviT1_lS7_lT2_lT0_lPT3_i
	.p2align	8
	.type	_ZL36rocblas_hemvn_kernel_lower_block_sumILi64ElPK19rocblas_complex_numIfEPKPS1_S1_EviT1_lS7_lT2_lT0_lPT3_i,@function
_ZL36rocblas_hemvn_kernel_lower_block_sumILi64ElPK19rocblas_complex_numIfEPKPS1_S1_EviT1_lS7_lT2_lT0_lPT3_i: ; @_ZL36rocblas_hemvn_kernel_lower_block_sumILi64ElPK19rocblas_complex_numIfEPKPS1_S1_EviT1_lS7_lT2_lT0_lPT3_i
; %bb.0:
	s_load_dwordx8 s[16:23], s[4:5], 0x8
	s_mov_b32 s12, s7
	s_mov_b32 s13, 0
	s_waitcnt lgkmcnt(0)
	s_mul_i32 s1, s19, s7
	s_mul_hi_u32 s2, s18, s7
	s_mul_i32 s0, s18, s7
	s_add_i32 s1, s2, s1
	s_mul_i32 s2, s23, s7
	s_lshl_b64 s[0:1], s[0:1], 3
	s_add_u32 s0, s16, s0
	s_addc_u32 s1, s17, s1
	s_load_dwordx2 s[10:11], s[0:1], 0x0
	s_mul_hi_u32 s1, s22, s7
	s_mul_i32 s0, s22, s7
	s_add_i32 s1, s1, s2
	s_lshl_b64 s[0:1], s[0:1], 3
	s_add_u32 s0, s20, s0
	s_addc_u32 s1, s21, s1
	s_load_dwordx2 s[8:9], s[0:1], 0x0
	s_waitcnt lgkmcnt(0)
	s_or_b32 s0, s10, s11
	s_bitset0_b32 s0, 31
	s_cmp_eq_u32 s0, 0
	s_cselect_b32 s15, -1, 0
	s_cmp_lg_u32 s0, 0
	s_mov_b32 s0, -1
	s_cbranch_scc1 .LBB41_2
; %bb.1:
	v_cmp_neq_f32_e64 s0, s8, 1.0
	v_cmp_neq_f32_e64 s1, s9, 0
	s_or_b32 s0, s0, s1
.LBB41_2:
	s_andn2_b32 vcc_lo, exec_lo, s0
	s_cbranch_vccnz .LBB41_19
; %bb.3:
	s_clause 0x1
	s_load_dwordx2 s[16:17], s[4:5], 0x28
	s_load_dword s14, s[4:5], 0x0
	s_lshl_b64 s[18:19], s[12:13], 3
	s_load_dwordx4 s[0:3], s[4:5], 0x30
	v_lshl_or_b32 v0, s6, 6, v0
	s_waitcnt lgkmcnt(0)
	s_add_u32 s16, s16, s18
	s_addc_u32 s17, s17, s19
	s_lshl_b64 s[18:19], s[0:1], 3
	s_load_dwordx2 s[16:17], s[16:17], 0x0
	v_cmp_gt_i32_e64 s0, s14, v0
	s_mov_b32 s1, -1
	s_waitcnt lgkmcnt(0)
	s_add_u32 s7, s16, s18
	s_addc_u32 s13, s17, s19
	s_andn2_b32 vcc_lo, exec_lo, s15
	s_cbranch_vccnz .LBB41_9
; %bb.4:
	s_and_saveexec_b32 s1, s0
	s_cbranch_execz .LBB41_8
; %bb.5:
	v_ashrrev_i32_e32 v1, 31, v0
	v_mul_lo_u32 v3, s3, v0
	v_cmp_neq_f32_e64 s0, s8, 0
	v_cmp_neq_f32_e64 s15, s9, 0
	v_mul_lo_u32 v4, s2, v1
	v_mad_u64_u32 v[1:2], null, s2, v0, 0
	s_or_b32 s0, s0, s15
	s_andn2_b32 vcc_lo, exec_lo, s0
	v_add3_u32 v2, v2, v4, v3
	v_mov_b32_e32 v3, 0
	v_mov_b32_e32 v4, 0
	v_lshlrev_b64 v[1:2], 3, v[1:2]
	s_cbranch_vccnz .LBB41_7
; %bb.6:
	v_add_co_u32 v3, vcc_lo, s7, v1
	v_add_co_ci_u32_e64 v4, null, s13, v2, vcc_lo
	flat_load_dwordx2 v[5:6], v[3:4]
	s_waitcnt vmcnt(0) lgkmcnt(0)
	v_mul_f32_e32 v3, s9, v6
	v_mul_f32_e32 v4, s8, v6
	v_fma_f32 v3, v5, s8, -v3
	v_fmac_f32_e32 v4, s9, v5
.LBB41_7:
	v_add_co_u32 v1, vcc_lo, s7, v1
	v_add_co_ci_u32_e64 v2, null, s13, v2, vcc_lo
	flat_store_dwordx2 v[1:2], v[3:4]
.LBB41_8:
	s_or_b32 exec_lo, exec_lo, s1
	s_mov_b32 s1, 0
.LBB41_9:
	s_andn2_b32 vcc_lo, exec_lo, s1
	s_cbranch_vccnz .LBB41_19
; %bb.10:
	s_mov_b32 s0, exec_lo
	v_cmpx_gt_i32_e64 s14, v0
	s_cbranch_execz .LBB41_19
; %bb.11:
	s_load_dword s16, s[4:5], 0x58
	v_mov_b32_e32 v3, 0
	v_mov_b32_e32 v4, 0
	s_waitcnt lgkmcnt(0)
	s_cmp_ge_i32 s6, s16
	s_cbranch_scc1 .LBB41_14
; %bb.12:
	s_load_dwordx2 s[0:1], s[4:5], 0x48
	v_mad_u64_u32 v[1:2], null, s14, s6, v[0:1]
	s_ashr_i32 s15, s14, 31
	s_mul_hi_u32 s4, s14, s12
	s_mul_i32 s5, s15, s12
	s_mul_i32 s12, s14, s12
	s_add_i32 s4, s4, s5
	s_mul_hi_u32 s5, s12, s16
	v_ashrrev_i32_e32 v2, 31, v1
	s_mul_i32 s17, s4, s16
	s_mul_i32 s4, s12, s16
	s_add_i32 s5, s5, s17
	v_mov_b32_e32 v3, 0
	v_lshlrev_b64 v[1:2], 3, v[1:2]
	s_lshl_b64 s[4:5], s[4:5], 3
	v_mov_b32_e32 v4, 0
	s_waitcnt lgkmcnt(0)
	s_add_u32 s0, s0, s4
	s_addc_u32 s1, s1, s5
	v_add_co_u32 v1, vcc_lo, s0, v1
	v_add_co_ci_u32_e64 v2, null, s1, v2, vcc_lo
	s_lshl_b64 s[0:1], s[14:15], 3
	v_add_co_u32 v1, vcc_lo, v1, 4
	v_add_co_ci_u32_e64 v2, null, 0, v2, vcc_lo
.LBB41_13:                              ; =>This Inner Loop Header: Depth=1
	global_load_dwordx2 v[5:6], v[1:2], off offset:-4
	v_add_co_u32 v1, vcc_lo, v1, s0
	v_add_co_ci_u32_e64 v2, null, s1, v2, vcc_lo
	s_add_i32 s6, s6, 1
	s_cmp_ge_i32 s6, s16
	s_waitcnt vmcnt(0)
	v_add_f32_e32 v4, v4, v5
	v_add_f32_e32 v3, v3, v6
	s_cbranch_scc0 .LBB41_13
.LBB41_14:
	v_ashrrev_i32_e32 v1, 31, v0
	v_mul_f32_e32 v7, s11, v3
	v_mul_f32_e32 v2, s10, v3
	v_cmp_neq_f32_e64 s0, s8, 0
	v_cmp_neq_f32_e64 s1, s9, 0
	v_mul_lo_u32 v5, s3, v0
	v_mul_lo_u32 v6, s2, v1
	v_fma_f32 v1, v4, s10, -v7
	v_fmac_f32_e32 v2, s11, v4
	s_or_b32 s0, s0, s1
	s_andn2_b32 vcc_lo, exec_lo, s0
	s_mov_b32 s0, 0
	s_cbranch_vccz .LBB41_16
; %bb.15:
	v_mad_u64_u32 v[3:4], null, s2, v0, 0
	v_add3_u32 v4, v4, v6, v5
	s_andn2_b32 vcc_lo, exec_lo, s0
	s_cbranch_vccz .LBB41_17
	s_branch .LBB41_18
.LBB41_16:
                                        ; implicit-def: $vgpr3_vgpr4
.LBB41_17:
	v_mad_u64_u32 v[3:4], null, s2, v0, 0
	v_add3_u32 v4, v4, v6, v5
	v_lshlrev_b64 v[5:6], 3, v[3:4]
	v_add_co_u32 v5, vcc_lo, s7, v5
	v_add_co_ci_u32_e64 v6, null, s13, v6, vcc_lo
	flat_load_dwordx2 v[5:6], v[5:6]
	s_waitcnt vmcnt(0) lgkmcnt(0)
	v_mul_f32_e32 v0, s9, v6
	v_mul_f32_e32 v6, s8, v6
	v_fma_f32 v0, v5, s8, -v0
	v_fmac_f32_e32 v6, s9, v5
	v_add_f32_e32 v1, v1, v0
	v_add_f32_e32 v2, v2, v6
.LBB41_18:
	v_lshlrev_b64 v[3:4], 3, v[3:4]
	v_add_co_u32 v3, vcc_lo, s7, v3
	v_add_co_ci_u32_e64 v4, null, s13, v4, vcc_lo
	flat_store_dwordx2 v[3:4], v[1:2]
.LBB41_19:
	s_endpgm
	.section	.rodata,"a",@progbits
	.p2align	6, 0x0
	.amdhsa_kernel _ZL36rocblas_hemvn_kernel_lower_block_sumILi64ElPK19rocblas_complex_numIfEPKPS1_S1_EviT1_lS7_lT2_lT0_lPT3_i
		.amdhsa_group_segment_fixed_size 0
		.amdhsa_private_segment_fixed_size 0
		.amdhsa_kernarg_size 344
		.amdhsa_user_sgpr_count 6
		.amdhsa_user_sgpr_private_segment_buffer 1
		.amdhsa_user_sgpr_dispatch_ptr 0
		.amdhsa_user_sgpr_queue_ptr 0
		.amdhsa_user_sgpr_kernarg_segment_ptr 1
		.amdhsa_user_sgpr_dispatch_id 0
		.amdhsa_user_sgpr_flat_scratch_init 0
		.amdhsa_user_sgpr_private_segment_size 0
		.amdhsa_wavefront_size32 1
		.amdhsa_uses_dynamic_stack 0
		.amdhsa_system_sgpr_private_segment_wavefront_offset 0
		.amdhsa_system_sgpr_workgroup_id_x 1
		.amdhsa_system_sgpr_workgroup_id_y 0
		.amdhsa_system_sgpr_workgroup_id_z 1
		.amdhsa_system_sgpr_workgroup_info 0
		.amdhsa_system_vgpr_workitem_id 0
		.amdhsa_next_free_vgpr 8
		.amdhsa_next_free_sgpr 24
		.amdhsa_reserve_vcc 1
		.amdhsa_reserve_flat_scratch 0
		.amdhsa_float_round_mode_32 0
		.amdhsa_float_round_mode_16_64 0
		.amdhsa_float_denorm_mode_32 3
		.amdhsa_float_denorm_mode_16_64 3
		.amdhsa_dx10_clamp 1
		.amdhsa_ieee_mode 1
		.amdhsa_fp16_overflow 0
		.amdhsa_workgroup_processor_mode 1
		.amdhsa_memory_ordered 1
		.amdhsa_forward_progress 1
		.amdhsa_shared_vgpr_count 0
		.amdhsa_exception_fp_ieee_invalid_op 0
		.amdhsa_exception_fp_denorm_src 0
		.amdhsa_exception_fp_ieee_div_zero 0
		.amdhsa_exception_fp_ieee_overflow 0
		.amdhsa_exception_fp_ieee_underflow 0
		.amdhsa_exception_fp_ieee_inexact 0
		.amdhsa_exception_int_div_zero 0
	.end_amdhsa_kernel
	.section	.text._ZL36rocblas_hemvn_kernel_lower_block_sumILi64ElPK19rocblas_complex_numIfEPKPS1_S1_EviT1_lS7_lT2_lT0_lPT3_i,"axG",@progbits,_ZL36rocblas_hemvn_kernel_lower_block_sumILi64ElPK19rocblas_complex_numIfEPKPS1_S1_EviT1_lS7_lT2_lT0_lPT3_i,comdat
.Lfunc_end41:
	.size	_ZL36rocblas_hemvn_kernel_lower_block_sumILi64ElPK19rocblas_complex_numIfEPKPS1_S1_EviT1_lS7_lT2_lT0_lPT3_i, .Lfunc_end41-_ZL36rocblas_hemvn_kernel_lower_block_sumILi64ElPK19rocblas_complex_numIfEPKPS1_S1_EviT1_lS7_lT2_lT0_lPT3_i
                                        ; -- End function
	.set _ZL36rocblas_hemvn_kernel_lower_block_sumILi64ElPK19rocblas_complex_numIfEPKPS1_S1_EviT1_lS7_lT2_lT0_lPT3_i.num_vgpr, 8
	.set _ZL36rocblas_hemvn_kernel_lower_block_sumILi64ElPK19rocblas_complex_numIfEPKPS1_S1_EviT1_lS7_lT2_lT0_lPT3_i.num_agpr, 0
	.set _ZL36rocblas_hemvn_kernel_lower_block_sumILi64ElPK19rocblas_complex_numIfEPKPS1_S1_EviT1_lS7_lT2_lT0_lPT3_i.numbered_sgpr, 24
	.set _ZL36rocblas_hemvn_kernel_lower_block_sumILi64ElPK19rocblas_complex_numIfEPKPS1_S1_EviT1_lS7_lT2_lT0_lPT3_i.num_named_barrier, 0
	.set _ZL36rocblas_hemvn_kernel_lower_block_sumILi64ElPK19rocblas_complex_numIfEPKPS1_S1_EviT1_lS7_lT2_lT0_lPT3_i.private_seg_size, 0
	.set _ZL36rocblas_hemvn_kernel_lower_block_sumILi64ElPK19rocblas_complex_numIfEPKPS1_S1_EviT1_lS7_lT2_lT0_lPT3_i.uses_vcc, 1
	.set _ZL36rocblas_hemvn_kernel_lower_block_sumILi64ElPK19rocblas_complex_numIfEPKPS1_S1_EviT1_lS7_lT2_lT0_lPT3_i.uses_flat_scratch, 0
	.set _ZL36rocblas_hemvn_kernel_lower_block_sumILi64ElPK19rocblas_complex_numIfEPKPS1_S1_EviT1_lS7_lT2_lT0_lPT3_i.has_dyn_sized_stack, 0
	.set _ZL36rocblas_hemvn_kernel_lower_block_sumILi64ElPK19rocblas_complex_numIfEPKPS1_S1_EviT1_lS7_lT2_lT0_lPT3_i.has_recursion, 0
	.set _ZL36rocblas_hemvn_kernel_lower_block_sumILi64ElPK19rocblas_complex_numIfEPKPS1_S1_EviT1_lS7_lT2_lT0_lPT3_i.has_indirect_call, 0
	.section	.AMDGPU.csdata,"",@progbits
; Kernel info:
; codeLenInByte = 856
; TotalNumSgprs: 26
; NumVgprs: 8
; ScratchSize: 0
; MemoryBound: 0
; FloatMode: 240
; IeeeMode: 1
; LDSByteSize: 0 bytes/workgroup (compile time only)
; SGPRBlocks: 0
; VGPRBlocks: 0
; NumSGPRsForWavesPerEU: 26
; NumVGPRsForWavesPerEU: 8
; Occupancy: 16
; WaveLimiterHint : 1
; COMPUTE_PGM_RSRC2:SCRATCH_EN: 0
; COMPUTE_PGM_RSRC2:USER_SGPR: 6
; COMPUTE_PGM_RSRC2:TRAP_HANDLER: 0
; COMPUTE_PGM_RSRC2:TGID_X_EN: 1
; COMPUTE_PGM_RSRC2:TGID_Y_EN: 0
; COMPUTE_PGM_RSRC2:TGID_Z_EN: 1
; COMPUTE_PGM_RSRC2:TIDIG_COMP_CNT: 0
	.section	.text._ZL26rocblas_hemvn_kernel_lowerILb1ELi64ELi4ELi33ELi32ELi16EiPK19rocblas_complex_numIfEPKS3_PS1_EviT6_lT7_lT5_lS8_lS9_lS7_lT8_i,"axG",@progbits,_ZL26rocblas_hemvn_kernel_lowerILb1ELi64ELi4ELi33ELi32ELi16EiPK19rocblas_complex_numIfEPKS3_PS1_EviT6_lT7_lT5_lS8_lS9_lS7_lT8_i,comdat
	.globl	_ZL26rocblas_hemvn_kernel_lowerILb1ELi64ELi4ELi33ELi32ELi16EiPK19rocblas_complex_numIfEPKS3_PS1_EviT6_lT7_lT5_lS8_lS9_lS7_lT8_i ; -- Begin function _ZL26rocblas_hemvn_kernel_lowerILb1ELi64ELi4ELi33ELi32ELi16EiPK19rocblas_complex_numIfEPKS3_PS1_EviT6_lT7_lT5_lS8_lS9_lS7_lT8_i
	.p2align	8
	.type	_ZL26rocblas_hemvn_kernel_lowerILb1ELi64ELi4ELi33ELi32ELi16EiPK19rocblas_complex_numIfEPKS3_PS1_EviT6_lT7_lT5_lS8_lS9_lS7_lT8_i,@function
_ZL26rocblas_hemvn_kernel_lowerILb1ELi64ELi4ELi33ELi32ELi16EiPK19rocblas_complex_numIfEPKS3_PS1_EviT6_lT7_lT5_lS8_lS9_lS7_lT8_i: ; @_ZL26rocblas_hemvn_kernel_lowerILb1ELi64ELi4ELi33ELi32ELi16EiPK19rocblas_complex_numIfEPKS3_PS1_EviT6_lT7_lT5_lS8_lS9_lS7_lT8_i
; %bb.0:
	s_load_dwordx2 s[0:1], s[4:5], 0x84
	s_add_u32 s18, s4, 0x78
	s_addc_u32 s19, s5, 0
	s_waitcnt lgkmcnt(0)
	s_lshr_b32 s2, s0, 16
	s_and_b32 s0, s0, 0xffff
	s_and_b32 s1, s1, 0xffff
	s_mul_i32 s0, s2, s0
	s_mul_i32 s0, s0, s1
	s_cmpk_lg_i32 s0, 0x100
	s_cbranch_scc1 .LBB42_150
; %bb.1:
	s_load_dwordx8 s[8:15], s[4:5], 0x8
	s_mov_b32 s16, s7
	v_mov_b32_e32 v2, v1
	s_mov_b32 s17, 0
	s_waitcnt lgkmcnt(0)
	s_mul_i32 s0, s11, s7
	s_mul_hi_u32 s1, s10, s7
	s_add_i32 s1, s1, s0
	s_mul_i32 s0, s10, s7
	s_lshl_b64 s[0:1], s[0:1], 3
	s_add_u32 s0, s8, s0
	s_addc_u32 s1, s9, s1
	s_load_dwordx2 s[8:9], s[0:1], 0x0
	s_clause 0x1
	s_load_dwordx2 s[10:11], s[4:5], 0x68
	s_load_dwordx4 s[0:3], s[4:5], 0x58
	s_waitcnt lgkmcnt(0)
	s_or_b32 s7, s8, s9
	s_bitset0_b32 s7, 31
	s_cmp_lg_u32 s7, 0
	s_mov_b32 s7, -1
	s_cbranch_scc1 .LBB42_3
; %bb.2:
	s_mul_i32 s3, s3, s16
	s_mul_hi_u32 s7, s2, s16
	s_mul_i32 s2, s2, s16
	s_add_i32 s3, s7, s3
	s_mov_b32 s7, 0
	s_lshl_b64 s[2:3], s[2:3], 3
	s_add_u32 s0, s0, s2
	s_addc_u32 s1, s1, s3
	s_load_dwordx2 s[0:1], s[0:1], 0x0
	s_waitcnt lgkmcnt(0)
	v_cmp_eq_f32_e64 s0, s0, 1.0
	v_cmp_eq_f32_e64 s1, s1, 0
	s_and_b32 s0, s0, s1
	s_andn2_b32 vcc_lo, exec_lo, s0
.LBB42_3:
	s_andn2_b32 vcc_lo, exec_lo, s7
	s_cbranch_vccnz .LBB42_150
; %bb.4:
	s_load_dwordx4 s[0:3], s[4:5], 0x38
	s_lshl_b64 s[8:9], s[16:17], 3
	s_load_dword s17, s[4:5], 0x48
	s_add_u32 s20, s12, s8
	s_addc_u32 s21, s13, s9
	s_waitcnt lgkmcnt(0)
	s_add_u32 s0, s0, s8
	s_addc_u32 s1, s1, s9
	s_lshl_b64 s[2:3], s[2:3], 3
	s_load_dwordx2 s[0:1], s[0:1], 0x0
	s_load_dword s26, s[4:5], 0x0
	s_load_dword s27, s[18:19], 0x0
	s_waitcnt lgkmcnt(0)
	s_add_u32 s7, s0, s2
	s_addc_u32 s1, s1, s3
	s_lshl_b32 s12, s6, 6
	s_load_dwordx2 s[2:3], s[20:21], 0x0
	v_add_nc_u32_e32 v35, s12, v0
	s_ashr_i32 s28, s26, 31
	s_add_i32 s9, s27, -1
	s_lshr_b32 s0, s28, 26
	v_mul_lo_u32 v3, s17, v35
	s_add_i32 s8, s26, s0
	v_cmp_ne_u32_e64 s0, 0, v2
	s_andn2_b32 s8, s8, 63
	s_sub_i32 s8, s26, s8
	s_cmp_eq_u32 s6, s9
	v_ashrrev_i32_e32 v4, 31, v3
	s_cselect_b32 s18, s8, 0
	v_lshlrev_b64 v[3:4], 3, v[3:4]
	v_add_co_u32 v19, vcc_lo, s7, v3
	v_add_co_ci_u32_e64 v20, null, s1, v4, vcc_lo
	v_cmp_eq_u32_e64 s1, 0, v2
	s_mov_b32 s7, -1
	s_and_saveexec_b32 s8, s1
	s_cbranch_execz .LBB42_9
; %bb.5:
	v_cmp_le_i32_e32 vcc_lo, s18, v0
	s_cmp_lg_u32 s18, 0
	v_lshl_add_u32 v1, v0, 3, 0x2380
	s_cselect_b32 s9, -1, 0
	s_and_b32 s9, s9, vcc_lo
	s_and_saveexec_b32 s13, s9
	s_xor_b32 s9, exec_lo, s13
; %bb.6:
	v_mov_b32_e32 v3, 0
	v_mov_b32_e32 v4, v3
	ds_write_b64 v1, v[3:4]
                                        ; implicit-def: $vgpr1
; %bb.7:
	s_andn2_saveexec_b32 s9, s9
	s_cbranch_execz .LBB42_9
; %bb.8:
	flat_load_dwordx2 v[3:4], v[19:20]
	s_waitcnt vmcnt(0) lgkmcnt(0)
	ds_write_b64 v1, v[3:4]
.LBB42_9:
	s_or_b32 exec_lo, exec_lo, s8
	s_load_dword s20, s[4:5], 0x28
	v_lshl_add_u32 v25, v2, 6, v0
	v_and_b32_e32 v1, 31, v0
	s_lshl_b64 s[4:5], s[14:15], 3
	s_waitcnt lgkmcnt(0)
	s_add_u32 s4, s2, s4
	v_lshrrev_b32_e32 v7, 5, v25
	s_addc_u32 s5, s3, s5
	s_ashr_i32 s13, s12, 31
	s_lshl_b64 s[2:3], s[12:13], 3
	s_add_u32 s4, s4, s2
	s_addc_u32 s5, s5, s3
	v_mad_u64_u32 v[3:4], null, s20, v7, v[1:2]
	s_mul_i32 s2, s20, s12
	s_ashr_i32 s3, s2, 31
	s_lshl_b64 s[14:15], s[2:3], 3
	s_cmp_lg_u32 s18, 0
	v_ashrrev_i32_e32 v4, 31, v3
	s_cselect_b32 s13, -1, 0
	s_cmp_eq_u32 s18, 0
	s_cselect_b32 s8, -1, 0
	v_lshlrev_b64 v[21:22], 3, v[3:4]
	v_add_co_u32 v3, vcc_lo, s4, v21
	v_add_co_ci_u32_e64 v4, null, s5, v22, vcc_lo
	v_add_co_u32 v3, vcc_lo, v3, s14
	v_add_co_ci_u32_e64 v4, null, s15, v4, vcc_lo
	s_and_b32 vcc_lo, exec_lo, s13
	s_cbranch_vccnz .LBB42_11
; %bb.10:
	s_lshl_b32 s2, s20, 3
	s_ashr_i32 s21, s20, 31
	s_ashr_i32 s3, s2, 31
	v_mul_u32_u24_e32 v14, 0x108, v7
	s_lshl_b64 s[2:3], s[2:3], 3
	s_mov_b32 s7, 0
	v_add_co_u32 v5, vcc_lo, v3, s2
	v_add_co_ci_u32_e64 v6, null, s3, v4, vcc_lo
	s_lshl_b64 s[2:3], s[20:21], 6
	v_lshl_add_u32 v14, v1, 3, v14
	v_add_co_u32 v8, vcc_lo, v5, s2
	v_add_co_ci_u32_e64 v9, null, s3, v6, vcc_lo
	v_add_co_u32 v10, vcc_lo, v8, s2
	v_add_co_ci_u32_e64 v11, null, s3, v9, vcc_lo
	s_clause 0x3
	flat_load_dwordx2 v[12:13], v[3:4]
	flat_load_dwordx2 v[5:6], v[5:6]
	;; [unrolled: 1-line block ×4, first 2 shown]
	s_waitcnt vmcnt(3) lgkmcnt(3)
	ds_write_b64 v14, v[12:13]
	s_waitcnt vmcnt(2) lgkmcnt(3)
	ds_write_b64 v14, v[5:6] offset:2112
	s_waitcnt vmcnt(1) lgkmcnt(3)
	ds_write_b64 v14, v[8:9] offset:4224
	;; [unrolled: 2-line block ×3, first 2 shown]
.LBB42_11:
	v_lshlrev_b32_e32 v8, 3, v1
	s_andn2_b32 vcc_lo, exec_lo, s7
	s_cbranch_vccnz .LBB42_29
; %bb.12:
	v_sub_co_u32 v5, vcc_lo, v3, v8
	s_ashr_i32 s19, s18, 31
	v_subrev_co_ci_u32_e64 v6, null, 0, v4, vcc_lo
	s_lshl_b64 s[4:5], s[18:19], 3
	v_cmp_le_i32_e64 s2, s18, v7
	v_add_co_u32 v5, vcc_lo, v5, s4
	v_add_co_ci_u32_e64 v6, null, s5, v6, vcc_lo
	v_mul_u32_u24_e32 v9, 0x108, v7
	v_add_co_u32 v5, vcc_lo, v5, -8
	v_add_co_ci_u32_e64 v6, null, -1, v6, vcc_lo
	v_cmp_gt_i32_e32 vcc_lo, s18, v1
	v_cndmask_b32_e32 v6, v6, v4, vcc_lo
	v_cndmask_b32_e32 v5, v5, v3, vcc_lo
	s_and_saveexec_b32 s3, s2
	s_xor_b32 s2, exec_lo, s3
	s_cbranch_execz .LBB42_14
; %bb.13:
	v_mov_b32_e32 v10, 0
	v_add_nc_u32_e32 v12, v8, v9
	v_mov_b32_e32 v11, v10
	ds_write_b64 v12, v[10:11]
.LBB42_14:
	s_andn2_saveexec_b32 s2, s2
	s_cbranch_execz .LBB42_16
; %bb.15:
	flat_load_dwordx2 v[10:11], v[5:6]
	v_add_nc_u32_e32 v12, v8, v9
	s_waitcnt vmcnt(0) lgkmcnt(0)
	ds_write_b64 v12, v[10:11]
.LBB42_16:
	s_or_b32 exec_lo, exec_lo, s2
	v_add_nc_u32_e32 v10, 8, v7
	v_cmp_le_i32_e64 s2, s18, v10
	s_and_saveexec_b32 s3, s2
	s_xor_b32 s2, exec_lo, s3
	s_cbranch_execz .LBB42_18
; %bb.17:
	v_mov_b32_e32 v10, 0
	v_add_nc_u32_e32 v12, v9, v8
	v_mov_b32_e32 v11, v10
	ds_write_b64 v12, v[10:11] offset:2112
.LBB42_18:
	s_andn2_saveexec_b32 s3, s2
	s_cbranch_execz .LBB42_20
; %bb.19:
	s_lshl_b32 s22, s20, 3
	v_add_nc_u32_e32 v12, v9, v8
	s_ashr_i32 s23, s22, 31
	s_lshl_b64 s[22:23], s[22:23], 3
	v_add_co_u32 v10, s2, v5, s22
	v_add_co_ci_u32_e64 v11, null, s23, v6, s2
	flat_load_dwordx2 v[10:11], v[10:11]
	s_waitcnt vmcnt(0) lgkmcnt(0)
	ds_write_b64 v12, v[10:11] offset:2112
.LBB42_20:
	s_or_b32 exec_lo, exec_lo, s3
	v_add_nc_u32_e32 v10, 16, v7
	v_cmp_le_i32_e64 s2, s18, v10
	s_and_saveexec_b32 s3, s2
	s_xor_b32 s2, exec_lo, s3
	s_cbranch_execz .LBB42_22
; %bb.21:
	v_mov_b32_e32 v10, 0
	v_add_nc_u32_e32 v12, v9, v8
	v_mov_b32_e32 v11, v10
	ds_write_b64 v12, v[10:11] offset:4224
.LBB42_22:
	s_andn2_saveexec_b32 s3, s2
	s_cbranch_execz .LBB42_24
; %bb.23:
	s_lshl_b32 s22, s20, 4
	v_add_nc_u32_e32 v12, v9, v8
	s_ashr_i32 s23, s22, 31
	s_lshl_b64 s[22:23], s[22:23], 3
	v_add_co_u32 v10, s2, v5, s22
	v_add_co_ci_u32_e64 v11, null, s23, v6, s2
	flat_load_dwordx2 v[10:11], v[10:11]
	s_waitcnt vmcnt(0) lgkmcnt(0)
	ds_write_b64 v12, v[10:11] offset:4224
.LBB42_24:
	s_or_b32 exec_lo, exec_lo, s3
	v_add_nc_u32_e32 v10, 24, v7
	v_cmp_le_i32_e64 s2, s18, v10
	s_and_saveexec_b32 s3, s2
	s_xor_b32 s2, exec_lo, s3
	s_cbranch_execz .LBB42_26
; %bb.25:
	v_mov_b32_e32 v10, 0
	v_add_nc_u32_e32 v9, v9, v8
	v_mov_b32_e32 v11, v10
	ds_write_b64 v9, v[10:11] offset:6336
                                        ; implicit-def: $vgpr9
.LBB42_26:
	s_andn2_saveexec_b32 s3, s2
	s_cbranch_execz .LBB42_28
; %bb.27:
	s_mul_i32 s22, s20, 24
	v_add_nc_u32_e32 v9, v9, v8
	s_ashr_i32 s23, s22, 31
	s_lshl_b64 s[22:23], s[22:23], 3
	v_add_co_u32 v10, s2, v5, s22
	v_add_co_ci_u32_e64 v11, null, s23, v6, s2
	flat_load_dwordx2 v[10:11], v[10:11]
	s_waitcnt vmcnt(0) lgkmcnt(0)
	ds_write_b64 v9, v[10:11] offset:6336
.LBB42_28:
	s_or_b32 exec_lo, exec_lo, s3
	v_add_co_u32 v5, s2, v5, v8
	v_add_co_ci_u32_e64 v6, null, 0, v6, s2
	v_sub_co_u32 v5, s2, v5, s4
	v_subrev_co_ci_u32_e64 v6, null, s5, v6, s2
	v_add_co_u32 v5, s2, v5, 8
	v_add_co_ci_u32_e64 v6, null, 0, v6, s2
	v_cndmask_b32_e32 v3, v5, v3, vcc_lo
	v_cndmask_b32_e32 v4, v6, v4, vcc_lo
.LBB42_29:
	v_lshlrev_b32_e32 v5, 2, v7
	v_mul_u32_u24_e32 v6, 0x108, v1
	s_mov_b32 s2, 0
	s_waitcnt lgkmcnt(0)
	s_barrier
	v_cmp_ge_u32_e64 s3, v5, v1
	buffer_gl0_inv
                                        ; implicit-def: $vgpr10
	s_and_saveexec_b32 s4, s3
	s_xor_b32 s4, exec_lo, s4
	s_cbranch_execz .LBB42_33
; %bb.30:
	s_mov_b32 s5, exec_lo
                                        ; implicit-def: $vgpr10
	v_cmpx_eq_u32_e64 v5, v1
	s_xor_b32 s5, exec_lo, s5
; %bb.31:
	v_add_nc_u32_e32 v10, v8, v6
	s_mov_b32 s2, exec_lo
; %bb.32:
	s_or_b32 exec_lo, exec_lo, s5
	s_and_b32 s2, s2, exec_lo
.LBB42_33:
	s_or_saveexec_b32 s4, s4
	v_lshl_or_b32 v9, v1, 8, v8
	v_mov_b32_e32 v11, 0
	v_mad_u32_u24 v13, 0x420, v7, v8
	s_xor_b32 exec_lo, exec_lo, s4
	s_cbranch_execz .LBB42_35
; %bb.34:
	ds_read_b64 v[14:15], v13
	v_lshl_add_u32 v10, v5, 3, v9
	s_or_b32 s2, s2, exec_lo
	s_waitcnt lgkmcnt(0)
	v_xor_b32_e32 v11, 0x80000000, v15
	ds_write_b32 v10, v14
.LBB42_35:
	s_or_b32 exec_lo, exec_lo, s4
	s_and_saveexec_b32 s4, s2
; %bb.36:
	ds_write_b32 v10, v11 offset:4
; %bb.37:
	s_or_b32 exec_lo, exec_lo, s4
	v_or_b32_e32 v10, 1, v5
	s_mov_b32 s2, 0
                                        ; implicit-def: $vgpr11
	v_cmp_ge_u32_e64 s4, v10, v1
	s_and_saveexec_b32 s5, s4
	s_xor_b32 s5, exec_lo, s5
	s_cbranch_execz .LBB42_41
; %bb.38:
	s_mov_b32 s7, exec_lo
                                        ; implicit-def: $vgpr11
	v_cmpx_eq_u32_e64 v10, v1
; %bb.39:
	v_add_nc_u32_e32 v11, v8, v6
	s_mov_b32 s2, exec_lo
; %bb.40:
	s_or_b32 exec_lo, exec_lo, s7
	s_and_b32 s2, s2, exec_lo
.LBB42_41:
	s_or_saveexec_b32 s5, s5
	v_mov_b32_e32 v12, 0
	v_mad_u32_u24 v14, 0x108, v10, v8
	s_xor_b32 exec_lo, exec_lo, s5
	s_cbranch_execz .LBB42_43
; %bb.42:
	ds_read_b64 v[15:16], v14
	v_lshl_add_u32 v17, v5, 3, v9
	s_or_b32 s2, s2, exec_lo
	v_add_nc_u32_e32 v11, 8, v17
	s_waitcnt lgkmcnt(0)
	v_xor_b32_e32 v12, 0x80000000, v16
	ds_write_b32 v17, v15 offset:8
.LBB42_43:
	s_or_b32 exec_lo, exec_lo, s5
	s_and_saveexec_b32 s5, s2
; %bb.44:
	ds_write_b32 v11, v12 offset:4
; %bb.45:
	s_or_b32 exec_lo, exec_lo, s5
	v_or_b32_e32 v11, 2, v5
	s_mov_b32 s2, 0
                                        ; implicit-def: $vgpr12
	v_cmp_ge_u32_e64 s5, v11, v1
	s_and_saveexec_b32 s7, s5
	s_xor_b32 s7, exec_lo, s7
	s_cbranch_execnz .LBB42_103
; %bb.46:
	s_or_saveexec_b32 s7, s7
	v_mov_b32_e32 v15, 0
	s_xor_b32 exec_lo, exec_lo, s7
	s_cbranch_execnz .LBB42_106
.LBB42_47:
	s_or_b32 exec_lo, exec_lo, s7
	s_and_saveexec_b32 s7, s2
.LBB42_48:
	ds_write_b32 v12, v15 offset:4
.LBB42_49:
	s_or_b32 exec_lo, exec_lo, s7
	v_or_b32_e32 v12, 3, v5
	s_mov_b32 s2, 0
                                        ; implicit-def: $vgpr15
	v_cmp_ge_u32_e64 s7, v12, v1
	s_and_saveexec_b32 s9, s7
	s_xor_b32 s9, exec_lo, s9
	s_cbranch_execnz .LBB42_107
; %bb.50:
	s_or_saveexec_b32 s9, s9
	v_mov_b32_e32 v16, 0
	s_xor_b32 exec_lo, exec_lo, s9
	s_cbranch_execnz .LBB42_110
.LBB42_51:
	s_or_b32 exec_lo, exec_lo, s9
	s_and_saveexec_b32 s9, s2
.LBB42_52:
	ds_write_b32 v15, v16 offset:4
.LBB42_53:
	s_or_b32 exec_lo, exec_lo, s9
	v_lshlrev_b32_e32 v9, 3, v5
	s_waitcnt lgkmcnt(0)
	s_barrier
	buffer_gl0_inv
	ds_read_b64 v[23:24], v13
	ds_read_b128 v[15:18], v9 offset:9088
	ds_read2_b64 v[26:29], v14 offset1:33
	ds_read_b128 v[30:33], v9 offset:9104
	ds_read_b64 v[13:14], v14 offset:528
	v_mul_u32_u24_e32 v34, 33, v1
	v_cmp_gt_u32_e64 s2, 32, v25
	s_waitcnt lgkmcnt(0)
	s_barrier
	buffer_gl0_inv
	v_mul_f32_e32 v36, v16, v24
	v_mul_f32_e32 v24, v15, v24
	;; [unrolled: 1-line block ×5, first 2 shown]
	v_fma_f32 v15, v15, v23, -v36
	v_fmac_f32_e32 v24, v16, v23
	v_mul_f32_e32 v29, v30, v29
	v_fma_f32 v17, v17, v26, -v37
	v_fmac_f32_e32 v27, v18, v26
	v_add_f32_e32 v15, 0, v15
	v_add_f32_e32 v18, 0, v24
	v_mul_f32_e32 v16, v33, v14
	v_mul_f32_e32 v14, v32, v14
	v_fma_f32 v23, v30, v28, -v38
	v_fmac_f32_e32 v29, v31, v28
	v_add_f32_e32 v15, v15, v17
	v_add_f32_e32 v17, v18, v27
	v_lshlrev_b32_e32 v26, 3, v34
	v_fma_f32 v16, v32, v13, -v16
	v_fmac_f32_e32 v14, v33, v13
	v_add_f32_e32 v13, v15, v23
	v_add_f32_e32 v15, v17, v29
	v_mov_b32_e32 v36, 0
	v_lshl_add_u32 v27, v7, 3, v26
	v_mov_b32_e32 v37, 0
	v_add_f32_e32 v13, v13, v16
	v_add_f32_e32 v14, v15, v14
	ds_write_b64 v27, v[13:14]
	s_waitcnt lgkmcnt(0)
	s_barrier
	buffer_gl0_inv
	s_and_saveexec_b32 s9, s2
	s_cbranch_execz .LBB42_55
; %bb.54:
	ds_read2_b64 v[13:16], v26 offset1:7
	ds_read2_b64 v[28:31], v26 offset0:1 offset1:2
	ds_read2_b64 v[36:39], v26 offset0:3 offset1:4
	;; [unrolled: 1-line block ×3, first 2 shown]
	s_waitcnt lgkmcnt(2)
	v_add_f32_e32 v13, v28, v13
	v_add_f32_e32 v14, v29, v14
	v_add_f32_e32 v13, v30, v13
	v_add_f32_e32 v14, v31, v14
	s_waitcnt lgkmcnt(1)
	v_add_f32_e32 v13, v13, v36
	v_add_f32_e32 v14, v14, v37
	v_add_f32_e32 v13, v13, v38
	v_add_f32_e32 v14, v14, v39
	;; [unrolled: 5-line block ×3, first 2 shown]
	v_add_f32_e32 v36, v13, v15
	v_add_f32_e32 v37, v14, v16
.LBB42_55:
	s_or_b32 exec_lo, exec_lo, s9
	s_lshl_b32 s22, s20, 5
	v_cndmask_b32_e64 v13, 0, 1, s8
	s_ashr_i32 s23, s22, 31
	s_lshl_b64 s[22:23], s[22:23], 3
	s_barrier
	v_add_co_u32 v3, vcc_lo, v3, s22
	v_add_co_ci_u32_e64 v4, null, s23, v4, vcc_lo
	buffer_gl0_inv
	v_add_co_u32 v14, vcc_lo, 0x100, v3
	v_add_co_ci_u32_e64 v15, null, 0, v4, vcc_lo
	s_andn2_b32 vcc_lo, exec_lo, s8
	s_mov_b32 s8, -1
	s_cbranch_vccnz .LBB42_57
; %bb.56:
	s_lshl_b32 s8, s20, 3
	s_ashr_i32 s21, s20, 31
	s_ashr_i32 s9, s8, 31
	v_mad_u32_u24 v18, 0x108, v7, v8
	s_lshl_b64 s[8:9], s[8:9], 3
	v_add_co_u32 v16, vcc_lo, v3, s8
	v_add_co_ci_u32_e64 v17, null, s9, v4, vcc_lo
	s_lshl_b64 s[8:9], s[20:21], 6
	v_add_co_u32 v23, vcc_lo, v16, s8
	v_add_co_ci_u32_e64 v24, null, s9, v17, vcc_lo
	v_add_co_u32 v28, vcc_lo, v23, s8
	v_add_co_ci_u32_e64 v29, null, s9, v24, vcc_lo
	s_clause 0x3
	flat_load_dwordx2 v[30:31], v[3:4] offset:256
	flat_load_dwordx2 v[16:17], v[16:17] offset:256
	;; [unrolled: 1-line block ×4, first 2 shown]
	s_mov_b32 s8, 0
	s_waitcnt vmcnt(3) lgkmcnt(3)
	ds_write_b64 v18, v[30:31]
	s_waitcnt vmcnt(2) lgkmcnt(3)
	ds_write_b64 v18, v[16:17] offset:2112
	s_waitcnt vmcnt(1) lgkmcnt(3)
	ds_write_b64 v18, v[23:24] offset:4224
	s_waitcnt vmcnt(0) lgkmcnt(3)
	ds_write_b64 v18, v[28:29] offset:6336
.LBB42_57:
	s_andn2_b32 vcc_lo, exec_lo, s8
	s_cbranch_vccnz .LBB42_75
; %bb.58:
	v_sub_co_u32 v3, vcc_lo, v3, v8
	s_ashr_i32 s19, s18, 31
	v_subrev_co_ci_u32_e64 v4, null, 0, v4, vcc_lo
	s_lshl_b64 s[24:25], s[18:19], 3
	v_or_b32_e32 v16, 32, v1
	v_add_co_u32 v3, vcc_lo, v3, s24
	v_add_co_ci_u32_e64 v4, null, s25, v4, vcc_lo
	s_sub_i32 s9, s18, 32
	v_add_co_u32 v3, vcc_lo, v3, -8
	v_add_co_ci_u32_e64 v4, null, -1, v4, vcc_lo
	v_cmp_gt_i32_e32 vcc_lo, s18, v16
	v_cmp_le_i32_e64 s8, s9, v7
	v_mul_u32_u24_e32 v16, 0x108, v7
	v_cndmask_b32_e32 v4, v4, v15, vcc_lo
	v_cndmask_b32_e32 v3, v3, v14, vcc_lo
	s_and_saveexec_b32 s19, s8
	s_xor_b32 s8, exec_lo, s19
	s_cbranch_execz .LBB42_60
; %bb.59:
	v_mov_b32_e32 v17, 0
	v_add_nc_u32_e32 v23, v8, v16
	v_mov_b32_e32 v18, v17
	ds_write_b64 v23, v[17:18]
.LBB42_60:
	s_andn2_saveexec_b32 s8, s8
	s_cbranch_execz .LBB42_62
; %bb.61:
	flat_load_dwordx2 v[17:18], v[3:4]
	v_add_nc_u32_e32 v23, v8, v16
	s_waitcnt vmcnt(0) lgkmcnt(0)
	ds_write_b64 v23, v[17:18]
.LBB42_62:
	s_or_b32 exec_lo, exec_lo, s8
	v_add_nc_u32_e32 v17, 8, v7
	v_cmp_le_i32_e64 s8, s9, v17
	s_and_saveexec_b32 s19, s8
	s_xor_b32 s8, exec_lo, s19
	s_cbranch_execz .LBB42_64
; %bb.63:
	v_mov_b32_e32 v17, 0
	v_add_nc_u32_e32 v23, v16, v8
	v_mov_b32_e32 v18, v17
	ds_write_b64 v23, v[17:18] offset:2112
.LBB42_64:
	s_andn2_saveexec_b32 s19, s8
	s_cbranch_execz .LBB42_66
; %bb.65:
	s_lshl_b32 s30, s20, 3
	v_add_nc_u32_e32 v23, v16, v8
	s_ashr_i32 s31, s30, 31
	s_lshl_b64 s[30:31], s[30:31], 3
	v_add_co_u32 v17, s8, v3, s30
	v_add_co_ci_u32_e64 v18, null, s31, v4, s8
	flat_load_dwordx2 v[17:18], v[17:18]
	s_waitcnt vmcnt(0) lgkmcnt(0)
	ds_write_b64 v23, v[17:18] offset:2112
.LBB42_66:
	s_or_b32 exec_lo, exec_lo, s19
	v_add_nc_u32_e32 v17, 16, v7
	v_cmp_le_i32_e64 s8, s9, v17
	s_and_saveexec_b32 s19, s8
	s_xor_b32 s8, exec_lo, s19
	s_cbranch_execz .LBB42_68
; %bb.67:
	v_mov_b32_e32 v17, 0
	v_add_nc_u32_e32 v23, v16, v8
	v_mov_b32_e32 v18, v17
	ds_write_b64 v23, v[17:18] offset:4224
.LBB42_68:
	s_andn2_saveexec_b32 s19, s8
	s_cbranch_execz .LBB42_70
; %bb.69:
	s_lshl_b32 s30, s20, 4
	v_add_nc_u32_e32 v23, v16, v8
	s_ashr_i32 s31, s30, 31
	s_lshl_b64 s[30:31], s[30:31], 3
	v_add_co_u32 v17, s8, v3, s30
	v_add_co_ci_u32_e64 v18, null, s31, v4, s8
	flat_load_dwordx2 v[17:18], v[17:18]
	s_waitcnt vmcnt(0) lgkmcnt(0)
	ds_write_b64 v23, v[17:18] offset:4224
.LBB42_70:
	s_or_b32 exec_lo, exec_lo, s19
	v_add_nc_u32_e32 v17, 24, v7
	v_cmp_le_i32_e64 s8, s9, v17
	s_and_saveexec_b32 s9, s8
	s_xor_b32 s8, exec_lo, s9
	s_cbranch_execz .LBB42_72
; %bb.71:
	v_mov_b32_e32 v17, 0
	v_add_nc_u32_e32 v16, v16, v8
	v_mov_b32_e32 v18, v17
	ds_write_b64 v16, v[17:18] offset:6336
                                        ; implicit-def: $vgpr16
.LBB42_72:
	s_andn2_saveexec_b32 s9, s8
	s_cbranch_execz .LBB42_74
; %bb.73:
	s_mul_i32 s30, s20, 24
	v_add_nc_u32_e32 v16, v16, v8
	s_ashr_i32 s31, s30, 31
	s_lshl_b64 s[30:31], s[30:31], 3
	v_add_co_u32 v17, s8, v3, s30
	v_add_co_ci_u32_e64 v18, null, s31, v4, s8
	flat_load_dwordx2 v[17:18], v[17:18]
	s_waitcnt vmcnt(0) lgkmcnt(0)
	ds_write_b64 v16, v[17:18] offset:6336
.LBB42_74:
	s_or_b32 exec_lo, exec_lo, s9
	v_add_co_u32 v3, s8, v3, v8
	v_add_co_ci_u32_e64 v4, null, 0, v4, s8
	v_sub_co_u32 v3, s8, v3, s24
	v_subrev_co_ci_u32_e64 v4, null, s25, v4, s8
	v_add_co_u32 v3, s8, 0x108, v3
	v_add_co_ci_u32_e64 v4, null, 0, v4, s8
	v_cndmask_b32_e32 v14, v3, v14, vcc_lo
	v_cndmask_b32_e32 v15, v4, v15, vcc_lo
.LBB42_75:
	v_mul_u32_u24_e32 v3, 0x420, v7
	v_add_nc_u32_e32 v9, 0x2380, v9
	v_mul_u32_u24_e32 v4, 0x108, v10
	s_mov_b32 s8, 0
	s_waitcnt lgkmcnt(0)
	s_barrier
	buffer_gl0_inv
                                        ; implicit-def: $vgpr16
	s_and_saveexec_b32 s9, s3
	s_xor_b32 s3, exec_lo, s9
	s_cbranch_execz .LBB42_79
; %bb.76:
	s_mov_b32 s9, exec_lo
                                        ; implicit-def: $vgpr16
	v_cmpx_eq_u32_e64 v5, v1
	s_xor_b32 s9, exec_lo, s9
; %bb.77:
	s_mov_b32 s8, exec_lo
	v_add_nc_u32_e32 v16, v8, v6
; %bb.78:
	s_or_b32 exec_lo, exec_lo, s9
	s_and_b32 s8, s8, exec_lo
.LBB42_79:
	s_or_saveexec_b32 s3, s3
	v_mov_b32_e32 v17, 0
	v_add_nc_u32_e32 v3, v8, v3
	s_xor_b32 exec_lo, exec_lo, s3
	s_cbranch_execz .LBB42_81
; %bb.80:
	ds_read_b64 v[23:24], v3
	v_lshl_add_u32 v16, v5, 3, v26
	s_or_b32 s8, s8, exec_lo
	s_waitcnt lgkmcnt(0)
	v_xor_b32_e32 v17, 0x80000000, v24
	ds_write_b32 v16, v23
.LBB42_81:
	s_or_b32 exec_lo, exec_lo, s3
	s_and_saveexec_b32 s3, s8
; %bb.82:
	ds_write_b32 v16, v17 offset:4
; %bb.83:
	s_or_b32 exec_lo, exec_lo, s3
	s_mov_b32 s3, 0
                                        ; implicit-def: $vgpr16
	s_and_saveexec_b32 s8, s4
	s_xor_b32 s4, exec_lo, s8
	s_cbranch_execz .LBB42_87
; %bb.84:
	s_mov_b32 s8, exec_lo
                                        ; implicit-def: $vgpr16
	v_cmpx_eq_u32_e64 v10, v1
; %bb.85:
	v_add_nc_u32_e32 v16, v8, v6
	s_mov_b32 s3, exec_lo
; %bb.86:
	s_or_b32 exec_lo, exec_lo, s8
	s_and_b32 s3, s3, exec_lo
.LBB42_87:
	s_or_saveexec_b32 s4, s4
	v_mov_b32_e32 v10, 0
	v_add_nc_u32_e32 v4, v8, v4
	s_xor_b32 exec_lo, exec_lo, s4
	s_cbranch_execz .LBB42_89
; %bb.88:
	ds_read_b64 v[17:18], v4
	v_lshl_add_u32 v23, v5, 3, v26
	s_or_b32 s3, s3, exec_lo
	v_add_nc_u32_e32 v16, 8, v23
	s_waitcnt lgkmcnt(0)
	v_xor_b32_e32 v10, 0x80000000, v18
	ds_write_b32 v23, v17 offset:8
.LBB42_89:
	s_or_b32 exec_lo, exec_lo, s4
	s_and_saveexec_b32 s4, s3
; %bb.90:
	ds_write_b32 v16, v10 offset:4
; %bb.91:
	s_or_b32 exec_lo, exec_lo, s4
	s_mov_b32 s3, 0
                                        ; implicit-def: $vgpr10
	s_and_saveexec_b32 s4, s5
	s_xor_b32 s4, exec_lo, s4
	s_cbranch_execnz .LBB42_111
; %bb.92:
	s_or_saveexec_b32 s4, s4
	v_mov_b32_e32 v11, 0
	s_xor_b32 exec_lo, exec_lo, s4
	s_cbranch_execnz .LBB42_114
.LBB42_93:
	s_or_b32 exec_lo, exec_lo, s4
	s_and_saveexec_b32 s4, s3
.LBB42_94:
	ds_write_b32 v10, v11 offset:4
.LBB42_95:
	s_or_b32 exec_lo, exec_lo, s4
	s_mov_b32 s3, 0
                                        ; implicit-def: $vgpr10
	s_and_saveexec_b32 s4, s7
	s_xor_b32 s4, exec_lo, s4
	s_cbranch_execnz .LBB42_115
; %bb.96:
	s_or_saveexec_b32 s4, s4
	v_mov_b32_e32 v6, 0
	s_xor_b32 exec_lo, exec_lo, s4
	s_cbranch_execnz .LBB42_118
.LBB42_97:
	s_or_b32 exec_lo, exec_lo, s4
	s_and_saveexec_b32 s4, s3
.LBB42_98:
	ds_write_b32 v10, v6 offset:4
.LBB42_99:
	s_or_b32 exec_lo, exec_lo, s4
	s_waitcnt lgkmcnt(0)
	s_barrier
	buffer_gl0_inv
	ds_read_b64 v[10:11], v3
	ds_read_b128 v[28:31], v9 offset:256
	ds_read2_b64 v[38:41], v4 offset1:33
	ds_read_b128 v[42:45], v9 offset:272
	ds_read_b64 v[3:4], v4 offset:528
	v_cmp_eq_u32_e64 s3, 1, v7
	s_waitcnt lgkmcnt(0)
	s_barrier
	buffer_gl0_inv
	v_mul_f32_e32 v6, v29, v11
	v_mul_f32_e32 v11, v28, v11
	;; [unrolled: 1-line block ×5, first 2 shown]
	v_fma_f32 v6, v28, v10, -v6
	v_fmac_f32_e32 v11, v29, v10
	v_mul_f32_e32 v18, v42, v41
	v_fma_f32 v12, v30, v38, -v12
	v_fmac_f32_e32 v16, v31, v38
	v_add_f32_e32 v6, 0, v6
	v_add_f32_e32 v11, 0, v11
	v_mul_f32_e32 v10, v45, v4
	v_mul_f32_e32 v4, v44, v4
	v_fma_f32 v17, v42, v40, -v17
	v_fmac_f32_e32 v18, v43, v40
	v_add_f32_e32 v6, v6, v12
	v_add_f32_e32 v11, v11, v16
	v_fma_f32 v10, v44, v3, -v10
	v_fmac_f32_e32 v4, v45, v3
	v_add_f32_e32 v3, v6, v17
	v_add_f32_e32 v6, v11, v18
	;; [unrolled: 1-line block ×4, first 2 shown]
	ds_write_b64 v27, v[3:4]
	s_waitcnt lgkmcnt(0)
	s_barrier
	buffer_gl0_inv
	s_and_saveexec_b32 s4, s3
	s_cbranch_execz .LBB42_101
; %bb.100:
	ds_read2_b64 v[28:31], v26 offset1:7
	ds_read2_b64 v[36:39], v26 offset0:1 offset1:2
	ds_read2_b64 v[40:43], v26 offset0:3 offset1:4
	;; [unrolled: 1-line block ×3, first 2 shown]
	s_waitcnt lgkmcnt(2)
	v_add_f32_e32 v3, v36, v28
	v_add_f32_e32 v4, v37, v29
	v_add_f32_e32 v3, v38, v3
	v_add_f32_e32 v4, v39, v4
	s_waitcnt lgkmcnt(1)
	v_add_f32_e32 v3, v3, v40
	v_add_f32_e32 v4, v4, v41
	v_add_f32_e32 v3, v3, v42
	v_add_f32_e32 v4, v4, v43
	;; [unrolled: 5-line block ×3, first 2 shown]
	v_add_f32_e32 v36, v3, v30
	v_add_f32_e32 v37, v4, v31
.LBB42_101:
	s_or_b32 exec_lo, exec_lo, s4
	v_cmp_ne_u32_e32 vcc_lo, 1, v13
	v_sub_co_u32 v23, s4, v14, s22
	v_subrev_co_ci_u32_e64 v24, null, s23, v15, s4
	s_barrier
	buffer_gl0_inv
	s_cbranch_vccnz .LBB42_119
; %bb.102:
	s_lshl_b32 s4, s20, 3
	s_ashr_i32 s21, s20, 31
	s_ashr_i32 s5, s4, 31
	flat_load_dwordx2 v[10:11], v[23:24]
	s_lshl_b64 s[4:5], s[4:5], 3
	v_mul_u32_u24_e32 v6, 0x108, v7
	v_add_co_u32 v3, vcc_lo, v23, s4
	v_add_co_ci_u32_e64 v4, null, s5, v24, vcc_lo
	s_lshl_b64 s[4:5], s[20:21], 6
	v_add_co_u32 v12, vcc_lo, v3, s4
	v_add_co_ci_u32_e64 v13, null, s5, v4, vcc_lo
	v_add_co_u32 v14, vcc_lo, v12, s4
	v_add_co_ci_u32_e64 v15, null, s5, v13, vcc_lo
	s_clause 0x2
	flat_load_dwordx2 v[16:17], v[3:4]
	flat_load_dwordx2 v[28:29], v[12:13]
	;; [unrolled: 1-line block ×3, first 2 shown]
	s_movk_i32 s4, 0x840
	s_movk_i32 s5, 0x1080
	v_mad_u32_u24 v4, 0x108, v7, s4
	s_movk_i32 s4, 0x18c0
	v_mad_u32_u24 v12, 0x108, v7, v8
	v_mad_u32_u24 v13, 0x108, v7, s4
	v_mad_u32_u24 v3, 0x108, v7, s5
	v_add_nc_u32_e32 v18, v8, v4
	v_add_nc_u32_e32 v31, v8, v13
	;; [unrolled: 1-line block ×3, first 2 shown]
	s_waitcnt vmcnt(3) lgkmcnt(3)
	ds_write_b64 v12, v[10:11]
	v_add_nc_u32_e32 v10, 8, v7
	v_add_nc_u32_e32 v11, 16, v7
	;; [unrolled: 1-line block ×3, first 2 shown]
	s_waitcnt vmcnt(2) lgkmcnt(3)
	ds_write_b64 v18, v[16:17]
	s_waitcnt vmcnt(1) lgkmcnt(3)
	ds_write_b64 v30, v[28:29]
	;; [unrolled: 2-line block ×3, first 2 shown]
	s_cbranch_execz .LBB42_120
	s_branch .LBB42_137
.LBB42_103:
	s_mov_b32 s9, exec_lo
                                        ; implicit-def: $vgpr12
	v_cmpx_eq_u32_e64 v11, v1
; %bb.104:
	v_add_nc_u32_e32 v12, v8, v6
	s_mov_b32 s2, exec_lo
; %bb.105:
	s_or_b32 exec_lo, exec_lo, s9
	s_and_b32 s2, s2, exec_lo
	s_or_saveexec_b32 s7, s7
	v_mov_b32_e32 v15, 0
	s_xor_b32 exec_lo, exec_lo, s7
	s_cbranch_execz .LBB42_47
.LBB42_106:
	v_mad_u32_u24 v12, 0x108, v11, v8
	v_lshl_add_u32 v18, v5, 3, v9
	s_or_b32 s2, s2, exec_lo
	ds_read_b64 v[16:17], v12
	v_add_nc_u32_e32 v12, 16, v18
	s_waitcnt lgkmcnt(0)
	v_xor_b32_e32 v15, 0x80000000, v17
	ds_write_b32 v18, v16 offset:16
	s_or_b32 exec_lo, exec_lo, s7
	s_and_saveexec_b32 s7, s2
	s_cbranch_execnz .LBB42_48
	s_branch .LBB42_49
.LBB42_107:
	s_mov_b32 s19, exec_lo
                                        ; implicit-def: $vgpr15
	v_cmpx_eq_u32_e64 v12, v1
; %bb.108:
	v_add_nc_u32_e32 v15, v8, v6
	s_mov_b32 s2, exec_lo
; %bb.109:
	s_or_b32 exec_lo, exec_lo, s19
	s_and_b32 s2, s2, exec_lo
                                        ; implicit-def: $vgpr9
	s_or_saveexec_b32 s9, s9
	v_mov_b32_e32 v16, 0
	s_xor_b32 exec_lo, exec_lo, s9
	s_cbranch_execz .LBB42_51
.LBB42_110:
	v_mad_u32_u24 v15, 0x108, v12, v8
	v_lshl_add_u32 v9, v5, 3, v9
	s_or_b32 s2, s2, exec_lo
	ds_read_b64 v[17:18], v15
	v_add_nc_u32_e32 v15, 24, v9
	s_waitcnt lgkmcnt(0)
	v_xor_b32_e32 v16, 0x80000000, v18
	ds_write_b32 v9, v17 offset:24
	s_or_b32 exec_lo, exec_lo, s9
	s_and_saveexec_b32 s9, s2
	s_cbranch_execnz .LBB42_52
	s_branch .LBB42_53
.LBB42_111:
	s_mov_b32 s5, exec_lo
                                        ; implicit-def: $vgpr10
	v_cmpx_eq_u32_e64 v11, v1
; %bb.112:
	v_add_nc_u32_e32 v10, v8, v6
	s_mov_b32 s3, exec_lo
; %bb.113:
	s_or_b32 exec_lo, exec_lo, s5
	s_and_b32 s3, s3, exec_lo
	s_or_saveexec_b32 s4, s4
	v_mov_b32_e32 v11, 0
	s_xor_b32 exec_lo, exec_lo, s4
	s_cbranch_execz .LBB42_93
.LBB42_114:
	ds_read_b64 v[16:17], v4 offset:264
	v_lshl_add_u32 v18, v5, 3, v26
	s_or_b32 s3, s3, exec_lo
	v_add_nc_u32_e32 v10, 16, v18
	s_waitcnt lgkmcnt(0)
	v_xor_b32_e32 v11, 0x80000000, v17
	ds_write_b32 v18, v16 offset:16
	s_or_b32 exec_lo, exec_lo, s4
	s_and_saveexec_b32 s4, s3
	s_cbranch_execnz .LBB42_94
	s_branch .LBB42_95
.LBB42_115:
	s_mov_b32 s5, exec_lo
                                        ; implicit-def: $vgpr10
	v_cmpx_eq_u32_e64 v12, v1
; %bb.116:
	v_add_nc_u32_e32 v10, v8, v6
	s_mov_b32 s3, exec_lo
; %bb.117:
	s_or_b32 exec_lo, exec_lo, s5
	s_and_b32 s3, s3, exec_lo
	s_or_saveexec_b32 s4, s4
	v_mov_b32_e32 v6, 0
	s_xor_b32 exec_lo, exec_lo, s4
	s_cbranch_execz .LBB42_97
.LBB42_118:
	ds_read_b64 v[11:12], v4 offset:528
	v_lshl_add_u32 v16, v5, 3, v26
	s_or_b32 s3, s3, exec_lo
	v_add_nc_u32_e32 v10, 24, v16
	s_waitcnt lgkmcnt(0)
	v_xor_b32_e32 v6, 0x80000000, v12
	ds_write_b32 v16, v11 offset:24
	s_or_b32 exec_lo, exec_lo, s4
	s_and_saveexec_b32 s4, s3
	s_cbranch_execnz .LBB42_98
	s_branch .LBB42_99
.LBB42_119:
                                        ; implicit-def: $vgpr6
                                        ; implicit-def: $vgpr10
                                        ; implicit-def: $vgpr4
                                        ; implicit-def: $vgpr11
                                        ; implicit-def: $vgpr3
                                        ; implicit-def: $vgpr12
                                        ; implicit-def: $vgpr13
.LBB42_120:
	v_or_b32_e32 v1, 32, v1
	s_ashr_i32 s19, s18, 31
	v_cmp_le_i32_e64 s4, s18, v7
	s_lshl_b64 s[8:9], s[18:19], 3
	v_mul_u32_u24_e32 v6, 0x108, v7
	v_lshlrev_b32_e32 v3, 3, v1
	v_sub_co_u32 v3, vcc_lo, v23, v3
	v_subrev_co_ci_u32_e64 v4, null, 0, v24, vcc_lo
	v_add_co_u32 v3, vcc_lo, v3, s8
	v_add_co_ci_u32_e64 v4, null, s9, v4, vcc_lo
	v_add_co_u32 v3, vcc_lo, v3, -8
	v_add_co_ci_u32_e64 v4, null, -1, v4, vcc_lo
	v_cmp_gt_i32_e32 vcc_lo, s18, v1
	v_cndmask_b32_e32 v4, v4, v24, vcc_lo
	v_cndmask_b32_e32 v3, v3, v23, vcc_lo
	s_and_saveexec_b32 s5, s4
	s_xor_b32 s4, exec_lo, s5
	s_cbranch_execz .LBB42_122
; %bb.121:
	v_mov_b32_e32 v10, 0
	v_add_nc_u32_e32 v1, v8, v6
	v_mov_b32_e32 v11, v10
	ds_write_b64 v1, v[10:11]
.LBB42_122:
	s_andn2_saveexec_b32 s4, s4
	s_cbranch_execz .LBB42_124
; %bb.123:
	flat_load_dwordx2 v[10:11], v[3:4]
	v_add_nc_u32_e32 v1, v8, v6
	s_waitcnt vmcnt(0) lgkmcnt(0)
	ds_write_b64 v1, v[10:11]
.LBB42_124:
	s_or_b32 exec_lo, exec_lo, s4
	v_add_nc_u32_e32 v10, 8, v7
	v_cmp_le_i32_e64 s4, s18, v10
	s_and_saveexec_b32 s5, s4
	s_xor_b32 s4, exec_lo, s5
	s_cbranch_execz .LBB42_126
; %bb.125:
	v_mov_b32_e32 v11, 0
	v_add_nc_u32_e32 v1, v6, v8
	v_mov_b32_e32 v12, v11
	ds_write_b64 v1, v[11:12] offset:2112
.LBB42_126:
	s_andn2_saveexec_b32 s5, s4
	s_cbranch_execz .LBB42_128
; %bb.127:
	s_lshl_b32 s22, s20, 3
	v_add_nc_u32_e32 v1, v6, v8
	s_ashr_i32 s23, s22, 31
	s_lshl_b64 s[22:23], s[22:23], 3
	v_add_co_u32 v11, s4, v3, s22
	v_add_co_ci_u32_e64 v12, null, s23, v4, s4
	flat_load_dwordx2 v[11:12], v[11:12]
	s_waitcnt vmcnt(0) lgkmcnt(0)
	ds_write_b64 v1, v[11:12] offset:2112
.LBB42_128:
	s_or_b32 exec_lo, exec_lo, s5
	v_add_nc_u32_e32 v11, 16, v7
	v_cmp_le_i32_e64 s4, s18, v11
	s_and_saveexec_b32 s5, s4
	s_xor_b32 s4, exec_lo, s5
	s_cbranch_execz .LBB42_130
; %bb.129:
	v_mov_b32_e32 v12, 0
	v_add_nc_u32_e32 v1, v6, v8
	v_mov_b32_e32 v13, v12
	ds_write_b64 v1, v[12:13] offset:4224
.LBB42_130:
	s_andn2_saveexec_b32 s5, s4
	s_cbranch_execz .LBB42_132
; %bb.131:
	s_lshl_b32 s22, s20, 4
	v_add_nc_u32_e32 v1, v6, v8
	s_ashr_i32 s23, s22, 31
	s_lshl_b64 s[22:23], s[22:23], 3
	v_add_co_u32 v12, s4, v3, s22
	v_add_co_ci_u32_e64 v13, null, s23, v4, s4
	flat_load_dwordx2 v[12:13], v[12:13]
	s_waitcnt vmcnt(0) lgkmcnt(0)
	ds_write_b64 v1, v[12:13] offset:4224
.LBB42_132:
	s_or_b32 exec_lo, exec_lo, s5
	v_add_nc_u32_e32 v12, 24, v7
                                        ; implicit-def: $vgpr13
	v_cmp_le_i32_e64 s4, s18, v12
	s_and_saveexec_b32 s5, s4
	s_xor_b32 s4, exec_lo, s5
	s_cbranch_execz .LBB42_134
; %bb.133:
	v_add_nc_u32_e32 v13, 0x18c0, v6
	v_mov_b32_e32 v14, 0
	v_add_nc_u32_e32 v1, v8, v13
	v_mov_b32_e32 v15, v14
	ds_write_b64 v1, v[14:15]
.LBB42_134:
	s_andn2_saveexec_b32 s5, s4
	s_cbranch_execz .LBB42_136
; %bb.135:
	s_mul_i32 s22, s20, 24
	s_ashr_i32 s23, s22, 31
	s_lshl_b64 s[22:23], s[22:23], 3
	v_add_co_u32 v13, s4, v3, s22
	v_add_co_ci_u32_e64 v14, null, s23, v4, s4
	flat_load_dwordx2 v[14:15], v[13:14]
	v_add_nc_u32_e32 v13, 0x18c0, v6
	v_add_nc_u32_e32 v1, v8, v13
	s_waitcnt vmcnt(0) lgkmcnt(0)
	ds_write_b64 v1, v[14:15]
.LBB42_136:
	s_or_b32 exec_lo, exec_lo, s5
	v_add_co_u32 v1, s4, v3, v8
	v_add_co_ci_u32_e64 v3, null, 0, v4, s4
	v_add_nc_u32_e32 v4, 0x840, v6
	v_sub_co_u32 v1, s4, v1, s8
	v_subrev_co_ci_u32_e64 v3, null, s9, v3, s4
	v_add_co_u32 v1, s4, 0x108, v1
	v_add_co_ci_u32_e64 v3, null, 0, v3, s4
	v_cndmask_b32_e32 v23, v1, v23, vcc_lo
	v_cndmask_b32_e32 v24, v3, v24, vcc_lo
	v_add_nc_u32_e32 v3, 0x1080, v6
.LBB42_137:
	v_add_nc_u32_e32 v1, v8, v6
	v_lshlrev_b32_e32 v6, 3, v7
	v_add_nc_u32_e32 v4, v8, v4
	v_lshlrev_b32_e32 v7, 3, v10
	v_add_nc_u32_e32 v3, v8, v3
	s_waitcnt lgkmcnt(0)
	s_barrier
	buffer_gl0_inv
	v_lshlrev_b32_e32 v10, 3, v11
	v_add_nc_u32_e32 v8, v8, v13
	v_lshlrev_b32_e32 v11, 3, v12
	ds_read_b64 v[28:29], v1
	ds_read_b64 v[30:31], v6 offset:9088
	ds_read_b64 v[32:33], v4
	ds_read_b64 v[38:39], v7 offset:9088
	;; [unrolled: 2-line block ×3, first 2 shown]
	ds_read2_b32 v[44:45], v8 offset1:1
	ds_read_b64 v[46:47], v11 offset:9088
	v_lshl_add_u32 v1, v5, 3, v26
	ds_read_b128 v[11:14], v9 offset:256
	ds_read_b128 v[3:6], v9 offset:272
	ds_read2_b64 v[15:18], v1 offset1:1
	ds_read2_b64 v[7:10], v1 offset0:2 offset1:3
	s_waitcnt lgkmcnt(0)
	s_barrier
	buffer_gl0_inv
	v_mul_f32_e32 v1, v31, v29
	v_mul_f32_e32 v29, v30, v29
	v_mul_f32_e32 v34, v39, v33
	v_mul_f32_e32 v33, v38, v33
	v_mul_f32_e32 v48, v43, v41
	v_fma_f32 v1, v30, v28, -v1
	v_fmac_f32_e32 v29, v31, v28
	v_mul_f32_e32 v28, v42, v41
	v_fma_f32 v30, v38, v32, -v34
	v_fmac_f32_e32 v33, v39, v32
	v_add_f32_e32 v1, 0, v1
	v_add_f32_e32 v29, 0, v29
	v_mul_f32_e32 v49, v47, v45
	v_mul_f32_e32 v31, v46, v45
	v_fma_f32 v32, v42, v40, -v48
	v_fmac_f32_e32 v28, v43, v40
	v_add_f32_e32 v1, v1, v30
	v_add_f32_e32 v29, v29, v33
	v_fma_f32 v30, v46, v44, -v49
	v_fmac_f32_e32 v31, v47, v44
	v_add_f32_e32 v1, v1, v32
	v_add_f32_e32 v29, v29, v28
	;; [unrolled: 1-line block ×4, first 2 shown]
	ds_write_b64 v27, v[28:29]
	s_waitcnt lgkmcnt(0)
	s_barrier
	buffer_gl0_inv
	s_and_saveexec_b32 s4, s3
	s_cbranch_execz .LBB42_139
; %bb.138:
	ds_read2_b64 v[28:31], v26 offset1:1
	ds_read2_b64 v[38:41], v26 offset0:2 offset1:3
	ds_read2_b64 v[42:45], v26 offset0:4 offset1:5
	s_waitcnt lgkmcnt(2)
	v_add_f32_e32 v1, v36, v28
	v_add_f32_e32 v28, v37, v29
	;; [unrolled: 1-line block ×4, first 2 shown]
	ds_read2_b64 v[28:31], v26 offset0:6 offset1:7
	s_waitcnt lgkmcnt(2)
	v_add_f32_e32 v1, v1, v38
	v_add_f32_e32 v32, v32, v39
	v_add_f32_e32 v1, v1, v40
	v_add_f32_e32 v32, v32, v41
	s_waitcnt lgkmcnt(1)
	v_add_f32_e32 v1, v1, v42
	v_add_f32_e32 v32, v32, v43
	v_add_f32_e32 v1, v1, v44
	v_add_f32_e32 v32, v32, v45
	;; [unrolled: 5-line block ×3, first 2 shown]
.LBB42_139:
	s_or_b32 exec_lo, exec_lo, s4
	v_mul_f32_e32 v1, v16, v12
	v_mul_f32_e32 v16, v16, v11
	;; [unrolled: 1-line block ×5, first 2 shown]
	v_fmac_f32_e32 v1, v15, v11
	v_fma_f32 v11, v15, v12, -v16
	v_mul_f32_e32 v8, v8, v3
	v_fmac_f32_e32 v28, v17, v13
	v_fma_f32 v13, v17, v14, -v18
	v_add_f32_e32 v1, 0, v1
	v_add_f32_e32 v11, 0, v11
	v_mul_f32_e32 v12, v10, v6
	v_mul_f32_e32 v10, v10, v5
	v_fmac_f32_e32 v29, v7, v3
	v_add_f32_e32 v1, v1, v28
	v_fma_f32 v3, v7, v4, -v8
	v_add_f32_e32 v4, v11, v13
	v_fmac_f32_e32 v12, v9, v5
	v_fma_f32 v5, v9, v6, -v10
	v_add_f32_e32 v1, v1, v29
	v_add_f32_e32 v4, v4, v3
	s_barrier
	buffer_gl0_inv
	v_add_f32_e32 v3, v1, v12
	v_add_f32_e32 v4, v4, v5
	ds_write_b64 v27, v[3:4]
	s_waitcnt lgkmcnt(0)
	s_barrier
	buffer_gl0_inv
	s_and_saveexec_b32 s3, s2
	s_cbranch_execz .LBB42_141
; %bb.140:
	ds_read2_b64 v[3:6], v26 offset1:1
	ds_read2_b64 v[7:10], v26 offset0:2 offset1:3
	ds_read2_b64 v[11:14], v26 offset0:4 offset1:5
	s_waitcnt lgkmcnt(2)
	v_add_f32_e32 v1, v36, v3
	v_add_f32_e32 v3, v37, v4
	v_add_f32_e32 v1, v1, v5
	v_add_f32_e32 v15, v3, v6
	ds_read2_b64 v[3:6], v26 offset0:6 offset1:7
	s_waitcnt lgkmcnt(2)
	v_add_f32_e32 v1, v1, v7
	v_add_f32_e32 v7, v15, v8
	v_add_f32_e32 v1, v1, v9
	v_add_f32_e32 v7, v7, v10
	s_waitcnt lgkmcnt(1)
	v_add_f32_e32 v1, v1, v11
	v_add_f32_e32 v7, v7, v12
	v_add_f32_e32 v1, v1, v13
	v_add_f32_e32 v7, v7, v14
	;; [unrolled: 5-line block ×3, first 2 shown]
.LBB42_141:
	s_or_b32 exec_lo, exec_lo, s3
	s_mul_hi_u32 s2, s26, s16
	s_mul_i32 s28, s28, s16
	s_mul_i32 s3, s26, s16
	s_add_i32 s2, s2, s28
	s_mul_hi_u32 s5, s3, s27
	s_mul_i32 s4, s2, s27
	s_mul_i32 s2, s3, s27
	s_add_i32 s3, s5, s4
	s_mul_i32 s4, s26, s6
	s_lshl_b64 s[2:3], s[2:3], 3
	v_cmp_le_i32_e32 vcc_lo, s18, v0
	s_add_u32 s7, s10, s2
	s_addc_u32 s8, s11, s3
	s_ashr_i32 s5, s4, 31
	v_lshlrev_b32_e32 v72, 3, v0
	s_lshl_b64 s[2:3], s[4:5], 3
	s_add_u32 s7, s7, s2
	s_addc_u32 s10, s8, s3
	s_and_b32 vcc_lo, s13, vcc_lo
	s_cmp_lt_i32 s6, 1
	s_barrier
	buffer_gl0_inv
	s_cbranch_scc1 .LBB42_148
; %bb.142:
	v_mul_lo_u32 v1, v2, s20
	v_sub_co_u32 v7, s2, v23, s14
	v_subrev_co_ci_u32_e64 v8, null, s15, v24, s2
	s_ashr_i32 s19, s18, 31
	v_add_co_u32 v7, s2, 0xffffff00, v7
	v_lshl_add_u32 v3, v1, 2, v0
	v_add_co_ci_u32_e64 v8, null, -1, v8, s2
	v_sub_co_u32 v7, s2, v7, v21
	v_ashrrev_i32_e32 v4, 31, v3
	v_sub_co_ci_u32_e64 v8, null, v8, v22, s2
	v_lshrrev_b32_e32 v5, 4, v25
	v_and_b32_e32 v6, 15, v0
	v_lshlrev_b64 v[3:4], 3, v[3:4]
	s_mul_i32 s4, s17, s12
	v_mov_b32_e32 v1, 0
	s_ashr_i32 s5, s4, 31
	v_add_nc_u32_e32 v75, 0x2180, v72
	s_lshl_b64 s[4:5], s[4:5], 3
	v_add_co_u32 v3, s2, v7, v3
	v_add_co_ci_u32_e64 v4, null, v8, v4, s2
	v_lshl_add_u32 v76, v2, 5, 0x2180
	v_sub_co_u32 v7, s2, v3, v72
	v_subrev_co_ci_u32_e64 v8, null, 0, v4, s2
	s_lshl_b64 s[2:3], s[18:19], 3
	v_add_nc_u32_e32 v77, 0x2380, v72
	v_add_co_u32 v7, s2, v7, s2
	v_add_co_ci_u32_e64 v8, null, s3, v8, s2
	v_mad_u32_u24 v78, 0x860, v2, v72
	v_add_co_u32 v7, s2, v7, -8
	v_add_co_ci_u32_e64 v8, null, -1, v8, s2
	v_sub_co_u32 v73, s2, v19, s4
	v_cndmask_b32_e32 v3, v3, v7, vcc_lo
	v_cndmask_b32_e32 v4, v4, v8, vcc_lo
	v_and_b32_e32 v7, 48, v0
	v_lshlrev_b32_e32 v8, 5, v5
	v_mul_i32_i24_e32 v5, 0xffffffe8, v5
	v_subrev_co_ci_u32_e64 v74, null, s5, v20, s2
	v_lshlrev_b32_e32 v7, 3, v7
	v_mad_u32_u24 v79, 0x218, v6, v8
	v_or_b32_e32 v8, 0x78, v72
	v_cmp_gt_u32_e64 s2, 64, v25
	s_ashr_i32 s21, s20, 31
	v_mad_u32_u24 v80, 0x218, v6, v7
	v_add_nc_u32_e32 v82, v79, v5
	v_mad_u32_u24 v81, 0x218, v6, v8
	s_lshl_b32 s11, s17, 6
	s_lshl_b64 s[4:5], s[20:21], 3
	s_mul_hi_i32 s12, s20, 0x68
	s_mul_i32 s13, s20, 0x68
	s_mov_b32 s8, 0
	s_branch .LBB42_144
.LBB42_143:                             ;   in Loop: Header=BB42_144 Depth=1
	s_or_b32 exec_lo, exec_lo, s9
	v_mul_f32_e32 v83, v39, v4
	v_mul_f32_e32 v4, v38, v4
	;; [unrolled: 1-line block ×5, first 2 shown]
	v_fma_f32 v38, v38, v3, -v83
	v_fmac_f32_e32 v4, v39, v3
	v_fma_f32 v42, v42, v5, -v84
	v_mul_f32_e32 v8, v44, v8
	v_mul_f32_e32 v83, v41, v10
	v_add_f32_e32 v36, v36, v38
	v_fma_f32 v3, v44, v7, -v85
	v_fmac_f32_e32 v6, v43, v5
	v_add_f32_e32 v4, v37, v4
	v_mul_f32_e32 v10, v40, v10
	v_add_f32_e32 v36, v36, v42
	v_mul_f32_e32 v38, v53, v16
	v_fma_f32 v5, v40, v9, -v83
	v_fmac_f32_e32 v8, v45, v7
	v_add_f32_e32 v4, v4, v6
	v_add_f32_e32 v3, v36, v3
	v_mul_f32_e32 v16, v52, v16
	v_mul_f32_e32 v39, v51, v18
	v_fma_f32 v6, v52, v15, -v38
	v_fmac_f32_e32 v10, v41, v9
	v_add_f32_e32 v3, v3, v5
	v_add_f32_e32 v4, v4, v8
	v_mul_f32_e32 v18, v50, v18
	v_mul_f32_e32 v5, v49, v12
	v_fma_f32 v7, v50, v17, -v39
	v_add_f32_e32 v3, v3, v6
	v_fmac_f32_e32 v16, v53, v15
	v_add_f32_e32 v4, v4, v10
	v_mul_f32_e32 v6, v47, v14
	v_fma_f32 v5, v48, v11, -v5
	v_add_f32_e32 v3, v3, v7
	v_mul_f32_e32 v7, v48, v12
	v_fmac_f32_e32 v18, v51, v17
	v_add_f32_e32 v4, v4, v16
	v_fma_f32 v6, v46, v13, -v6
	v_add_f32_e32 v3, v3, v5
	v_mul_f32_e32 v5, v61, v24
	v_fmac_f32_e32 v7, v49, v11
	v_add_f32_e32 v4, v4, v18
	v_mul_f32_e32 v8, v46, v14
	v_add_f32_e32 v3, v3, v6
	v_fma_f32 v5, v60, v23, -v5
	v_mul_f32_e32 v6, v59, v26
	v_add_f32_e32 v4, v4, v7
	v_fmac_f32_e32 v8, v47, v13
	v_mul_f32_e32 v7, v60, v24
	v_add_f32_e32 v3, v3, v5
	v_fma_f32 v5, v58, v25, -v6
	v_mul_f32_e32 v6, v57, v20
	v_add_f32_e32 v4, v4, v8
	v_fmac_f32_e32 v7, v61, v23
	;; [unrolled: 6-line block ×6, first 2 shown]
	v_mul_f32_e32 v8, v65, v28
	v_add_f32_e32 v3, v3, v5
	v_mul_f32_e32 v5, v64, v28
	v_fmac_f32_e32 v6, v69, v33
	v_add_f32_e32 v4, v4, v7
	v_fma_f32 v7, v64, v27, -v8
	v_mul_f32_e32 v8, v67, v30
	v_mul_f32_e32 v9, v66, v30
	v_fmac_f32_e32 v5, v65, v27
	v_add_f32_e32 v4, v4, v6
	v_add_f32_e32 v3, v3, v7
	v_fma_f32 v6, v66, v29, -v8
	v_fmac_f32_e32 v9, v67, v29
	v_add_nc_u32_e32 v0, 64, v0
	v_add_f32_e32 v4, v4, v5
	s_add_i32 s6, s6, -1
	v_add_f32_e32 v36, v3, v6
	v_add_co_u32 v3, s3, v62, s13
	v_add_f32_e32 v37, v4, v9
	v_add_co_ci_u32_e64 v4, null, s12, v63, s3
	s_add_i32 s8, s8, s11
	s_cmp_eq_u32 s6, 0
	s_waitcnt_vscnt null, 0x0
	s_barrier
	buffer_gl0_inv
	s_cbranch_scc1 .LBB42_148
.LBB42_144:                             ; =>This Inner Loop Header: Depth=1
	s_and_saveexec_b32 s14, s1
	s_cbranch_execz .LBB42_146
; %bb.145:                              ;   in Loop: Header=BB42_144 Depth=1
	s_ashr_i32 s9, s8, 31
	s_lshl_b64 s[16:17], s[8:9], 3
	v_add_co_u32 v5, s3, v73, s16
	v_add_co_ci_u32_e64 v6, null, s17, v74, s3
	flat_load_dwordx2 v[5:6], v[5:6]
	s_waitcnt vmcnt(0) lgkmcnt(0)
	ds_write_b64 v75, v[5:6]
.LBB42_146:                             ;   in Loop: Header=BB42_144 Depth=1
	s_or_b32 exec_lo, exec_lo, s14
	v_add_co_u32 v5, s3, v3, s4
	v_add_co_ci_u32_e64 v6, null, s5, v4, s3
	s_waitcnt lgkmcnt(0)
	s_barrier
	buffer_gl0_inv
	s_clause 0x1
	flat_load_dwordx2 v[38:39], v[3:4]
	flat_load_dwordx2 v[42:43], v[5:6]
	v_add_co_u32 v3, s3, v5, s4
	v_add_co_ci_u32_e64 v4, null, s5, v6, s3
	v_add_co_u32 v11, s3, v3, s4
	v_add_co_ci_u32_e64 v12, null, s5, v4, s3
	s_clause 0x1
	flat_load_dwordx2 v[44:45], v[3:4]
	flat_load_dwordx2 v[40:41], v[11:12]
	ds_read_b64 v[13:14], v77
	ds_read_b128 v[3:6], v76
	ds_read_b128 v[7:10], v76 offset:16
	v_add_co_u32 v11, s3, v11, s13
	v_add_co_ci_u32_e64 v12, null, s12, v12, s3
	v_add_co_u32 v19, s3, v11, s4
	v_add_co_ci_u32_e64 v20, null, s5, v12, s3
	s_waitcnt vmcnt(3) lgkmcnt(2)
	v_mul_f32_e32 v15, v39, v14
	v_mul_f32_e32 v16, v39, v13
	s_waitcnt vmcnt(2)
	v_mul_f32_e32 v17, v43, v14
	v_mul_f32_e32 v18, v43, v13
	v_fmac_f32_e32 v15, v38, v13
	v_fma_f32 v16, v38, v14, -v16
	v_fmac_f32_e32 v17, v42, v13
	v_fma_f32 v18, v42, v14, -v18
	s_waitcnt vmcnt(1)
	v_mul_f32_e32 v21, v45, v14
	s_waitcnt vmcnt(0)
	v_mul_f32_e32 v23, v41, v14
	v_mul_f32_e32 v22, v45, v13
	;; [unrolled: 1-line block ×3, first 2 shown]
	v_fmac_f32_e32 v21, v44, v13
	v_fmac_f32_e32 v23, v40, v13
	v_add_co_u32 v13, s3, v19, s4
	v_fma_f32 v22, v44, v14, -v22
	v_fma_f32 v24, v40, v14, -v24
	v_add_co_ci_u32_e64 v14, null, s5, v20, s3
	ds_write2_b64 v78, v[15:16], v[17:18] offset1:67
	ds_write2_b64 v78, v[21:22], v[23:24] offset0:134 offset1:201
	s_waitcnt lgkmcnt(0)
	s_barrier
	buffer_gl0_inv
	ds_read2_b64 v[83:86], v79 offset1:1
	ds_read2_b64 v[87:90], v79 offset0:2 offset1:3
	s_waitcnt lgkmcnt(0)
	s_barrier
	buffer_gl0_inv
	flat_load_dwordx2 v[52:53], v[11:12]
	v_add_co_u32 v11, s3, v13, s4
	v_add_co_ci_u32_e64 v12, null, s5, v14, s3
	s_clause 0x2
	flat_load_dwordx2 v[50:51], v[19:20]
	flat_load_dwordx2 v[48:49], v[13:14]
	flat_load_dwordx2 v[46:47], v[11:12]
	ds_read_b64 v[13:14], v77
	v_add_co_u32 v19, s3, v11, s13
	v_add_co_ci_u32_e64 v20, null, s12, v12, s3
	v_add_co_u32 v21, s3, v19, s4
	v_add_co_ci_u32_e64 v22, null, s5, v20, s3
	v_add_f32_e32 v83, 0, v83
	v_add_co_u32 v23, s3, v21, s4
	v_add_co_ci_u32_e64 v24, null, s5, v22, s3
	v_add_f32_e32 v84, 0, v84
	;; [unrolled: 3-line block ×3, first 2 shown]
	v_add_f32_e32 v84, v84, v86
	v_add_f32_e32 v87, v83, v87
	;; [unrolled: 1-line block ×5, first 2 shown]
	s_waitcnt vmcnt(3) lgkmcnt(0)
	v_mul_f32_e32 v25, v53, v14
	v_mul_f32_e32 v11, v53, v13
	s_waitcnt vmcnt(2)
	v_mul_f32_e32 v27, v51, v14
	v_mul_f32_e32 v12, v51, v13
	s_waitcnt vmcnt(1)
	;; [unrolled: 3-line block ×3, first 2 shown]
	v_mul_f32_e32 v31, v47, v14
	v_mul_f32_e32 v16, v47, v13
	v_fmac_f32_e32 v25, v52, v13
	v_fma_f32 v26, v52, v14, -v11
	v_fmac_f32_e32 v27, v50, v13
	v_fma_f32 v28, v50, v14, -v12
	;; [unrolled: 2-line block ×4, first 2 shown]
	ds_read_b128 v[15:18], v76 offset:128
	ds_read_b128 v[11:14], v76 offset:144
	ds_write2_b64 v78, v[25:26], v[27:28] offset1:67
	ds_write2_b64 v78, v[29:30], v[31:32] offset0:134 offset1:201
	s_waitcnt lgkmcnt(0)
	s_barrier
	buffer_gl0_inv
	ds_read2_b64 v[91:94], v79 offset1:1
	ds_read2_b64 v[95:98], v79 offset0:2 offset1:3
	s_waitcnt lgkmcnt(0)
	s_barrier
	buffer_gl0_inv
	s_clause 0x2
	flat_load_dwordx2 v[60:61], v[19:20]
	flat_load_dwordx2 v[58:59], v[21:22]
	;; [unrolled: 1-line block ×4, first 2 shown]
	ds_read_b64 v[19:20], v77
	v_add_co_u32 v27, s3, v33, s13
	v_add_co_ci_u32_e64 v28, null, s12, v34, s3
	v_add_co_u32 v29, s3, v27, s4
	v_add_co_ci_u32_e64 v30, null, s5, v28, s3
	;; [unrolled: 2-line block ×3, first 2 shown]
	v_add_f32_e32 v91, 0, v91
	v_add_f32_e32 v92, 0, v92
	;; [unrolled: 1-line block ×8, first 2 shown]
	s_waitcnt vmcnt(3) lgkmcnt(0)
	v_mul_f32_e32 v21, v61, v19
	v_mul_f32_e32 v31, v61, v20
	s_waitcnt vmcnt(2)
	v_mul_f32_e32 v22, v59, v19
	v_mul_f32_e32 v33, v59, v20
	s_waitcnt vmcnt(1)
	v_mul_f32_e32 v23, v57, v19
	s_waitcnt vmcnt(0)
	v_mul_f32_e32 v24, v55, v19
	v_mul_f32_e32 v62, v57, v20
	;; [unrolled: 1-line block ×3, first 2 shown]
	v_fma_f32 v32, v60, v20, -v21
	v_fma_f32 v34, v58, v20, -v22
	v_fmac_f32_e32 v31, v60, v19
	v_fmac_f32_e32 v33, v58, v19
	v_fma_f32 v63, v56, v20, -v23
	v_fma_f32 v65, v54, v20, -v24
	v_fmac_f32_e32 v62, v56, v19
	v_fmac_f32_e32 v64, v54, v19
	ds_read_b128 v[23:26], v76 offset:256
	ds_read_b128 v[19:22], v76 offset:272
	ds_write2_b64 v78, v[31:32], v[33:34] offset1:67
	ds_write2_b64 v78, v[62:63], v[64:65] offset0:134 offset1:201
	v_add_co_u32 v62, s3, v66, s4
	v_add_co_ci_u32_e64 v63, null, s5, v67, s3
	s_waitcnt lgkmcnt(0)
	s_barrier
	buffer_gl0_inv
	ds_read2_b64 v[99:102], v79 offset1:1
	ds_read2_b64 v[103:106], v79 offset0:2 offset1:3
	s_waitcnt lgkmcnt(0)
	s_barrier
	buffer_gl0_inv
	flat_load_dwordx2 v[70:71], v[27:28]
	flat_load_dwordx2 v[68:69], v[29:30]
	;; [unrolled: 1-line block ×4, first 2 shown]
	ds_read_b64 v[27:28], v77
	v_add_f32_e32 v91, 0, v99
	v_add_f32_e32 v92, 0, v100
	;; [unrolled: 1-line block ×6, first 2 shown]
	s_waitcnt vmcnt(2) lgkmcnt(0)
	v_mul_f32_e32 v30, v69, v27
	v_mul_f32_e32 v29, v71, v27
	;; [unrolled: 1-line block ×4, first 2 shown]
	s_waitcnt vmcnt(1)
	v_mul_f32_e32 v31, v65, v27
	v_mul_f32_e32 v111, v65, v28
	s_waitcnt vmcnt(0)
	v_mul_f32_e32 v32, v67, v27
	v_mul_f32_e32 v113, v67, v28
	v_fma_f32 v108, v70, v28, -v29
	v_fma_f32 v110, v68, v28, -v30
	v_fmac_f32_e32 v107, v70, v27
	v_fmac_f32_e32 v109, v68, v27
	v_fma_f32 v112, v64, v28, -v31
	v_fma_f32 v114, v66, v28, -v32
	v_fmac_f32_e32 v111, v64, v27
	v_fmac_f32_e32 v113, v66, v27
	ds_read_b128 v[31:34], v76 offset:384
	ds_read_b128 v[27:30], v76 offset:400
	ds_write2_b64 v78, v[107:108], v[109:110] offset1:67
	ds_write2_b64 v78, v[111:112], v[113:114] offset0:134 offset1:201
	s_waitcnt lgkmcnt(0)
	s_barrier
	buffer_gl0_inv
	ds_read2_b64 v[107:110], v79 offset1:1
	ds_read2_b64 v[83:86], v79 offset0:2 offset1:3
	s_waitcnt lgkmcnt(0)
	s_barrier
	buffer_gl0_inv
	v_add_f32_e32 v93, 0, v107
	v_add_f32_e32 v94, 0, v108
	;; [unrolled: 1-line block ×10, first 2 shown]
	ds_write2_b64 v82, v[87:88], v[89:90] offset1:16
	ds_write2_b64 v82, v[83:84], v[85:86] offset0:32 offset1:48
	s_waitcnt lgkmcnt(0)
	s_barrier
	buffer_gl0_inv
	s_and_saveexec_b32 s9, s2
	s_cbranch_execz .LBB42_143
; %bb.147:                              ;   in Loop: Header=BB42_144 Depth=1
	ds_read_b64 v[95:96], v80
	ds_read2_b64 v[83:86], v80 offset0:1 offset1:2
	ds_read2_b64 v[87:90], v80 offset0:3 offset1:4
	;; [unrolled: 1-line block ×3, first 2 shown]
	s_waitcnt lgkmcnt(2)
	v_add_f32_e32 v83, v83, v95
	v_add_f32_e32 v84, v84, v96
	v_add_f32_e32 v95, v85, v83
	v_add_f32_e32 v96, v86, v84
	ds_read2_b64 v[83:86], v80 offset0:7 offset1:8
	s_waitcnt lgkmcnt(2)
	v_add_f32_e32 v87, v95, v87
	v_add_f32_e32 v88, v96, v88
	v_add_f32_e32 v95, v87, v89
	v_add_f32_e32 v96, v88, v90
	ds_read2_b64 v[87:90], v80 offset0:9 offset1:10
	;; [unrolled: 6-line block ×4, first 2 shown]
	s_waitcnt lgkmcnt(2)
	v_add_f32_e32 v87, v95, v87
	v_add_f32_e32 v88, v96, v88
	;; [unrolled: 1-line block ×4, first 2 shown]
	ds_read_b64 v[87:88], v81
	s_waitcnt lgkmcnt(2)
	v_add_f32_e32 v89, v89, v91
	v_add_f32_e32 v90, v90, v92
	;; [unrolled: 1-line block ×4, first 2 shown]
	s_waitcnt lgkmcnt(1)
	v_add_f32_e32 v83, v89, v83
	v_add_f32_e32 v84, v90, v84
	;; [unrolled: 1-line block ×4, first 2 shown]
	v_lshlrev_b64 v[83:84], 3, v[0:1]
	s_waitcnt lgkmcnt(0)
	v_add_f32_e32 v85, v85, v87
	v_add_f32_e32 v86, v86, v88
	v_add_co_u32 v83, s3, s7, v83
	v_add_co_ci_u32_e64 v84, null, s10, v84, s3
	global_store_dwordx2 v[83:84], v[85:86], off
	s_branch .LBB42_143
.LBB42_148:
	v_mad_u32_u24 v0, 0x218, v2, v72
	s_nor_b32 s0, s0, vcc_lo
	ds_write_b64 v0, v[36:37]
	s_waitcnt lgkmcnt(0)
	s_barrier
	buffer_gl0_inv
	s_and_saveexec_b32 s1, s0
	s_cbranch_execz .LBB42_150
; %bb.149:
	ds_read2_b64 v[0:3], v72 offset1:67
	ds_read2_b64 v[4:7], v72 offset0:134 offset1:201
	v_ashrrev_i32_e32 v36, 31, v35
	s_waitcnt lgkmcnt(1)
	v_add_f32_e32 v0, v2, v0
	v_add_f32_e32 v1, v3, v1
	s_waitcnt lgkmcnt(0)
	v_add_f32_e32 v2, v4, v0
	v_add_f32_e32 v3, v5, v1
	v_lshlrev_b64 v[0:1], 3, v[35:36]
	v_add_f32_e32 v2, v2, v6
	v_add_f32_e32 v3, v3, v7
	v_add_co_u32 v0, vcc_lo, s7, v0
	v_add_co_ci_u32_e64 v1, null, s10, v1, vcc_lo
	global_store_dwordx2 v[0:1], v[2:3], off
.LBB42_150:
	s_endpgm
	.section	.rodata,"a",@progbits
	.p2align	6, 0x0
	.amdhsa_kernel _ZL26rocblas_hemvn_kernel_lowerILb1ELi64ELi4ELi33ELi32ELi16EiPK19rocblas_complex_numIfEPKS3_PS1_EviT6_lT7_lT5_lS8_lS9_lS7_lT8_i
		.amdhsa_group_segment_fixed_size 9600
		.amdhsa_private_segment_fixed_size 0
		.amdhsa_kernarg_size 376
		.amdhsa_user_sgpr_count 6
		.amdhsa_user_sgpr_private_segment_buffer 1
		.amdhsa_user_sgpr_dispatch_ptr 0
		.amdhsa_user_sgpr_queue_ptr 0
		.amdhsa_user_sgpr_kernarg_segment_ptr 1
		.amdhsa_user_sgpr_dispatch_id 0
		.amdhsa_user_sgpr_flat_scratch_init 0
		.amdhsa_user_sgpr_private_segment_size 0
		.amdhsa_wavefront_size32 1
		.amdhsa_uses_dynamic_stack 0
		.amdhsa_system_sgpr_private_segment_wavefront_offset 0
		.amdhsa_system_sgpr_workgroup_id_x 1
		.amdhsa_system_sgpr_workgroup_id_y 0
		.amdhsa_system_sgpr_workgroup_id_z 1
		.amdhsa_system_sgpr_workgroup_info 0
		.amdhsa_system_vgpr_workitem_id 1
		.amdhsa_next_free_vgpr 115
		.amdhsa_next_free_sgpr 32
		.amdhsa_reserve_vcc 1
		.amdhsa_reserve_flat_scratch 1
		.amdhsa_float_round_mode_32 0
		.amdhsa_float_round_mode_16_64 0
		.amdhsa_float_denorm_mode_32 3
		.amdhsa_float_denorm_mode_16_64 3
		.amdhsa_dx10_clamp 1
		.amdhsa_ieee_mode 1
		.amdhsa_fp16_overflow 0
		.amdhsa_workgroup_processor_mode 1
		.amdhsa_memory_ordered 1
		.amdhsa_forward_progress 1
		.amdhsa_shared_vgpr_count 0
		.amdhsa_exception_fp_ieee_invalid_op 0
		.amdhsa_exception_fp_denorm_src 0
		.amdhsa_exception_fp_ieee_div_zero 0
		.amdhsa_exception_fp_ieee_overflow 0
		.amdhsa_exception_fp_ieee_underflow 0
		.amdhsa_exception_fp_ieee_inexact 0
		.amdhsa_exception_int_div_zero 0
	.end_amdhsa_kernel
	.section	.text._ZL26rocblas_hemvn_kernel_lowerILb1ELi64ELi4ELi33ELi32ELi16EiPK19rocblas_complex_numIfEPKS3_PS1_EviT6_lT7_lT5_lS8_lS9_lS7_lT8_i,"axG",@progbits,_ZL26rocblas_hemvn_kernel_lowerILb1ELi64ELi4ELi33ELi32ELi16EiPK19rocblas_complex_numIfEPKS3_PS1_EviT6_lT7_lT5_lS8_lS9_lS7_lT8_i,comdat
.Lfunc_end42:
	.size	_ZL26rocblas_hemvn_kernel_lowerILb1ELi64ELi4ELi33ELi32ELi16EiPK19rocblas_complex_numIfEPKS3_PS1_EviT6_lT7_lT5_lS8_lS9_lS7_lT8_i, .Lfunc_end42-_ZL26rocblas_hemvn_kernel_lowerILb1ELi64ELi4ELi33ELi32ELi16EiPK19rocblas_complex_numIfEPKS3_PS1_EviT6_lT7_lT5_lS8_lS9_lS7_lT8_i
                                        ; -- End function
	.set _ZL26rocblas_hemvn_kernel_lowerILb1ELi64ELi4ELi33ELi32ELi16EiPK19rocblas_complex_numIfEPKS3_PS1_EviT6_lT7_lT5_lS8_lS9_lS7_lT8_i.num_vgpr, 115
	.set _ZL26rocblas_hemvn_kernel_lowerILb1ELi64ELi4ELi33ELi32ELi16EiPK19rocblas_complex_numIfEPKS3_PS1_EviT6_lT7_lT5_lS8_lS9_lS7_lT8_i.num_agpr, 0
	.set _ZL26rocblas_hemvn_kernel_lowerILb1ELi64ELi4ELi33ELi32ELi16EiPK19rocblas_complex_numIfEPKS3_PS1_EviT6_lT7_lT5_lS8_lS9_lS7_lT8_i.numbered_sgpr, 32
	.set _ZL26rocblas_hemvn_kernel_lowerILb1ELi64ELi4ELi33ELi32ELi16EiPK19rocblas_complex_numIfEPKS3_PS1_EviT6_lT7_lT5_lS8_lS9_lS7_lT8_i.num_named_barrier, 0
	.set _ZL26rocblas_hemvn_kernel_lowerILb1ELi64ELi4ELi33ELi32ELi16EiPK19rocblas_complex_numIfEPKS3_PS1_EviT6_lT7_lT5_lS8_lS9_lS7_lT8_i.private_seg_size, 0
	.set _ZL26rocblas_hemvn_kernel_lowerILb1ELi64ELi4ELi33ELi32ELi16EiPK19rocblas_complex_numIfEPKS3_PS1_EviT6_lT7_lT5_lS8_lS9_lS7_lT8_i.uses_vcc, 1
	.set _ZL26rocblas_hemvn_kernel_lowerILb1ELi64ELi4ELi33ELi32ELi16EiPK19rocblas_complex_numIfEPKS3_PS1_EviT6_lT7_lT5_lS8_lS9_lS7_lT8_i.uses_flat_scratch, 1
	.set _ZL26rocblas_hemvn_kernel_lowerILb1ELi64ELi4ELi33ELi32ELi16EiPK19rocblas_complex_numIfEPKS3_PS1_EviT6_lT7_lT5_lS8_lS9_lS7_lT8_i.has_dyn_sized_stack, 0
	.set _ZL26rocblas_hemvn_kernel_lowerILb1ELi64ELi4ELi33ELi32ELi16EiPK19rocblas_complex_numIfEPKS3_PS1_EviT6_lT7_lT5_lS8_lS9_lS7_lT8_i.has_recursion, 0
	.set _ZL26rocblas_hemvn_kernel_lowerILb1ELi64ELi4ELi33ELi32ELi16EiPK19rocblas_complex_numIfEPKS3_PS1_EviT6_lT7_lT5_lS8_lS9_lS7_lT8_i.has_indirect_call, 0
	.section	.AMDGPU.csdata,"",@progbits
; Kernel info:
; codeLenInByte = 8424
; TotalNumSgprs: 34
; NumVgprs: 115
; ScratchSize: 0
; MemoryBound: 1
; FloatMode: 240
; IeeeMode: 1
; LDSByteSize: 9600 bytes/workgroup (compile time only)
; SGPRBlocks: 0
; VGPRBlocks: 14
; NumSGPRsForWavesPerEU: 34
; NumVGPRsForWavesPerEU: 115
; Occupancy: 8
; WaveLimiterHint : 1
; COMPUTE_PGM_RSRC2:SCRATCH_EN: 0
; COMPUTE_PGM_RSRC2:USER_SGPR: 6
; COMPUTE_PGM_RSRC2:TRAP_HANDLER: 0
; COMPUTE_PGM_RSRC2:TGID_X_EN: 1
; COMPUTE_PGM_RSRC2:TGID_Y_EN: 0
; COMPUTE_PGM_RSRC2:TGID_Z_EN: 1
; COMPUTE_PGM_RSRC2:TIDIG_COMP_CNT: 1
	.section	.text._ZL36rocblas_hemvn_kernel_lower_block_sumILi64EiPK19rocblas_complex_numIfEPKPS1_S1_EviT1_lS7_lT2_lT0_lPT3_i,"axG",@progbits,_ZL36rocblas_hemvn_kernel_lower_block_sumILi64EiPK19rocblas_complex_numIfEPKPS1_S1_EviT1_lS7_lT2_lT0_lPT3_i,comdat
	.globl	_ZL36rocblas_hemvn_kernel_lower_block_sumILi64EiPK19rocblas_complex_numIfEPKPS1_S1_EviT1_lS7_lT2_lT0_lPT3_i ; -- Begin function _ZL36rocblas_hemvn_kernel_lower_block_sumILi64EiPK19rocblas_complex_numIfEPKPS1_S1_EviT1_lS7_lT2_lT0_lPT3_i
	.p2align	8
	.type	_ZL36rocblas_hemvn_kernel_lower_block_sumILi64EiPK19rocblas_complex_numIfEPKPS1_S1_EviT1_lS7_lT2_lT0_lPT3_i,@function
_ZL36rocblas_hemvn_kernel_lower_block_sumILi64EiPK19rocblas_complex_numIfEPKPS1_S1_EviT1_lS7_lT2_lT0_lPT3_i: ; @_ZL36rocblas_hemvn_kernel_lower_block_sumILi64EiPK19rocblas_complex_numIfEPKPS1_S1_EviT1_lS7_lT2_lT0_lPT3_i
; %bb.0:
	s_load_dwordx8 s[12:19], s[4:5], 0x8
	s_mov_b32 s10, s7
	s_mov_b32 s11, 0
	s_waitcnt lgkmcnt(0)
	s_mul_i32 s1, s15, s7
	s_mul_hi_u32 s2, s14, s7
	s_mul_i32 s0, s14, s7
	s_add_i32 s1, s2, s1
	s_mul_i32 s2, s19, s7
	s_lshl_b64 s[0:1], s[0:1], 3
	s_add_u32 s0, s12, s0
	s_addc_u32 s1, s13, s1
	s_load_dwordx2 s[8:9], s[0:1], 0x0
	s_mul_hi_u32 s1, s18, s7
	s_mul_i32 s0, s18, s7
	s_add_i32 s1, s1, s2
	s_lshl_b64 s[0:1], s[0:1], 3
	s_add_u32 s0, s16, s0
	s_addc_u32 s1, s17, s1
	s_load_dwordx2 s[2:3], s[0:1], 0x0
	s_waitcnt lgkmcnt(0)
	s_or_b32 s0, s8, s9
	s_bitset0_b32 s0, 31
	s_cmp_eq_u32 s0, 0
	s_cselect_b32 s1, -1, 0
	s_cmp_lg_u32 s0, 0
	s_mov_b32 s0, -1
	s_cbranch_scc1 .LBB43_2
; %bb.1:
	v_cmp_neq_f32_e64 s0, s2, 1.0
	v_cmp_neq_f32_e64 s7, s3, 0
	s_or_b32 s0, s0, s7
.LBB43_2:
	s_andn2_b32 vcc_lo, exec_lo, s0
	s_cbranch_vccnz .LBB43_19
; %bb.3:
	s_load_dwordx4 s[16:19], s[4:5], 0x28
	s_lshl_b64 s[20:21], s[10:11], 3
	s_clause 0x1
	s_load_dword s14, s[4:5], 0x38
	s_load_dword s12, s[4:5], 0x0
	v_lshl_or_b32 v0, s6, 6, v0
	s_waitcnt lgkmcnt(0)
	s_add_u32 s16, s16, s20
	s_addc_u32 s17, s17, s21
	s_lshl_b64 s[18:19], s[18:19], 3
	s_load_dwordx2 s[16:17], s[16:17], 0x0
	v_cmp_gt_i32_e64 s0, s12, v0
	s_waitcnt lgkmcnt(0)
	s_add_u32 s7, s16, s18
	s_addc_u32 s11, s17, s19
	s_andn2_b32 vcc_lo, exec_lo, s1
	s_mov_b32 s1, -1
	s_cbranch_vccnz .LBB43_9
; %bb.4:
	s_and_saveexec_b32 s1, s0
	s_cbranch_execz .LBB43_8
; %bb.5:
	v_mul_lo_u32 v1, s14, v0
	v_cmp_neq_f32_e64 s0, s2, 0
	v_cmp_neq_f32_e64 s13, s3, 0
	v_mov_b32_e32 v3, 0
	v_mov_b32_e32 v4, 0
	s_or_b32 s0, s0, s13
	v_ashrrev_i32_e32 v2, 31, v1
	s_andn2_b32 vcc_lo, exec_lo, s0
	v_lshlrev_b64 v[1:2], 3, v[1:2]
	s_cbranch_vccnz .LBB43_7
; %bb.6:
	v_add_co_u32 v3, vcc_lo, s7, v1
	v_add_co_ci_u32_e64 v4, null, s11, v2, vcc_lo
	flat_load_dwordx2 v[5:6], v[3:4]
	s_waitcnt vmcnt(0) lgkmcnt(0)
	v_mul_f32_e32 v3, s3, v6
	v_mul_f32_e32 v4, s2, v6
	v_fma_f32 v3, v5, s2, -v3
	v_fmac_f32_e32 v4, s3, v5
.LBB43_7:
	v_add_co_u32 v1, vcc_lo, s7, v1
	v_add_co_ci_u32_e64 v2, null, s11, v2, vcc_lo
	flat_store_dwordx2 v[1:2], v[3:4]
.LBB43_8:
	s_or_b32 exec_lo, exec_lo, s1
	s_mov_b32 s1, 0
.LBB43_9:
	s_andn2_b32 vcc_lo, exec_lo, s1
	s_cbranch_vccnz .LBB43_19
; %bb.10:
	s_mov_b32 s0, exec_lo
	v_cmpx_gt_i32_e64 s12, v0
	s_cbranch_execz .LBB43_19
; %bb.11:
	s_load_dword s15, s[4:5], 0x58
	v_mov_b32_e32 v3, 0
	v_mov_b32_e32 v4, 0
	s_waitcnt lgkmcnt(0)
	s_cmp_ge_i32 s6, s15
	s_cbranch_scc1 .LBB43_14
; %bb.12:
	s_load_dwordx2 s[0:1], s[4:5], 0x48
	v_mad_u64_u32 v[1:2], null, s12, s6, v[0:1]
	s_ashr_i32 s13, s12, 31
	s_mul_hi_u32 s4, s12, s10
	s_mul_i32 s5, s13, s10
	s_mul_i32 s10, s12, s10
	s_add_i32 s4, s4, s5
	s_mul_hi_u32 s5, s10, s15
	v_ashrrev_i32_e32 v2, 31, v1
	s_mul_i32 s16, s4, s15
	s_mul_i32 s4, s10, s15
	s_add_i32 s5, s5, s16
	v_mov_b32_e32 v3, 0
	v_lshlrev_b64 v[1:2], 3, v[1:2]
	s_lshl_b64 s[4:5], s[4:5], 3
	v_mov_b32_e32 v4, 0
	s_waitcnt lgkmcnt(0)
	s_add_u32 s0, s0, s4
	s_addc_u32 s1, s1, s5
	v_add_co_u32 v1, vcc_lo, s0, v1
	v_add_co_ci_u32_e64 v2, null, s1, v2, vcc_lo
	s_lshl_b64 s[0:1], s[12:13], 3
	v_add_co_u32 v1, vcc_lo, v1, 4
	v_add_co_ci_u32_e64 v2, null, 0, v2, vcc_lo
.LBB43_13:                              ; =>This Inner Loop Header: Depth=1
	global_load_dwordx2 v[5:6], v[1:2], off offset:-4
	v_add_co_u32 v1, vcc_lo, v1, s0
	v_add_co_ci_u32_e64 v2, null, s1, v2, vcc_lo
	s_add_i32 s6, s6, 1
	s_cmp_ge_i32 s6, s15
	s_waitcnt vmcnt(0)
	v_add_f32_e32 v4, v4, v5
	v_add_f32_e32 v3, v3, v6
	s_cbranch_scc0 .LBB43_13
.LBB43_14:
	v_mul_lo_u32 v2, s14, v0
	v_mul_f32_e32 v0, s9, v3
	v_mul_f32_e32 v1, s8, v3
	v_cmp_neq_f32_e64 s0, s2, 0
	v_cmp_neq_f32_e64 s1, s3, 0
	v_fma_f32 v0, v4, s8, -v0
	v_fmac_f32_e32 v1, s9, v4
	v_ashrrev_i32_e32 v3, 31, v2
	s_or_b32 s0, s0, s1
	s_andn2_b32 vcc_lo, exec_lo, s0
	s_mov_b32 s0, 0
	s_cbranch_vccnz .LBB43_16
; %bb.15:
	s_mov_b32 s0, -1
.LBB43_16:
	s_andn2_b32 vcc_lo, exec_lo, s0
	s_cbranch_vccnz .LBB43_18
; %bb.17:
	v_lshlrev_b64 v[4:5], 3, v[2:3]
	v_add_co_u32 v4, vcc_lo, s7, v4
	v_add_co_ci_u32_e64 v5, null, s11, v5, vcc_lo
	flat_load_dwordx2 v[4:5], v[4:5]
	s_waitcnt vmcnt(0) lgkmcnt(0)
	v_mul_f32_e32 v6, s3, v5
	v_mul_f32_e32 v5, s2, v5
	v_fma_f32 v6, v4, s2, -v6
	v_fmac_f32_e32 v5, s3, v4
	v_add_f32_e32 v0, v0, v6
	v_add_f32_e32 v1, v1, v5
.LBB43_18:
	v_lshlrev_b64 v[2:3], 3, v[2:3]
	v_add_co_u32 v2, vcc_lo, s7, v2
	v_add_co_ci_u32_e64 v3, null, s11, v3, vcc_lo
	flat_store_dwordx2 v[2:3], v[0:1]
.LBB43_19:
	s_endpgm
	.section	.rodata,"a",@progbits
	.p2align	6, 0x0
	.amdhsa_kernel _ZL36rocblas_hemvn_kernel_lower_block_sumILi64EiPK19rocblas_complex_numIfEPKPS1_S1_EviT1_lS7_lT2_lT0_lPT3_i
		.amdhsa_group_segment_fixed_size 0
		.amdhsa_private_segment_fixed_size 0
		.amdhsa_kernarg_size 344
		.amdhsa_user_sgpr_count 6
		.amdhsa_user_sgpr_private_segment_buffer 1
		.amdhsa_user_sgpr_dispatch_ptr 0
		.amdhsa_user_sgpr_queue_ptr 0
		.amdhsa_user_sgpr_kernarg_segment_ptr 1
		.amdhsa_user_sgpr_dispatch_id 0
		.amdhsa_user_sgpr_flat_scratch_init 0
		.amdhsa_user_sgpr_private_segment_size 0
		.amdhsa_wavefront_size32 1
		.amdhsa_uses_dynamic_stack 0
		.amdhsa_system_sgpr_private_segment_wavefront_offset 0
		.amdhsa_system_sgpr_workgroup_id_x 1
		.amdhsa_system_sgpr_workgroup_id_y 0
		.amdhsa_system_sgpr_workgroup_id_z 1
		.amdhsa_system_sgpr_workgroup_info 0
		.amdhsa_system_vgpr_workitem_id 0
		.amdhsa_next_free_vgpr 7
		.amdhsa_next_free_sgpr 22
		.amdhsa_reserve_vcc 1
		.amdhsa_reserve_flat_scratch 0
		.amdhsa_float_round_mode_32 0
		.amdhsa_float_round_mode_16_64 0
		.amdhsa_float_denorm_mode_32 3
		.amdhsa_float_denorm_mode_16_64 3
		.amdhsa_dx10_clamp 1
		.amdhsa_ieee_mode 1
		.amdhsa_fp16_overflow 0
		.amdhsa_workgroup_processor_mode 1
		.amdhsa_memory_ordered 1
		.amdhsa_forward_progress 1
		.amdhsa_shared_vgpr_count 0
		.amdhsa_exception_fp_ieee_invalid_op 0
		.amdhsa_exception_fp_denorm_src 0
		.amdhsa_exception_fp_ieee_div_zero 0
		.amdhsa_exception_fp_ieee_overflow 0
		.amdhsa_exception_fp_ieee_underflow 0
		.amdhsa_exception_fp_ieee_inexact 0
		.amdhsa_exception_int_div_zero 0
	.end_amdhsa_kernel
	.section	.text._ZL36rocblas_hemvn_kernel_lower_block_sumILi64EiPK19rocblas_complex_numIfEPKPS1_S1_EviT1_lS7_lT2_lT0_lPT3_i,"axG",@progbits,_ZL36rocblas_hemvn_kernel_lower_block_sumILi64EiPK19rocblas_complex_numIfEPKPS1_S1_EviT1_lS7_lT2_lT0_lPT3_i,comdat
.Lfunc_end43:
	.size	_ZL36rocblas_hemvn_kernel_lower_block_sumILi64EiPK19rocblas_complex_numIfEPKPS1_S1_EviT1_lS7_lT2_lT0_lPT3_i, .Lfunc_end43-_ZL36rocblas_hemvn_kernel_lower_block_sumILi64EiPK19rocblas_complex_numIfEPKPS1_S1_EviT1_lS7_lT2_lT0_lPT3_i
                                        ; -- End function
	.set _ZL36rocblas_hemvn_kernel_lower_block_sumILi64EiPK19rocblas_complex_numIfEPKPS1_S1_EviT1_lS7_lT2_lT0_lPT3_i.num_vgpr, 7
	.set _ZL36rocblas_hemvn_kernel_lower_block_sumILi64EiPK19rocblas_complex_numIfEPKPS1_S1_EviT1_lS7_lT2_lT0_lPT3_i.num_agpr, 0
	.set _ZL36rocblas_hemvn_kernel_lower_block_sumILi64EiPK19rocblas_complex_numIfEPKPS1_S1_EviT1_lS7_lT2_lT0_lPT3_i.numbered_sgpr, 22
	.set _ZL36rocblas_hemvn_kernel_lower_block_sumILi64EiPK19rocblas_complex_numIfEPKPS1_S1_EviT1_lS7_lT2_lT0_lPT3_i.num_named_barrier, 0
	.set _ZL36rocblas_hemvn_kernel_lower_block_sumILi64EiPK19rocblas_complex_numIfEPKPS1_S1_EviT1_lS7_lT2_lT0_lPT3_i.private_seg_size, 0
	.set _ZL36rocblas_hemvn_kernel_lower_block_sumILi64EiPK19rocblas_complex_numIfEPKPS1_S1_EviT1_lS7_lT2_lT0_lPT3_i.uses_vcc, 1
	.set _ZL36rocblas_hemvn_kernel_lower_block_sumILi64EiPK19rocblas_complex_numIfEPKPS1_S1_EviT1_lS7_lT2_lT0_lPT3_i.uses_flat_scratch, 0
	.set _ZL36rocblas_hemvn_kernel_lower_block_sumILi64EiPK19rocblas_complex_numIfEPKPS1_S1_EviT1_lS7_lT2_lT0_lPT3_i.has_dyn_sized_stack, 0
	.set _ZL36rocblas_hemvn_kernel_lower_block_sumILi64EiPK19rocblas_complex_numIfEPKPS1_S1_EviT1_lS7_lT2_lT0_lPT3_i.has_recursion, 0
	.set _ZL36rocblas_hemvn_kernel_lower_block_sumILi64EiPK19rocblas_complex_numIfEPKPS1_S1_EviT1_lS7_lT2_lT0_lPT3_i.has_indirect_call, 0
	.section	.AMDGPU.csdata,"",@progbits
; Kernel info:
; codeLenInByte = 792
; TotalNumSgprs: 24
; NumVgprs: 7
; ScratchSize: 0
; MemoryBound: 0
; FloatMode: 240
; IeeeMode: 1
; LDSByteSize: 0 bytes/workgroup (compile time only)
; SGPRBlocks: 0
; VGPRBlocks: 0
; NumSGPRsForWavesPerEU: 24
; NumVGPRsForWavesPerEU: 7
; Occupancy: 16
; WaveLimiterHint : 1
; COMPUTE_PGM_RSRC2:SCRATCH_EN: 0
; COMPUTE_PGM_RSRC2:USER_SGPR: 6
; COMPUTE_PGM_RSRC2:TRAP_HANDLER: 0
; COMPUTE_PGM_RSRC2:TGID_X_EN: 1
; COMPUTE_PGM_RSRC2:TGID_Y_EN: 0
; COMPUTE_PGM_RSRC2:TGID_Z_EN: 1
; COMPUTE_PGM_RSRC2:TIDIG_COMP_CNT: 0
	.section	.text._ZL26rocblas_hemvn_kernel_lowerILb1ELi64ELi4ELi33ELi32ELi16El19rocblas_complex_numIfEPKPKS1_PS1_EviT6_lT7_lT5_lS8_lS9_lS7_lT8_i,"axG",@progbits,_ZL26rocblas_hemvn_kernel_lowerILb1ELi64ELi4ELi33ELi32ELi16El19rocblas_complex_numIfEPKPKS1_PS1_EviT6_lT7_lT5_lS8_lS9_lS7_lT8_i,comdat
	.globl	_ZL26rocblas_hemvn_kernel_lowerILb1ELi64ELi4ELi33ELi32ELi16El19rocblas_complex_numIfEPKPKS1_PS1_EviT6_lT7_lT5_lS8_lS9_lS7_lT8_i ; -- Begin function _ZL26rocblas_hemvn_kernel_lowerILb1ELi64ELi4ELi33ELi32ELi16El19rocblas_complex_numIfEPKPKS1_PS1_EviT6_lT7_lT5_lS8_lS9_lS7_lT8_i
	.p2align	8
	.type	_ZL26rocblas_hemvn_kernel_lowerILb1ELi64ELi4ELi33ELi32ELi16El19rocblas_complex_numIfEPKPKS1_PS1_EviT6_lT7_lT5_lS8_lS9_lS7_lT8_i,@function
_ZL26rocblas_hemvn_kernel_lowerILb1ELi64ELi4ELi33ELi32ELi16El19rocblas_complex_numIfEPKPKS1_PS1_EviT6_lT7_lT5_lS8_lS9_lS7_lT8_i: ; @_ZL26rocblas_hemvn_kernel_lowerILb1ELi64ELi4ELi33ELi32ELi16El19rocblas_complex_numIfEPKPKS1_PS1_EviT6_lT7_lT5_lS8_lS9_lS7_lT8_i
; %bb.0:
	s_load_dwordx2 s[0:1], s[4:5], 0x84
	s_add_u32 s8, s4, 0x78
	s_addc_u32 s9, s5, 0
	s_waitcnt lgkmcnt(0)
	s_lshr_b32 s2, s0, 16
	s_and_b32 s0, s0, 0xffff
	s_and_b32 s1, s1, 0xffff
	s_mul_i32 s0, s2, s0
	s_mul_i32 s0, s0, s1
	s_cmpk_lg_i32 s0, 0x100
	s_cbranch_scc1 .LBB44_150
; %bb.1:
	s_load_dwordx2 s[0:1], s[4:5], 0x4
	s_mov_b32 s16, s7
	s_waitcnt lgkmcnt(0)
	s_or_b32 s0, s0, s1
	s_bitset0_b32 s0, 31
	s_cmp_lg_u32 s0, 0
	s_mov_b32 s0, -1
	s_cbranch_scc1 .LBB44_3
; %bb.2:
	s_load_dwordx2 s[0:1], s[4:5], 0x58
	s_waitcnt lgkmcnt(0)
	v_cmp_eq_f32_e64 s0, s0, 1.0
	v_cmp_eq_f32_e64 s1, s1, 0
	s_and_b32 s0, s0, s1
	s_andn2_b32 vcc_lo, exec_lo, s0
	s_mov_b32 s0, 0
.LBB44_3:
	s_andn2_b32 vcc_lo, exec_lo, s0
	s_cbranch_vccnz .LBB44_150
; %bb.4:
	s_clause 0x1
	s_load_dwordx4 s[0:3], s[4:5], 0x18
	s_load_dwordx4 s[12:15], s[4:5], 0x38
	s_mov_b32 s17, 0
	s_lshl_b64 s[10:11], s[16:17], 3
	s_waitcnt lgkmcnt(0)
	s_add_u32 s0, s0, s10
	s_addc_u32 s1, s1, s11
	s_add_u32 s10, s12, s10
	s_addc_u32 s11, s13, s11
	s_lshl_b64 s[14:15], s[14:15], 3
	s_load_dwordx2 s[10:11], s[10:11], 0x0
	s_clause 0x1
	s_load_dwordx2 s[12:13], s[4:5], 0x48
	s_load_dword s17, s[4:5], 0x0
	s_load_dword s26, s[8:9], 0x0
	s_waitcnt lgkmcnt(0)
	s_add_u32 s7, s10, s14
	s_addc_u32 s10, s11, s15
	s_lshl_b32 s18, s6, 6
	s_load_dwordx2 s[14:15], s[4:5], 0x28
	s_load_dwordx2 s[8:9], s[0:1], 0x0
	v_add_nc_u32_e32 v34, s18, v0
	s_ashr_i32 s27, s17, 31
	s_add_i32 s11, s26, -1
	s_lshr_b32 s0, s27, 26
	v_ashrrev_i32_e32 v35, 31, v34
	v_mul_lo_u32 v4, s13, v34
	v_mad_u64_u32 v[2:3], null, s12, v34, 0
	s_add_i32 s1, s17, s0
	v_mul_lo_u32 v5, s12, v35
	s_andn2_b32 s1, s1, 63
	v_cmp_ne_u32_e64 s0, 0, v1
	s_sub_i32 s19, s17, s1
	v_cmp_eq_u32_e64 s1, 0, v1
	s_cmp_eq_u32 s6, s11
	s_cselect_b32 s20, s19, 0
	v_add3_u32 v3, v3, v5, v4
	v_lshlrev_b64 v[2:3], 3, v[2:3]
	v_add_co_u32 v18, vcc_lo, s7, v2
	v_add_co_ci_u32_e64 v19, null, s10, v3, vcc_lo
	s_mov_b32 s7, -1
	s_and_saveexec_b32 s10, s1
	s_cbranch_execz .LBB44_9
; %bb.5:
	v_cmp_le_i32_e32 vcc_lo, s20, v0
	s_cmp_lg_u32 s20, 0
	v_lshl_add_u32 v2, v0, 3, 0x2380
	s_cselect_b32 s11, -1, 0
	s_and_b32 s11, s11, vcc_lo
	s_and_saveexec_b32 s19, s11
	s_xor_b32 s11, exec_lo, s19
; %bb.6:
	v_mov_b32_e32 v3, 0
	v_mov_b32_e32 v4, v3
	ds_write_b64 v2, v[3:4]
                                        ; implicit-def: $vgpr2
; %bb.7:
	s_andn2_saveexec_b32 s11, s11
	s_cbranch_execz .LBB44_9
; %bb.8:
	flat_load_dwordx2 v[3:4], v[18:19]
	s_waitcnt vmcnt(0) lgkmcnt(0)
	ds_write_b64 v2, v[3:4]
.LBB44_9:
	s_or_b32 exec_lo, exec_lo, s10
	v_lshl_add_u32 v24, v1, 6, v0
	v_and_b32_e32 v2, 31, v0
	v_mov_b32_e32 v3, 0
	s_lshl_b64 s[2:3], s[2:3], 3
	s_waitcnt lgkmcnt(0)
	s_mul_hi_u32 s10, s14, s18
	v_lshrrev_b32_e32 v7, 5, v24
	s_add_u32 s8, s8, s2
	s_addc_u32 s9, s9, s3
	s_ashr_i32 s19, s18, 31
	s_mul_i32 s11, s15, s18
	v_mad_u64_u32 v[3:4], null, s14, v7, v[2:3]
	s_lshl_b64 s[2:3], s[18:19], 3
	s_mul_i32 s21, s14, s19
	s_add_u32 s8, s8, s2
	s_addc_u32 s9, s9, s3
	s_add_i32 s3, s10, s21
	s_mul_i32 s2, s14, s18
	v_mad_u64_u32 v[4:5], null, s15, v7, v[4:5]
	s_add_i32 s3, s3, s11
	s_lshl_b64 s[22:23], s[2:3], 3
	s_cmp_lg_u32 s20, 0
	s_cselect_b32 s28, -1, 0
	v_lshlrev_b64 v[20:21], 3, v[3:4]
	s_cmp_eq_u32 s20, 0
	s_cselect_b32 s10, -1, 0
	v_add_co_u32 v3, vcc_lo, s8, v20
	v_add_co_ci_u32_e64 v4, null, s9, v21, vcc_lo
	v_add_co_u32 v3, vcc_lo, v3, s22
	v_add_co_ci_u32_e64 v4, null, s23, v4, vcc_lo
	s_and_b32 vcc_lo, exec_lo, s28
	s_cbranch_vccnz .LBB44_11
; %bb.10:
	s_lshl_b64 s[2:3], s[14:15], 6
	v_mul_u32_u24_e32 v14, 0x108, v7
	v_add_co_u32 v5, vcc_lo, v3, s2
	v_add_co_ci_u32_e64 v6, null, s3, v4, vcc_lo
	v_lshl_add_u32 v14, v2, 3, v14
	v_add_co_u32 v8, vcc_lo, v5, s2
	v_add_co_ci_u32_e64 v9, null, s3, v6, vcc_lo
	s_mov_b32 s7, 0
	v_add_co_u32 v10, vcc_lo, v8, s2
	v_add_co_ci_u32_e64 v11, null, s3, v9, vcc_lo
	s_clause 0x3
	flat_load_dwordx2 v[12:13], v[3:4]
	flat_load_dwordx2 v[5:6], v[5:6]
	;; [unrolled: 1-line block ×4, first 2 shown]
	s_waitcnt vmcnt(3) lgkmcnt(3)
	ds_write_b64 v14, v[12:13]
	s_waitcnt vmcnt(2) lgkmcnt(3)
	ds_write_b64 v14, v[5:6] offset:2112
	s_waitcnt vmcnt(1) lgkmcnt(3)
	ds_write_b64 v14, v[8:9] offset:4224
	s_waitcnt vmcnt(0) lgkmcnt(3)
	ds_write_b64 v14, v[10:11] offset:6336
.LBB44_11:
	v_lshlrev_b32_e32 v8, 3, v2
	s_andn2_b32 vcc_lo, exec_lo, s7
	s_cbranch_vccnz .LBB44_29
; %bb.12:
	v_lshlrev_b32_e32 v9, 3, v2
	s_ashr_i32 s21, s20, 31
	v_cmp_le_i32_e64 s2, s20, v7
	s_lshl_b64 s[8:9], s[20:21], 3
	v_mul_u32_u24_e32 v10, 0x108, v7
	v_sub_co_u32 v5, vcc_lo, v3, v9
	v_subrev_co_ci_u32_e64 v6, null, 0, v4, vcc_lo
	v_add_co_u32 v5, vcc_lo, v5, s8
	v_add_co_ci_u32_e64 v6, null, s9, v6, vcc_lo
	v_add_co_u32 v5, vcc_lo, v5, -8
	v_add_co_ci_u32_e64 v6, null, -1, v6, vcc_lo
	v_cmp_gt_i32_e32 vcc_lo, s20, v2
	v_cndmask_b32_e32 v6, v6, v4, vcc_lo
	v_cndmask_b32_e32 v5, v5, v3, vcc_lo
	s_and_saveexec_b32 s3, s2
	s_xor_b32 s2, exec_lo, s3
	s_cbranch_execz .LBB44_14
; %bb.13:
	v_mov_b32_e32 v11, 0
	v_add_nc_u32_e32 v13, v8, v10
	v_mov_b32_e32 v12, v11
	ds_write_b64 v13, v[11:12]
.LBB44_14:
	s_andn2_saveexec_b32 s2, s2
	s_cbranch_execz .LBB44_16
; %bb.15:
	flat_load_dwordx2 v[11:12], v[5:6]
	v_add_nc_u32_e32 v13, v8, v10
	s_waitcnt vmcnt(0) lgkmcnt(0)
	ds_write_b64 v13, v[11:12]
.LBB44_16:
	s_or_b32 exec_lo, exec_lo, s2
	v_add_nc_u32_e32 v11, 8, v7
	v_cmp_le_i32_e64 s2, s20, v11
	s_and_saveexec_b32 s3, s2
	s_xor_b32 s2, exec_lo, s3
	s_cbranch_execz .LBB44_18
; %bb.17:
	v_mov_b32_e32 v11, 0
	v_add_nc_u32_e32 v13, v10, v8
	v_mov_b32_e32 v12, v11
	ds_write_b64 v13, v[11:12] offset:2112
.LBB44_18:
	s_andn2_saveexec_b32 s3, s2
	s_cbranch_execz .LBB44_20
; %bb.19:
	s_lshl_b64 s[24:25], s[14:15], 6
	v_add_nc_u32_e32 v13, v10, v8
	v_add_co_u32 v11, s2, v5, s24
	v_add_co_ci_u32_e64 v12, null, s25, v6, s2
	flat_load_dwordx2 v[11:12], v[11:12]
	s_waitcnt vmcnt(0) lgkmcnt(0)
	ds_write_b64 v13, v[11:12] offset:2112
.LBB44_20:
	s_or_b32 exec_lo, exec_lo, s3
	v_add_nc_u32_e32 v11, 16, v7
	v_cmp_le_i32_e64 s2, s20, v11
	s_and_saveexec_b32 s3, s2
	s_xor_b32 s2, exec_lo, s3
	s_cbranch_execz .LBB44_22
; %bb.21:
	v_mov_b32_e32 v11, 0
	v_add_nc_u32_e32 v13, v10, v8
	v_mov_b32_e32 v12, v11
	ds_write_b64 v13, v[11:12] offset:4224
.LBB44_22:
	s_andn2_saveexec_b32 s3, s2
	s_cbranch_execz .LBB44_24
; %bb.23:
	s_lshl_b64 s[24:25], s[14:15], 7
	v_add_nc_u32_e32 v13, v10, v8
	v_add_co_u32 v11, s2, v5, s24
	v_add_co_ci_u32_e64 v12, null, s25, v6, s2
	flat_load_dwordx2 v[11:12], v[11:12]
	s_waitcnt vmcnt(0) lgkmcnt(0)
	ds_write_b64 v13, v[11:12] offset:4224
.LBB44_24:
	s_or_b32 exec_lo, exec_lo, s3
	v_add_nc_u32_e32 v11, 24, v7
	v_cmp_le_i32_e64 s2, s20, v11
	s_and_saveexec_b32 s3, s2
	s_xor_b32 s2, exec_lo, s3
	s_cbranch_execz .LBB44_26
; %bb.25:
	v_mov_b32_e32 v11, 0
	v_add_nc_u32_e32 v10, v10, v8
	v_mov_b32_e32 v12, v11
	ds_write_b64 v10, v[11:12] offset:6336
                                        ; implicit-def: $vgpr10
.LBB44_26:
	s_andn2_saveexec_b32 s2, s2
	s_cbranch_execz .LBB44_28
; %bb.27:
	v_mad_u64_u32 v[11:12], null, 0xc0, s14, v[5:6]
	v_add_nc_u32_e32 v10, v10, v8
	v_mad_u64_u32 v[12:13], null, 0xc0, s15, v[12:13]
	flat_load_dwordx2 v[11:12], v[11:12]
	s_waitcnt vmcnt(0) lgkmcnt(0)
	ds_write_b64 v10, v[11:12] offset:6336
.LBB44_28:
	s_or_b32 exec_lo, exec_lo, s2
	v_add_co_u32 v5, s2, v5, v9
	v_add_co_ci_u32_e64 v6, null, 0, v6, s2
	v_sub_co_u32 v5, s2, v5, s8
	v_subrev_co_ci_u32_e64 v6, null, s9, v6, s2
	v_add_co_u32 v5, s2, v5, 8
	v_add_co_ci_u32_e64 v6, null, 0, v6, s2
	v_cndmask_b32_e32 v3, v5, v3, vcc_lo
	v_cndmask_b32_e32 v4, v6, v4, vcc_lo
.LBB44_29:
	v_lshlrev_b32_e32 v5, 2, v7
	v_mul_u32_u24_e32 v6, 0x108, v2
	s_mov_b32 s2, 0
	s_waitcnt lgkmcnt(0)
	s_barrier
	v_cmp_ge_u32_e64 s3, v5, v2
	buffer_gl0_inv
                                        ; implicit-def: $vgpr10
	s_and_saveexec_b32 s7, s3
	s_xor_b32 s7, exec_lo, s7
	s_cbranch_execz .LBB44_33
; %bb.30:
	s_mov_b32 s8, exec_lo
                                        ; implicit-def: $vgpr10
	v_cmpx_eq_u32_e64 v5, v2
	s_xor_b32 s8, exec_lo, s8
; %bb.31:
	v_add_nc_u32_e32 v10, v8, v6
	s_mov_b32 s2, exec_lo
; %bb.32:
	s_or_b32 exec_lo, exec_lo, s8
	s_and_b32 s2, s2, exec_lo
.LBB44_33:
	s_or_saveexec_b32 s7, s7
	v_lshl_or_b32 v9, v2, 8, v8
	v_mov_b32_e32 v11, 0
	v_mad_u32_u24 v13, 0x420, v7, v8
	s_xor_b32 exec_lo, exec_lo, s7
	s_cbranch_execz .LBB44_35
; %bb.34:
	ds_read_b64 v[14:15], v13
	v_lshl_add_u32 v10, v5, 3, v9
	s_or_b32 s2, s2, exec_lo
	s_waitcnt lgkmcnt(0)
	v_xor_b32_e32 v11, 0x80000000, v15
	ds_write_b32 v10, v14
.LBB44_35:
	s_or_b32 exec_lo, exec_lo, s7
	s_and_saveexec_b32 s7, s2
; %bb.36:
	ds_write_b32 v10, v11 offset:4
; %bb.37:
	s_or_b32 exec_lo, exec_lo, s7
	v_or_b32_e32 v10, 1, v5
	s_mov_b32 s2, 0
                                        ; implicit-def: $vgpr11
	v_cmp_ge_u32_e64 s7, v10, v2
	s_and_saveexec_b32 s8, s7
	s_xor_b32 s8, exec_lo, s8
	s_cbranch_execz .LBB44_41
; %bb.38:
	s_mov_b32 s9, exec_lo
                                        ; implicit-def: $vgpr11
	v_cmpx_eq_u32_e64 v10, v2
; %bb.39:
	v_add_nc_u32_e32 v11, v8, v6
	s_mov_b32 s2, exec_lo
; %bb.40:
	s_or_b32 exec_lo, exec_lo, s9
	s_and_b32 s2, s2, exec_lo
.LBB44_41:
	s_or_saveexec_b32 s8, s8
	v_mov_b32_e32 v12, 0
	v_mad_u32_u24 v14, 0x108, v10, v8
	s_xor_b32 exec_lo, exec_lo, s8
	s_cbranch_execz .LBB44_43
; %bb.42:
	ds_read_b64 v[15:16], v14
	v_lshl_add_u32 v17, v5, 3, v9
	s_or_b32 s2, s2, exec_lo
	v_add_nc_u32_e32 v11, 8, v17
	s_waitcnt lgkmcnt(0)
	v_xor_b32_e32 v12, 0x80000000, v16
	ds_write_b32 v17, v15 offset:8
.LBB44_43:
	s_or_b32 exec_lo, exec_lo, s8
	s_and_saveexec_b32 s8, s2
; %bb.44:
	ds_write_b32 v11, v12 offset:4
; %bb.45:
	s_or_b32 exec_lo, exec_lo, s8
	v_or_b32_e32 v11, 2, v5
	s_mov_b32 s2, 0
                                        ; implicit-def: $vgpr12
	v_cmp_ge_u32_e64 s8, v11, v2
	s_and_saveexec_b32 s9, s8
	s_xor_b32 s9, exec_lo, s9
	s_cbranch_execnz .LBB44_103
; %bb.46:
	s_or_saveexec_b32 s9, s9
	v_mov_b32_e32 v15, 0
	s_xor_b32 exec_lo, exec_lo, s9
	s_cbranch_execnz .LBB44_106
.LBB44_47:
	s_or_b32 exec_lo, exec_lo, s9
	s_and_saveexec_b32 s9, s2
.LBB44_48:
	ds_write_b32 v12, v15 offset:4
.LBB44_49:
	s_or_b32 exec_lo, exec_lo, s9
	v_or_b32_e32 v12, 3, v5
	s_mov_b32 s2, 0
                                        ; implicit-def: $vgpr15
	v_cmp_ge_u32_e64 s9, v12, v2
	s_and_saveexec_b32 s11, s9
	s_xor_b32 s11, exec_lo, s11
	s_cbranch_execnz .LBB44_107
; %bb.50:
	s_or_saveexec_b32 s11, s11
	v_mov_b32_e32 v16, 0
	s_xor_b32 exec_lo, exec_lo, s11
	s_cbranch_execnz .LBB44_110
.LBB44_51:
	s_or_b32 exec_lo, exec_lo, s11
	s_and_saveexec_b32 s11, s2
.LBB44_52:
	ds_write_b32 v15, v16 offset:4
.LBB44_53:
	s_or_b32 exec_lo, exec_lo, s11
	v_lshlrev_b32_e32 v9, 3, v5
	s_waitcnt lgkmcnt(0)
	s_barrier
	buffer_gl0_inv
	ds_read_b64 v[15:16], v13
	ds_read_b128 v[25:28], v9 offset:9088
	ds_read2_b64 v[29:32], v14 offset1:33
	ds_read_b128 v[36:39], v9 offset:9104
	ds_read_b64 v[13:14], v14 offset:528
	v_mul_u32_u24_e32 v17, 33, v2
	v_cmp_gt_u32_e64 s2, 32, v24
	s_waitcnt lgkmcnt(0)
	s_barrier
	buffer_gl0_inv
	v_mul_f32_e32 v22, v26, v16
	v_mul_f32_e32 v16, v25, v16
	;; [unrolled: 1-line block ×5, first 2 shown]
	v_fma_f32 v22, v25, v15, -v22
	v_fmac_f32_e32 v16, v26, v15
	v_mul_f32_e32 v32, v36, v32
	v_fma_f32 v23, v27, v29, -v23
	v_fmac_f32_e32 v30, v28, v29
	v_add_f32_e32 v22, 0, v22
	v_add_f32_e32 v16, 0, v16
	v_mul_f32_e32 v15, v39, v14
	v_mul_f32_e32 v14, v38, v14
	v_fma_f32 v26, v36, v31, -v33
	v_fmac_f32_e32 v32, v37, v31
	v_add_f32_e32 v22, v22, v23
	v_add_f32_e32 v16, v16, v30
	v_lshlrev_b32_e32 v25, 3, v17
	v_fma_f32 v15, v38, v13, -v15
	v_fmac_f32_e32 v14, v39, v13
	v_add_f32_e32 v13, v22, v26
	v_add_f32_e32 v16, v16, v32
	v_mov_b32_e32 v36, 0
	v_lshl_add_u32 v26, v7, 3, v25
	v_mov_b32_e32 v37, 0
	v_add_f32_e32 v13, v13, v15
	v_add_f32_e32 v14, v16, v14
	ds_write_b64 v26, v[13:14]
	s_waitcnt lgkmcnt(0)
	s_barrier
	buffer_gl0_inv
	s_and_saveexec_b32 s11, s2
	s_cbranch_execz .LBB44_55
; %bb.54:
	ds_read2_b64 v[13:16], v25 offset1:7
	ds_read2_b64 v[27:30], v25 offset0:1 offset1:2
	ds_read2_b64 v[36:39], v25 offset0:3 offset1:4
	;; [unrolled: 1-line block ×3, first 2 shown]
	s_waitcnt lgkmcnt(2)
	v_add_f32_e32 v13, v27, v13
	v_add_f32_e32 v14, v28, v14
	v_add_f32_e32 v13, v29, v13
	v_add_f32_e32 v14, v30, v14
	s_waitcnt lgkmcnt(1)
	v_add_f32_e32 v13, v13, v36
	v_add_f32_e32 v14, v14, v37
	v_add_f32_e32 v13, v13, v38
	v_add_f32_e32 v14, v14, v39
	;; [unrolled: 5-line block ×3, first 2 shown]
	v_add_f32_e32 v36, v13, v15
	v_add_f32_e32 v37, v14, v16
.LBB44_55:
	s_or_b32 exec_lo, exec_lo, s11
	s_lshl_b64 s[24:25], s[14:15], 8
	v_cndmask_b32_e64 v13, 0, 1, s10
	v_add_co_u32 v3, vcc_lo, v3, s24
	v_add_co_ci_u32_e64 v4, null, s25, v4, vcc_lo
	v_add_co_u32 v14, vcc_lo, 0x100, v3
	v_add_co_ci_u32_e64 v15, null, 0, v4, vcc_lo
	s_andn2_b32 vcc_lo, exec_lo, s10
	s_mov_b32 s10, -1
	s_barrier
	buffer_gl0_inv
	s_cbranch_vccnz .LBB44_57
; %bb.56:
	s_lshl_b64 s[10:11], s[14:15], 6
	v_mad_u32_u24 v31, 0x108, v7, v8
	v_add_co_u32 v16, vcc_lo, v3, s10
	v_add_co_ci_u32_e64 v17, null, s11, v4, vcc_lo
	v_add_co_u32 v22, vcc_lo, v16, s10
	v_add_co_ci_u32_e64 v23, null, s11, v17, vcc_lo
	v_add_co_u32 v27, vcc_lo, v22, s10
	v_add_co_ci_u32_e64 v28, null, s11, v23, vcc_lo
	s_clause 0x3
	flat_load_dwordx2 v[29:30], v[3:4] offset:256
	flat_load_dwordx2 v[16:17], v[16:17] offset:256
	;; [unrolled: 1-line block ×4, first 2 shown]
	s_mov_b32 s10, 0
	s_waitcnt vmcnt(3) lgkmcnt(3)
	ds_write_b64 v31, v[29:30]
	s_waitcnt vmcnt(2) lgkmcnt(3)
	ds_write_b64 v31, v[16:17] offset:2112
	s_waitcnt vmcnt(1) lgkmcnt(3)
	ds_write_b64 v31, v[22:23] offset:4224
	;; [unrolled: 2-line block ×3, first 2 shown]
.LBB44_57:
	s_andn2_b32 vcc_lo, exec_lo, s10
	s_cbranch_vccnz .LBB44_75
; %bb.58:
	v_lshlrev_b32_e32 v16, 3, v2
	s_ashr_i32 s21, s20, 31
	v_or_b32_e32 v17, 32, v2
	s_lshl_b64 s[24:25], s[20:21], 3
	s_sub_i32 s11, s20, 32
	v_sub_co_u32 v3, vcc_lo, v3, v16
	v_subrev_co_ci_u32_e64 v4, null, 0, v4, vcc_lo
	v_cmp_le_i32_e64 s10, s11, v7
	v_add_co_u32 v3, vcc_lo, v3, s24
	v_add_co_ci_u32_e64 v4, null, s25, v4, vcc_lo
	v_add_co_u32 v3, vcc_lo, v3, -8
	v_add_co_ci_u32_e64 v4, null, -1, v4, vcc_lo
	v_cmp_gt_i32_e32 vcc_lo, s20, v17
	v_mul_u32_u24_e32 v17, 0x108, v7
	v_cndmask_b32_e32 v4, v4, v15, vcc_lo
	v_cndmask_b32_e32 v3, v3, v14, vcc_lo
	s_and_saveexec_b32 s21, s10
	s_xor_b32 s10, exec_lo, s21
	s_cbranch_execz .LBB44_60
; %bb.59:
	v_mov_b32_e32 v22, 0
	v_add_nc_u32_e32 v27, v8, v17
	v_mov_b32_e32 v23, v22
	ds_write_b64 v27, v[22:23]
.LBB44_60:
	s_andn2_saveexec_b32 s10, s10
	s_cbranch_execz .LBB44_62
; %bb.61:
	flat_load_dwordx2 v[22:23], v[3:4]
	v_add_nc_u32_e32 v27, v8, v17
	s_waitcnt vmcnt(0) lgkmcnt(0)
	ds_write_b64 v27, v[22:23]
.LBB44_62:
	s_or_b32 exec_lo, exec_lo, s10
	v_add_nc_u32_e32 v22, 8, v7
	v_cmp_le_i32_e64 s10, s11, v22
	s_and_saveexec_b32 s21, s10
	s_xor_b32 s10, exec_lo, s21
	s_cbranch_execz .LBB44_64
; %bb.63:
	v_mov_b32_e32 v22, 0
	v_add_nc_u32_e32 v27, v17, v8
	v_mov_b32_e32 v23, v22
	ds_write_b64 v27, v[22:23] offset:2112
.LBB44_64:
	s_andn2_saveexec_b32 s21, s10
	s_cbranch_execz .LBB44_66
; %bb.65:
	s_lshl_b64 s[30:31], s[14:15], 6
	v_add_nc_u32_e32 v27, v17, v8
	v_add_co_u32 v22, s10, v3, s30
	v_add_co_ci_u32_e64 v23, null, s31, v4, s10
	flat_load_dwordx2 v[22:23], v[22:23]
	s_waitcnt vmcnt(0) lgkmcnt(0)
	ds_write_b64 v27, v[22:23] offset:2112
.LBB44_66:
	s_or_b32 exec_lo, exec_lo, s21
	v_add_nc_u32_e32 v22, 16, v7
	v_cmp_le_i32_e64 s10, s11, v22
	s_and_saveexec_b32 s21, s10
	s_xor_b32 s10, exec_lo, s21
	s_cbranch_execz .LBB44_68
; %bb.67:
	v_mov_b32_e32 v22, 0
	v_add_nc_u32_e32 v27, v17, v8
	v_mov_b32_e32 v23, v22
	ds_write_b64 v27, v[22:23] offset:4224
.LBB44_68:
	s_andn2_saveexec_b32 s21, s10
	s_cbranch_execz .LBB44_70
; %bb.69:
	s_lshl_b64 s[30:31], s[14:15], 7
	v_add_nc_u32_e32 v27, v17, v8
	v_add_co_u32 v22, s10, v3, s30
	v_add_co_ci_u32_e64 v23, null, s31, v4, s10
	flat_load_dwordx2 v[22:23], v[22:23]
	s_waitcnt vmcnt(0) lgkmcnt(0)
	ds_write_b64 v27, v[22:23] offset:4224
.LBB44_70:
	s_or_b32 exec_lo, exec_lo, s21
	v_add_nc_u32_e32 v22, 24, v7
	v_cmp_le_i32_e64 s10, s11, v22
	s_and_saveexec_b32 s11, s10
	s_xor_b32 s10, exec_lo, s11
	s_cbranch_execz .LBB44_72
; %bb.71:
	v_mov_b32_e32 v22, 0
	v_add_nc_u32_e32 v17, v17, v8
	v_mov_b32_e32 v23, v22
	ds_write_b64 v17, v[22:23] offset:6336
                                        ; implicit-def: $vgpr17
.LBB44_72:
	s_andn2_saveexec_b32 s10, s10
	s_cbranch_execz .LBB44_74
; %bb.73:
	v_mad_u64_u32 v[22:23], null, 0xc0, s14, v[3:4]
	v_add_nc_u32_e32 v17, v17, v8
	v_mad_u64_u32 v[27:28], null, 0xc0, s15, v[23:24]
	v_mov_b32_e32 v23, v27
	flat_load_dwordx2 v[22:23], v[22:23]
	s_waitcnt vmcnt(0) lgkmcnt(0)
	ds_write_b64 v17, v[22:23] offset:6336
.LBB44_74:
	s_or_b32 exec_lo, exec_lo, s10
	v_add_co_u32 v3, s10, v3, v16
	v_add_co_ci_u32_e64 v4, null, 0, v4, s10
	v_sub_co_u32 v3, s10, v3, s24
	v_subrev_co_ci_u32_e64 v4, null, s25, v4, s10
	v_add_co_u32 v3, s10, 0x108, v3
	v_add_co_ci_u32_e64 v4, null, 0, v4, s10
	v_cndmask_b32_e32 v14, v3, v14, vcc_lo
	v_cndmask_b32_e32 v15, v4, v15, vcc_lo
.LBB44_75:
	v_mul_u32_u24_e32 v3, 0x420, v7
	v_add_nc_u32_e32 v9, 0x2380, v9
	v_mul_u32_u24_e32 v4, 0x108, v10
	s_lshl_b64 s[10:11], s[14:15], 5
	s_mov_b32 s21, 0
	s_waitcnt lgkmcnt(0)
	s_barrier
	buffer_gl0_inv
                                        ; implicit-def: $vgpr16
	s_and_saveexec_b32 s24, s3
	s_xor_b32 s3, exec_lo, s24
	s_cbranch_execz .LBB44_79
; %bb.76:
	s_mov_b32 s24, exec_lo
                                        ; implicit-def: $vgpr16
	v_cmpx_eq_u32_e64 v5, v2
	s_xor_b32 s24, exec_lo, s24
; %bb.77:
	s_mov_b32 s21, exec_lo
	v_add_nc_u32_e32 v16, v8, v6
; %bb.78:
	s_or_b32 exec_lo, exec_lo, s24
	s_and_b32 s21, s21, exec_lo
.LBB44_79:
	s_or_saveexec_b32 s3, s3
	v_mov_b32_e32 v17, 0
	v_add_nc_u32_e32 v3, v8, v3
	s_xor_b32 exec_lo, exec_lo, s3
	s_cbranch_execz .LBB44_81
; %bb.80:
	ds_read_b64 v[22:23], v3
	v_lshl_add_u32 v16, v5, 3, v25
	s_or_b32 s21, s21, exec_lo
	s_waitcnt lgkmcnt(0)
	v_xor_b32_e32 v17, 0x80000000, v23
	ds_write_b32 v16, v22
.LBB44_81:
	s_or_b32 exec_lo, exec_lo, s3
	s_and_saveexec_b32 s3, s21
; %bb.82:
	ds_write_b32 v16, v17 offset:4
; %bb.83:
	s_or_b32 exec_lo, exec_lo, s3
	s_mov_b32 s3, 0
                                        ; implicit-def: $vgpr16
	s_and_saveexec_b32 s21, s7
	s_xor_b32 s7, exec_lo, s21
	s_cbranch_execz .LBB44_87
; %bb.84:
	s_mov_b32 s21, exec_lo
                                        ; implicit-def: $vgpr16
	v_cmpx_eq_u32_e64 v10, v2
; %bb.85:
	v_add_nc_u32_e32 v16, v8, v6
	s_mov_b32 s3, exec_lo
; %bb.86:
	s_or_b32 exec_lo, exec_lo, s21
	s_and_b32 s3, s3, exec_lo
.LBB44_87:
	s_or_saveexec_b32 s7, s7
	v_mov_b32_e32 v10, 0
	v_add_nc_u32_e32 v4, v8, v4
	s_xor_b32 exec_lo, exec_lo, s7
	s_cbranch_execz .LBB44_89
; %bb.88:
	ds_read_b64 v[22:23], v4
	v_lshl_add_u32 v17, v5, 3, v25
	s_or_b32 s3, s3, exec_lo
	v_add_nc_u32_e32 v16, 8, v17
	s_waitcnt lgkmcnt(0)
	v_xor_b32_e32 v10, 0x80000000, v23
	ds_write_b32 v17, v22 offset:8
.LBB44_89:
	s_or_b32 exec_lo, exec_lo, s7
	s_and_saveexec_b32 s7, s3
; %bb.90:
	ds_write_b32 v16, v10 offset:4
; %bb.91:
	s_or_b32 exec_lo, exec_lo, s7
	s_mov_b32 s3, 0
                                        ; implicit-def: $vgpr10
	s_and_saveexec_b32 s7, s8
	s_xor_b32 s7, exec_lo, s7
	s_cbranch_execnz .LBB44_111
; %bb.92:
	s_or_saveexec_b32 s7, s7
	v_mov_b32_e32 v11, 0
	s_xor_b32 exec_lo, exec_lo, s7
	s_cbranch_execnz .LBB44_114
.LBB44_93:
	s_or_b32 exec_lo, exec_lo, s7
	s_and_saveexec_b32 s7, s3
.LBB44_94:
	ds_write_b32 v10, v11 offset:4
.LBB44_95:
	s_or_b32 exec_lo, exec_lo, s7
	s_mov_b32 s3, 0
                                        ; implicit-def: $vgpr10
	s_and_saveexec_b32 s7, s9
	s_xor_b32 s7, exec_lo, s7
	s_cbranch_execnz .LBB44_115
; %bb.96:
	s_or_saveexec_b32 s7, s7
	v_mov_b32_e32 v6, 0
	s_xor_b32 exec_lo, exec_lo, s7
	s_cbranch_execnz .LBB44_118
.LBB44_97:
	s_or_b32 exec_lo, exec_lo, s7
	s_and_saveexec_b32 s7, s3
.LBB44_98:
	ds_write_b32 v10, v6 offset:4
.LBB44_99:
	s_or_b32 exec_lo, exec_lo, s7
	s_waitcnt lgkmcnt(0)
	s_barrier
	buffer_gl0_inv
	ds_read_b64 v[10:11], v3
	ds_read_b128 v[27:30], v9 offset:256
	ds_read2_b64 v[38:41], v4 offset1:33
	ds_read_b128 v[42:45], v9 offset:272
	ds_read_b64 v[3:4], v4 offset:528
	v_cmp_eq_u32_e64 s3, 1, v7
	s_waitcnt lgkmcnt(0)
	s_barrier
	buffer_gl0_inv
	v_mul_f32_e32 v6, v28, v11
	v_mul_f32_e32 v11, v27, v11
	;; [unrolled: 1-line block ×5, first 2 shown]
	v_fma_f32 v6, v27, v10, -v6
	v_fmac_f32_e32 v11, v28, v10
	v_mul_f32_e32 v22, v42, v41
	v_fma_f32 v12, v29, v38, -v12
	v_fmac_f32_e32 v16, v30, v38
	v_add_f32_e32 v6, 0, v6
	v_add_f32_e32 v11, 0, v11
	v_mul_f32_e32 v10, v45, v4
	v_mul_f32_e32 v4, v44, v4
	v_fma_f32 v17, v42, v40, -v17
	v_fmac_f32_e32 v22, v43, v40
	v_add_f32_e32 v6, v6, v12
	v_add_f32_e32 v11, v11, v16
	v_fma_f32 v10, v44, v3, -v10
	v_fmac_f32_e32 v4, v45, v3
	v_add_f32_e32 v3, v6, v17
	v_add_f32_e32 v6, v11, v22
	;; [unrolled: 1-line block ×4, first 2 shown]
	ds_write_b64 v26, v[3:4]
	s_waitcnt lgkmcnt(0)
	s_barrier
	buffer_gl0_inv
	s_and_saveexec_b32 s7, s3
	s_cbranch_execz .LBB44_101
; %bb.100:
	ds_read2_b64 v[27:30], v25 offset1:7
	ds_read2_b64 v[36:39], v25 offset0:1 offset1:2
	ds_read2_b64 v[40:43], v25 offset0:3 offset1:4
	;; [unrolled: 1-line block ×3, first 2 shown]
	s_waitcnt lgkmcnt(2)
	v_add_f32_e32 v3, v36, v27
	v_add_f32_e32 v4, v37, v28
	v_add_f32_e32 v3, v38, v3
	v_add_f32_e32 v4, v39, v4
	s_waitcnt lgkmcnt(1)
	v_add_f32_e32 v3, v3, v40
	v_add_f32_e32 v4, v4, v41
	v_add_f32_e32 v3, v3, v42
	v_add_f32_e32 v4, v4, v43
	;; [unrolled: 5-line block ×3, first 2 shown]
	v_add_f32_e32 v36, v3, v29
	v_add_f32_e32 v37, v4, v30
.LBB44_101:
	s_or_b32 exec_lo, exec_lo, s7
	s_lshl_b64 s[8:9], s[10:11], 3
	v_cmp_ne_u32_e32 vcc_lo, 1, v13
	v_sub_co_u32 v22, s7, v14, s8
	v_subrev_co_ci_u32_e64 v23, null, s9, v15, s7
	s_barrier
	buffer_gl0_inv
	s_cbranch_vccnz .LBB44_119
; %bb.102:
	s_lshl_b64 s[8:9], s[14:15], 6
	flat_load_dwordx2 v[10:11], v[22:23]
	v_add_co_u32 v3, vcc_lo, v22, s8
	v_add_co_ci_u32_e64 v4, null, s9, v23, vcc_lo
	s_movk_i32 s7, 0x840
	v_add_co_u32 v12, vcc_lo, v3, s8
	v_add_co_ci_u32_e64 v13, null, s9, v4, vcc_lo
	v_mul_u32_u24_e32 v6, 0x108, v7
	v_add_co_u32 v14, vcc_lo, v12, s8
	v_add_co_ci_u32_e64 v15, null, s9, v13, vcc_lo
	s_movk_i32 s8, 0x1080
	s_clause 0x2
	flat_load_dwordx2 v[16:17], v[3:4]
	flat_load_dwordx2 v[27:28], v[12:13]
	;; [unrolled: 1-line block ×3, first 2 shown]
	v_mad_u32_u24 v4, 0x108, v7, s7
	s_movk_i32 s7, 0x18c0
	v_mad_u32_u24 v12, 0x108, v7, v8
	v_mad_u32_u24 v13, 0x108, v7, s7
	;; [unrolled: 1-line block ×3, first 2 shown]
	v_add_nc_u32_e32 v29, v8, v4
	v_add_nc_u32_e32 v31, v8, v13
	;; [unrolled: 1-line block ×3, first 2 shown]
	s_waitcnt vmcnt(3) lgkmcnt(3)
	ds_write_b64 v12, v[10:11]
	v_add_nc_u32_e32 v10, 8, v7
	v_add_nc_u32_e32 v11, 16, v7
	;; [unrolled: 1-line block ×3, first 2 shown]
	s_waitcnt vmcnt(2) lgkmcnt(3)
	ds_write_b64 v29, v[16:17]
	s_waitcnt vmcnt(1) lgkmcnt(3)
	ds_write_b64 v30, v[27:28]
	s_waitcnt vmcnt(0) lgkmcnt(3)
	ds_write_b64 v31, v[14:15]
	s_cbranch_execz .LBB44_120
	s_branch .LBB44_137
.LBB44_103:
	s_mov_b32 s11, exec_lo
                                        ; implicit-def: $vgpr12
	v_cmpx_eq_u32_e64 v11, v2
; %bb.104:
	v_add_nc_u32_e32 v12, v8, v6
	s_mov_b32 s2, exec_lo
; %bb.105:
	s_or_b32 exec_lo, exec_lo, s11
	s_and_b32 s2, s2, exec_lo
	s_or_saveexec_b32 s9, s9
	v_mov_b32_e32 v15, 0
	s_xor_b32 exec_lo, exec_lo, s9
	s_cbranch_execz .LBB44_47
.LBB44_106:
	v_mad_u32_u24 v12, 0x108, v11, v8
	v_lshl_add_u32 v22, v5, 3, v9
	s_or_b32 s2, s2, exec_lo
	ds_read_b64 v[16:17], v12
	v_add_nc_u32_e32 v12, 16, v22
	s_waitcnt lgkmcnt(0)
	v_xor_b32_e32 v15, 0x80000000, v17
	ds_write_b32 v22, v16 offset:16
	s_or_b32 exec_lo, exec_lo, s9
	s_and_saveexec_b32 s9, s2
	s_cbranch_execnz .LBB44_48
	s_branch .LBB44_49
.LBB44_107:
	s_mov_b32 s21, exec_lo
                                        ; implicit-def: $vgpr15
	v_cmpx_eq_u32_e64 v12, v2
; %bb.108:
	v_add_nc_u32_e32 v15, v8, v6
	s_mov_b32 s2, exec_lo
; %bb.109:
	s_or_b32 exec_lo, exec_lo, s21
	s_and_b32 s2, s2, exec_lo
                                        ; implicit-def: $vgpr9
	s_or_saveexec_b32 s11, s11
	v_mov_b32_e32 v16, 0
	s_xor_b32 exec_lo, exec_lo, s11
	s_cbranch_execz .LBB44_51
.LBB44_110:
	v_mad_u32_u24 v15, 0x108, v12, v8
	v_lshl_add_u32 v9, v5, 3, v9
	s_or_b32 s2, s2, exec_lo
	ds_read_b64 v[22:23], v15
	v_add_nc_u32_e32 v15, 24, v9
	s_waitcnt lgkmcnt(0)
	v_xor_b32_e32 v16, 0x80000000, v23
	ds_write_b32 v9, v22 offset:24
	s_or_b32 exec_lo, exec_lo, s11
	s_and_saveexec_b32 s11, s2
	s_cbranch_execnz .LBB44_52
	s_branch .LBB44_53
.LBB44_111:
	s_mov_b32 s8, exec_lo
                                        ; implicit-def: $vgpr10
	v_cmpx_eq_u32_e64 v11, v2
; %bb.112:
	v_add_nc_u32_e32 v10, v8, v6
	s_mov_b32 s3, exec_lo
; %bb.113:
	s_or_b32 exec_lo, exec_lo, s8
	s_and_b32 s3, s3, exec_lo
	s_or_saveexec_b32 s7, s7
	v_mov_b32_e32 v11, 0
	s_xor_b32 exec_lo, exec_lo, s7
	s_cbranch_execz .LBB44_93
.LBB44_114:
	ds_read_b64 v[16:17], v4 offset:264
	v_lshl_add_u32 v22, v5, 3, v25
	s_or_b32 s3, s3, exec_lo
	v_add_nc_u32_e32 v10, 16, v22
	s_waitcnt lgkmcnt(0)
	v_xor_b32_e32 v11, 0x80000000, v17
	ds_write_b32 v22, v16 offset:16
	s_or_b32 exec_lo, exec_lo, s7
	s_and_saveexec_b32 s7, s3
	s_cbranch_execnz .LBB44_94
	s_branch .LBB44_95
.LBB44_115:
	s_mov_b32 s8, exec_lo
                                        ; implicit-def: $vgpr10
	v_cmpx_eq_u32_e64 v12, v2
; %bb.116:
	v_add_nc_u32_e32 v10, v8, v6
	s_mov_b32 s3, exec_lo
; %bb.117:
	s_or_b32 exec_lo, exec_lo, s8
	s_and_b32 s3, s3, exec_lo
	s_or_saveexec_b32 s7, s7
	v_mov_b32_e32 v6, 0
	s_xor_b32 exec_lo, exec_lo, s7
	s_cbranch_execz .LBB44_97
.LBB44_118:
	ds_read_b64 v[11:12], v4 offset:528
	v_lshl_add_u32 v16, v5, 3, v25
	s_or_b32 s3, s3, exec_lo
	v_add_nc_u32_e32 v10, 24, v16
	s_waitcnt lgkmcnt(0)
	v_xor_b32_e32 v6, 0x80000000, v12
	ds_write_b32 v16, v11 offset:24
	s_or_b32 exec_lo, exec_lo, s7
	s_and_saveexec_b32 s7, s3
	s_cbranch_execnz .LBB44_98
	s_branch .LBB44_99
.LBB44_119:
                                        ; implicit-def: $vgpr6
                                        ; implicit-def: $vgpr10
                                        ; implicit-def: $vgpr4
                                        ; implicit-def: $vgpr11
                                        ; implicit-def: $vgpr3
                                        ; implicit-def: $vgpr12
                                        ; implicit-def: $vgpr13
.LBB44_120:
	v_or_b32_e32 v3, 32, v2
	s_ashr_i32 s21, s20, 31
	v_cmp_le_i32_e64 s7, s20, v7
	s_lshl_b64 s[8:9], s[20:21], 3
	v_lshlrev_b32_e32 v4, 3, v3
	v_sub_co_u32 v4, vcc_lo, v22, v4
	v_subrev_co_ci_u32_e64 v6, null, 0, v23, vcc_lo
	v_add_co_u32 v4, vcc_lo, v4, s8
	v_add_co_ci_u32_e64 v6, null, s9, v6, vcc_lo
	v_add_co_u32 v10, vcc_lo, v4, -8
	v_add_co_ci_u32_e64 v4, null, -1, v6, vcc_lo
	v_cmp_gt_i32_e32 vcc_lo, s20, v3
	v_mul_u32_u24_e32 v6, 0x108, v7
	v_cndmask_b32_e32 v4, v4, v23, vcc_lo
	v_cndmask_b32_e32 v3, v10, v22, vcc_lo
	s_and_saveexec_b32 s10, s7
	s_xor_b32 s7, exec_lo, s10
	s_cbranch_execz .LBB44_122
; %bb.121:
	v_mov_b32_e32 v10, 0
	v_add_nc_u32_e32 v12, v8, v6
	v_mov_b32_e32 v11, v10
	ds_write_b64 v12, v[10:11]
.LBB44_122:
	s_andn2_saveexec_b32 s7, s7
	s_cbranch_execz .LBB44_124
; %bb.123:
	flat_load_dwordx2 v[10:11], v[3:4]
	v_add_nc_u32_e32 v12, v8, v6
	s_waitcnt vmcnt(0) lgkmcnt(0)
	ds_write_b64 v12, v[10:11]
.LBB44_124:
	s_or_b32 exec_lo, exec_lo, s7
	v_add_nc_u32_e32 v10, 8, v7
	v_cmp_le_i32_e64 s7, s20, v10
	s_and_saveexec_b32 s10, s7
	s_xor_b32 s7, exec_lo, s10
	s_cbranch_execz .LBB44_126
; %bb.125:
	v_mov_b32_e32 v11, 0
	v_add_nc_u32_e32 v13, v6, v8
	v_mov_b32_e32 v12, v11
	ds_write_b64 v13, v[11:12] offset:2112
.LBB44_126:
	s_andn2_saveexec_b32 s10, s7
	s_cbranch_execz .LBB44_128
; %bb.127:
	s_lshl_b64 s[24:25], s[14:15], 6
	v_add_nc_u32_e32 v13, v6, v8
	v_add_co_u32 v11, s7, v3, s24
	v_add_co_ci_u32_e64 v12, null, s25, v4, s7
	flat_load_dwordx2 v[11:12], v[11:12]
	s_waitcnt vmcnt(0) lgkmcnt(0)
	ds_write_b64 v13, v[11:12] offset:2112
.LBB44_128:
	s_or_b32 exec_lo, exec_lo, s10
	v_add_nc_u32_e32 v11, 16, v7
	v_cmp_le_i32_e64 s7, s20, v11
	s_and_saveexec_b32 s10, s7
	s_xor_b32 s7, exec_lo, s10
	s_cbranch_execz .LBB44_130
; %bb.129:
	v_mov_b32_e32 v12, 0
	v_add_nc_u32_e32 v14, v6, v8
	v_mov_b32_e32 v13, v12
	ds_write_b64 v14, v[12:13] offset:4224
.LBB44_130:
	s_andn2_saveexec_b32 s10, s7
	s_cbranch_execz .LBB44_132
; %bb.131:
	s_lshl_b64 s[24:25], s[14:15], 7
	v_add_nc_u32_e32 v14, v6, v8
	v_add_co_u32 v12, s7, v3, s24
	v_add_co_ci_u32_e64 v13, null, s25, v4, s7
	flat_load_dwordx2 v[12:13], v[12:13]
	s_waitcnt vmcnt(0) lgkmcnt(0)
	ds_write_b64 v14, v[12:13] offset:4224
.LBB44_132:
	s_or_b32 exec_lo, exec_lo, s10
	v_add_nc_u32_e32 v12, 24, v7
                                        ; implicit-def: $vgpr13
	v_cmp_le_i32_e64 s7, s20, v12
	s_and_saveexec_b32 s10, s7
	s_xor_b32 s7, exec_lo, s10
	s_cbranch_execz .LBB44_134
; %bb.133:
	v_add_nc_u32_e32 v13, 0x18c0, v6
	v_mov_b32_e32 v14, 0
	v_add_nc_u32_e32 v16, v8, v13
	v_mov_b32_e32 v15, v14
	ds_write_b64 v16, v[14:15]
.LBB44_134:
	s_andn2_saveexec_b32 s7, s7
	s_cbranch_execz .LBB44_136
; %bb.135:
	v_mad_u64_u32 v[13:14], null, 0xc0, s14, v[3:4]
	v_mad_u64_u32 v[14:15], null, 0xc0, s15, v[14:15]
	flat_load_dwordx2 v[14:15], v[13:14]
	v_add_nc_u32_e32 v13, 0x18c0, v6
	v_add_nc_u32_e32 v16, v8, v13
	s_waitcnt vmcnt(0) lgkmcnt(0)
	ds_write_b64 v16, v[14:15]
.LBB44_136:
	s_or_b32 exec_lo, exec_lo, s7
	v_lshlrev_b32_e32 v2, 3, v2
	v_add_co_u32 v2, s7, v3, v2
	v_add_co_ci_u32_e64 v3, null, 0, v4, s7
	v_add_nc_u32_e32 v4, 0x840, v6
	v_sub_co_u32 v2, s7, v2, s8
	v_subrev_co_ci_u32_e64 v3, null, s9, v3, s7
	v_add_co_u32 v2, s7, 0x108, v2
	v_add_co_ci_u32_e64 v3, null, 0, v3, s7
	v_cndmask_b32_e32 v22, v2, v22, vcc_lo
	v_cndmask_b32_e32 v23, v3, v23, vcc_lo
	v_add_nc_u32_e32 v3, 0x1080, v6
.LBB44_137:
	v_add_nc_u32_e32 v2, v8, v6
	v_lshlrev_b32_e32 v6, 3, v7
	v_add_nc_u32_e32 v4, v8, v4
	v_lshlrev_b32_e32 v7, 3, v10
	v_add_nc_u32_e32 v3, v8, v3
	s_waitcnt lgkmcnt(0)
	s_barrier
	buffer_gl0_inv
	v_lshlrev_b32_e32 v10, 3, v11
	v_add_nc_u32_e32 v8, v8, v13
	v_lshlrev_b32_e32 v11, 3, v12
	ds_read_b64 v[27:28], v2
	ds_read_b64 v[29:30], v6 offset:9088
	ds_read_b64 v[31:32], v4
	ds_read_b64 v[38:39], v7 offset:9088
	ds_read_b64 v[40:41], v3
	ds_read_b64 v[42:43], v10 offset:9088
	ds_read2_b32 v[44:45], v8 offset1:1
	ds_read_b64 v[46:47], v11 offset:9088
	v_lshl_add_u32 v6, v5, 3, v25
	ds_read_b128 v[10:13], v9 offset:256
	ds_read_b128 v[2:5], v9 offset:272
	ds_read2_b64 v[14:17], v6 offset1:1
	ds_read2_b64 v[6:9], v6 offset0:2 offset1:3
	s_waitcnt lgkmcnt(0)
	s_barrier
	buffer_gl0_inv
	v_mul_f32_e32 v33, v30, v28
	v_mul_f32_e32 v28, v29, v28
	v_mul_f32_e32 v48, v39, v32
	v_mul_f32_e32 v32, v38, v32
	v_mul_f32_e32 v49, v43, v41
	v_fma_f32 v29, v29, v27, -v33
	v_fmac_f32_e32 v28, v30, v27
	v_mul_f32_e32 v27, v42, v41
	v_fma_f32 v30, v38, v31, -v48
	v_fmac_f32_e32 v32, v39, v31
	v_add_f32_e32 v29, 0, v29
	v_add_f32_e32 v28, 0, v28
	v_mul_f32_e32 v50, v47, v45
	v_mul_f32_e32 v31, v46, v45
	v_fma_f32 v33, v42, v40, -v49
	v_fmac_f32_e32 v27, v43, v40
	v_add_f32_e32 v29, v29, v30
	v_add_f32_e32 v28, v28, v32
	v_fma_f32 v30, v46, v44, -v50
	v_fmac_f32_e32 v31, v47, v44
	v_add_f32_e32 v29, v29, v33
	v_add_f32_e32 v28, v28, v27
	v_add_f32_e32 v27, v29, v30
	v_add_f32_e32 v28, v28, v31
	ds_write_b64 v26, v[27:28]
	s_waitcnt lgkmcnt(0)
	s_barrier
	buffer_gl0_inv
	s_and_saveexec_b32 s7, s3
	s_cbranch_execz .LBB44_139
; %bb.138:
	ds_read2_b64 v[27:30], v25 offset1:1
	ds_read2_b64 v[38:41], v25 offset0:2 offset1:3
	ds_read2_b64 v[42:45], v25 offset0:4 offset1:5
	s_waitcnt lgkmcnt(2)
	v_add_f32_e32 v27, v36, v27
	v_add_f32_e32 v28, v37, v28
	;; [unrolled: 1-line block ×4, first 2 shown]
	ds_read2_b64 v[27:30], v25 offset0:6 offset1:7
	s_waitcnt lgkmcnt(2)
	v_add_f32_e32 v31, v31, v38
	v_add_f32_e32 v32, v32, v39
	v_add_f32_e32 v31, v31, v40
	v_add_f32_e32 v32, v32, v41
	s_waitcnt lgkmcnt(1)
	v_add_f32_e32 v31, v31, v42
	v_add_f32_e32 v32, v32, v43
	v_add_f32_e32 v31, v31, v44
	v_add_f32_e32 v32, v32, v45
	;; [unrolled: 5-line block ×3, first 2 shown]
.LBB44_139:
	s_or_b32 exec_lo, exec_lo, s7
	v_mul_f32_e32 v27, v15, v11
	v_mul_f32_e32 v15, v15, v10
	v_mul_f32_e32 v28, v17, v13
	v_mul_f32_e32 v17, v17, v12
	v_mul_f32_e32 v29, v7, v3
	v_fmac_f32_e32 v27, v14, v10
	v_fma_f32 v10, v14, v11, -v15
	v_mul_f32_e32 v7, v7, v2
	v_fmac_f32_e32 v28, v16, v12
	v_fma_f32 v13, v16, v13, -v17
	v_add_f32_e32 v12, 0, v27
	v_add_f32_e32 v10, 0, v10
	v_mul_f32_e32 v11, v9, v5
	v_mul_f32_e32 v9, v9, v4
	v_fmac_f32_e32 v29, v6, v2
	v_add_f32_e32 v2, v12, v28
	v_fma_f32 v3, v6, v3, -v7
	v_add_f32_e32 v6, v10, v13
	v_fmac_f32_e32 v11, v8, v4
	v_fma_f32 v4, v8, v5, -v9
	v_add_f32_e32 v2, v2, v29
	v_add_f32_e32 v3, v6, v3
	s_barrier
	buffer_gl0_inv
	v_add_f32_e32 v2, v2, v11
	v_add_f32_e32 v3, v3, v4
	ds_write_b64 v26, v[2:3]
	s_waitcnt lgkmcnt(0)
	s_barrier
	buffer_gl0_inv
	s_and_saveexec_b32 s3, s2
	s_cbranch_execz .LBB44_141
; %bb.140:
	ds_read2_b64 v[2:5], v25 offset1:1
	ds_read2_b64 v[6:9], v25 offset0:2 offset1:3
	ds_read2_b64 v[10:13], v25 offset0:4 offset1:5
	s_waitcnt lgkmcnt(2)
	v_add_f32_e32 v2, v36, v2
	v_add_f32_e32 v3, v37, v3
	;; [unrolled: 1-line block ×4, first 2 shown]
	ds_read2_b64 v[2:5], v25 offset0:6 offset1:7
	s_waitcnt lgkmcnt(2)
	v_add_f32_e32 v6, v14, v6
	v_add_f32_e32 v7, v15, v7
	v_add_f32_e32 v6, v6, v8
	v_add_f32_e32 v7, v7, v9
	s_waitcnt lgkmcnt(1)
	v_add_f32_e32 v6, v6, v10
	v_add_f32_e32 v7, v7, v11
	v_add_f32_e32 v6, v6, v12
	v_add_f32_e32 v7, v7, v13
	;; [unrolled: 5-line block ×3, first 2 shown]
.LBB44_141:
	s_or_b32 exec_lo, exec_lo, s3
	s_load_dwordx2 s[2:3], s[4:5], 0x68
	s_mul_hi_u32 s4, s17, s16
	s_mul_i32 s27, s27, s16
	s_mul_i32 s5, s17, s16
	s_add_i32 s4, s4, s27
	s_mul_hi_u32 s7, s5, s26
	s_mul_i32 s8, s4, s26
	s_mul_i32 s4, s5, s26
	s_add_i32 s5, s7, s8
	s_mul_i32 s8, s17, s6
	s_lshl_b64 s[4:5], s[4:5], 3
	v_cmp_le_i32_e32 vcc_lo, s20, v0
	v_lshlrev_b32_e32 v74, 3, v0
	s_waitcnt lgkmcnt(0)
	s_barrier
	buffer_gl0_inv
	s_add_u32 s4, s2, s4
	s_addc_u32 s5, s3, s5
	s_ashr_i32 s9, s8, 31
	s_lshl_b64 s[2:3], s[8:9], 3
	s_add_u32 s7, s4, s2
	s_addc_u32 s8, s5, s3
	s_and_b32 vcc_lo, s28, vcc_lo
	s_cmp_lt_i32 s6, 1
	s_cbranch_scc1 .LBB44_148
; %bb.142:
	v_lshlrev_b32_e32 v4, 2, v1
	s_ashr_i32 s21, s20, 31
	v_lshrrev_b32_e32 v5, 4, v24
	s_lshl_b64 s[10:11], s[20:21], 3
	s_mul_i32 s3, s12, s19
	v_mad_u64_u32 v[2:3], null, s14, v4, 0
	s_mul_hi_u32 s5, s12, s18
	v_and_b32_e32 v6, 15, v0
	s_mul_i32 s9, s13, s18
	s_add_i32 s3, s5, s3
	s_mul_i32 s4, s12, s18
	s_add_i32 s5, s3, s9
	v_mad_u64_u32 v[3:4], null, s15, v4, v[3:4]
	v_sub_co_u32 v4, s2, v22, s22
	v_subrev_co_ci_u32_e64 v7, null, s23, v23, s2
	v_or_b32_e32 v8, 0x78, v74
	v_add_co_u32 v4, s2, 0xffffff00, v4
	v_add_co_ci_u32_e64 v7, null, -1, v7, s2
	v_lshlrev_b64 v[2:3], 3, v[2:3]
	v_sub_co_u32 v4, s2, v4, v20
	v_sub_co_ci_u32_e64 v7, null, v7, v21, s2
	s_lshl_b64 s[4:5], s[4:5], 3
	v_add_co_u32 v2, s2, v4, v2
	v_add_co_ci_u32_e64 v3, null, v7, v3, s2
	v_mov_b32_e32 v39, 0
	v_add_co_u32 v4, s2, v2, s10
	v_add_co_ci_u32_e64 v7, null, s11, v3, s2
	v_add_co_u32 v2, s2, v2, v74
	v_add_co_ci_u32_e64 v3, null, 0, v3, s2
	v_add_co_u32 v4, s2, v4, -8
	v_add_co_ci_u32_e64 v7, null, -1, v7, s2
	v_sub_co_u32 v75, s2, v18, s4
	v_cndmask_b32_e32 v2, v2, v4, vcc_lo
	v_cndmask_b32_e32 v3, v3, v7, vcc_lo
	v_and_b32_e32 v4, 48, v0
	v_lshlrev_b32_e32 v7, 5, v5
	v_mul_i32_i24_e32 v5, 0xffffffe8, v5
	v_subrev_co_ci_u32_e64 v76, null, s5, v19, s2
	v_lshlrev_b32_e32 v4, 3, v4
	v_mad_u32_u24 v81, 0x218, v6, v7
	v_add_nc_u32_e32 v77, 0x2180, v74
	v_lshl_add_u32 v78, v1, 5, 0x2180
	v_add_nc_u32_e32 v79, 0x2380, v74
	v_mad_u32_u24 v80, 0x860, v1, v74
	v_cmp_gt_u32_e64 s2, 64, v24
	v_mad_u32_u24 v82, 0x218, v6, v4
	v_mad_u32_u24 v83, 0x218, v6, v8
	v_add_nc_u32_e32 v84, v81, v5
	s_mul_i32 s3, s15, 0x68
	s_mul_hi_u32 s9, s14, 0x68
	s_lshl_b64 s[4:5], s[14:15], 3
	s_add_i32 s9, s9, s3
	s_mul_i32 s10, s14, 0x68
	s_mov_b32 s11, 0
	s_branch .LBB44_144
.LBB44_143:                             ;   in Loop: Header=BB44_144 Depth=1
	s_or_b32 exec_lo, exec_lo, s14
	v_mul_f32_e32 v38, v41, v3
	v_mul_f32_e32 v3, v40, v3
	;; [unrolled: 1-line block ×5, first 2 shown]
	v_fma_f32 v38, v40, v2, -v38
	v_fmac_f32_e32 v3, v41, v2
	v_fma_f32 v44, v44, v4, -v85
	v_mul_f32_e32 v7, v46, v7
	v_mul_f32_e32 v40, v43, v9
	v_add_f32_e32 v36, v36, v38
	v_fma_f32 v2, v46, v6, -v86
	v_fmac_f32_e32 v5, v45, v4
	v_add_f32_e32 v3, v37, v3
	v_mul_f32_e32 v9, v42, v9
	v_add_f32_e32 v36, v36, v44
	v_mul_f32_e32 v38, v55, v15
	v_fma_f32 v4, v42, v8, -v40
	v_fmac_f32_e32 v7, v47, v6
	v_add_f32_e32 v3, v3, v5
	v_add_f32_e32 v2, v36, v2
	v_mul_f32_e32 v15, v54, v15
	v_mul_f32_e32 v41, v53, v17
	v_fma_f32 v5, v54, v14, -v38
	v_fmac_f32_e32 v9, v43, v8
	v_add_f32_e32 v2, v2, v4
	v_add_f32_e32 v3, v3, v7
	v_mul_f32_e32 v17, v52, v17
	v_mul_f32_e32 v4, v51, v11
	v_fma_f32 v6, v52, v16, -v41
	v_add_f32_e32 v2, v2, v5
	v_fmac_f32_e32 v15, v55, v14
	v_add_f32_e32 v3, v3, v9
	v_mul_f32_e32 v5, v49, v13
	v_fma_f32 v4, v50, v10, -v4
	v_add_f32_e32 v2, v2, v6
	v_mul_f32_e32 v6, v50, v11
	v_fmac_f32_e32 v17, v53, v16
	v_add_f32_e32 v3, v3, v15
	v_fma_f32 v5, v48, v12, -v5
	v_add_f32_e32 v2, v2, v4
	v_mul_f32_e32 v4, v63, v23
	v_fmac_f32_e32 v6, v51, v10
	v_add_f32_e32 v3, v3, v17
	v_mul_f32_e32 v7, v48, v13
	v_add_f32_e32 v2, v2, v5
	v_fma_f32 v4, v62, v22, -v4
	v_mul_f32_e32 v5, v61, v25
	v_add_f32_e32 v3, v3, v6
	v_fmac_f32_e32 v7, v49, v12
	v_mul_f32_e32 v6, v62, v23
	v_add_f32_e32 v2, v2, v4
	v_fma_f32 v4, v60, v24, -v5
	v_mul_f32_e32 v5, v59, v19
	v_add_f32_e32 v3, v3, v7
	v_fmac_f32_e32 v6, v63, v22
	;; [unrolled: 6-line block ×6, first 2 shown]
	v_mul_f32_e32 v7, v67, v27
	v_add_f32_e32 v2, v2, v4
	v_mul_f32_e32 v4, v66, v27
	v_fmac_f32_e32 v5, v71, v32
	v_add_f32_e32 v3, v3, v6
	v_fma_f32 v6, v66, v26, -v7
	v_mul_f32_e32 v7, v69, v29
	v_mul_f32_e32 v8, v68, v29
	v_fmac_f32_e32 v4, v67, v26
	v_add_f32_e32 v3, v3, v5
	v_add_f32_e32 v2, v2, v6
	v_fma_f32 v5, v68, v28, -v7
	v_fmac_f32_e32 v8, v69, v28
	s_add_i32 s6, s6, -1
	v_add_f32_e32 v3, v3, v4
	s_add_i32 s11, s11, 64
	v_add_f32_e32 v36, v2, v5
	v_add_co_u32 v2, s3, v64, s10
	v_add_f32_e32 v37, v3, v8
	v_add_co_ci_u32_e64 v3, null, s9, v65, s3
	s_cmp_eq_u32 s6, 0
	s_waitcnt_vscnt null, 0x0
	s_barrier
	buffer_gl0_inv
	s_cbranch_scc1 .LBB44_148
.LBB44_144:                             ; =>This Inner Loop Header: Depth=1
	s_and_saveexec_b32 s14, s1
	s_cbranch_execz .LBB44_146
; %bb.145:                              ;   in Loop: Header=BB44_144 Depth=1
	s_mul_i32 s3, s13, s11
	s_mul_hi_u32 s15, s12, s11
	s_mul_i32 s16, s12, s11
	s_add_i32 s17, s15, s3
	s_lshl_b64 s[16:17], s[16:17], 3
	v_add_co_u32 v4, s3, v75, s16
	v_add_co_ci_u32_e64 v5, null, s17, v76, s3
	flat_load_dwordx2 v[4:5], v[4:5]
	s_waitcnt vmcnt(0) lgkmcnt(0)
	ds_write_b64 v77, v[4:5]
.LBB44_146:                             ;   in Loop: Header=BB44_144 Depth=1
	s_or_b32 exec_lo, exec_lo, s14
	v_add_co_u32 v4, s3, v2, s4
	v_add_co_ci_u32_e64 v5, null, s5, v3, s3
	s_waitcnt lgkmcnt(0)
	s_barrier
	buffer_gl0_inv
	s_clause 0x1
	flat_load_dwordx2 v[40:41], v[2:3]
	flat_load_dwordx2 v[44:45], v[4:5]
	v_add_co_u32 v2, s3, v4, s4
	v_add_co_ci_u32_e64 v3, null, s5, v5, s3
	v_add_co_u32 v10, s3, v2, s4
	v_add_co_ci_u32_e64 v11, null, s5, v3, s3
	s_clause 0x1
	flat_load_dwordx2 v[46:47], v[2:3]
	flat_load_dwordx2 v[42:43], v[10:11]
	ds_read_b64 v[12:13], v79
	ds_read_b128 v[2:5], v78
	ds_read_b128 v[6:9], v78 offset:16
	v_add_co_u32 v10, s3, v10, s10
	v_add_co_ci_u32_e64 v11, null, s9, v11, s3
	v_add_co_u32 v18, s3, v10, s4
	v_add_co_ci_u32_e64 v19, null, s5, v11, s3
	s_waitcnt vmcnt(3) lgkmcnt(2)
	v_mul_f32_e32 v14, v41, v13
	v_mul_f32_e32 v15, v41, v12
	s_waitcnt vmcnt(2)
	v_mul_f32_e32 v16, v45, v13
	v_mul_f32_e32 v17, v45, v12
	v_fmac_f32_e32 v14, v40, v12
	v_fma_f32 v15, v40, v13, -v15
	v_fmac_f32_e32 v16, v44, v12
	v_fma_f32 v17, v44, v13, -v17
	s_waitcnt vmcnt(1)
	v_mul_f32_e32 v20, v47, v13
	s_waitcnt vmcnt(0)
	v_mul_f32_e32 v22, v43, v13
	v_mul_f32_e32 v21, v47, v12
	v_mul_f32_e32 v23, v43, v12
	v_fmac_f32_e32 v20, v46, v12
	v_fmac_f32_e32 v22, v42, v12
	v_add_co_u32 v12, s3, v18, s4
	v_fma_f32 v21, v46, v13, -v21
	v_fma_f32 v23, v42, v13, -v23
	v_add_co_ci_u32_e64 v13, null, s5, v19, s3
	ds_write2_b64 v80, v[14:15], v[16:17] offset1:67
	ds_write2_b64 v80, v[20:21], v[22:23] offset0:134 offset1:201
	s_waitcnt lgkmcnt(0)
	s_barrier
	buffer_gl0_inv
	ds_read2_b64 v[85:88], v81 offset1:1
	ds_read2_b64 v[89:92], v81 offset0:2 offset1:3
	s_waitcnt lgkmcnt(0)
	s_barrier
	buffer_gl0_inv
	flat_load_dwordx2 v[54:55], v[10:11]
	v_add_co_u32 v10, s3, v12, s4
	v_add_co_ci_u32_e64 v11, null, s5, v13, s3
	s_clause 0x2
	flat_load_dwordx2 v[52:53], v[18:19]
	flat_load_dwordx2 v[50:51], v[12:13]
	;; [unrolled: 1-line block ×3, first 2 shown]
	ds_read_b64 v[12:13], v79
	v_add_co_u32 v18, s3, v10, s10
	v_add_co_ci_u32_e64 v19, null, s9, v11, s3
	v_add_co_u32 v20, s3, v18, s4
	v_add_co_ci_u32_e64 v21, null, s5, v19, s3
	v_add_f32_e32 v38, 0, v85
	v_add_co_u32 v22, s3, v20, s4
	v_add_co_ci_u32_e64 v23, null, s5, v21, s3
	v_add_f32_e32 v85, 0, v86
	;; [unrolled: 3-line block ×3, first 2 shown]
	v_add_f32_e32 v38, v38, v87
	v_add_f32_e32 v90, v85, v90
	;; [unrolled: 1-line block ×5, first 2 shown]
	s_waitcnt vmcnt(3) lgkmcnt(0)
	v_mul_f32_e32 v24, v55, v13
	v_mul_f32_e32 v10, v55, v12
	s_waitcnt vmcnt(2)
	v_mul_f32_e32 v26, v53, v13
	v_mul_f32_e32 v11, v53, v12
	s_waitcnt vmcnt(1)
	;; [unrolled: 3-line block ×3, first 2 shown]
	v_mul_f32_e32 v30, v49, v13
	v_mul_f32_e32 v15, v49, v12
	v_fmac_f32_e32 v24, v54, v12
	v_fma_f32 v25, v54, v13, -v10
	v_fmac_f32_e32 v26, v52, v12
	v_fma_f32 v27, v52, v13, -v11
	v_fmac_f32_e32 v28, v50, v12
	v_fma_f32 v29, v50, v13, -v14
	v_fmac_f32_e32 v30, v48, v12
	v_fma_f32 v31, v48, v13, -v15
	ds_read_b128 v[14:17], v78 offset:128
	ds_read_b128 v[10:13], v78 offset:144
	ds_write2_b64 v80, v[24:25], v[26:27] offset1:67
	ds_write2_b64 v80, v[28:29], v[30:31] offset0:134 offset1:201
	s_waitcnt lgkmcnt(0)
	s_barrier
	buffer_gl0_inv
	ds_read2_b64 v[93:96], v81 offset1:1
	ds_read2_b64 v[97:100], v81 offset0:2 offset1:3
	s_waitcnt lgkmcnt(0)
	s_barrier
	buffer_gl0_inv
	s_clause 0x2
	flat_load_dwordx2 v[62:63], v[18:19]
	flat_load_dwordx2 v[60:61], v[20:21]
	;; [unrolled: 1-line block ×4, first 2 shown]
	ds_read_b64 v[18:19], v79
	v_add_co_u32 v26, s3, v32, s10
	v_add_co_ci_u32_e64 v27, null, s9, v33, s3
	v_add_co_u32 v28, s3, v26, s4
	v_add_co_ci_u32_e64 v29, null, s5, v27, s3
	;; [unrolled: 2-line block ×3, first 2 shown]
	v_add_f32_e32 v93, 0, v93
	v_add_f32_e32 v94, 0, v94
	;; [unrolled: 1-line block ×7, first 2 shown]
	s_waitcnt vmcnt(3) lgkmcnt(0)
	v_mul_f32_e32 v20, v63, v18
	v_mul_f32_e32 v30, v63, v19
	s_waitcnt vmcnt(2)
	v_mul_f32_e32 v21, v61, v18
	v_mul_f32_e32 v32, v61, v19
	s_waitcnt vmcnt(1)
	v_mul_f32_e32 v22, v59, v18
	s_waitcnt vmcnt(0)
	v_mul_f32_e32 v23, v57, v18
	v_mul_f32_e32 v64, v59, v19
	;; [unrolled: 1-line block ×3, first 2 shown]
	v_fma_f32 v31, v62, v19, -v20
	v_fma_f32 v33, v60, v19, -v21
	v_fmac_f32_e32 v30, v62, v18
	v_fmac_f32_e32 v32, v60, v18
	v_fma_f32 v65, v58, v19, -v22
	v_fma_f32 v67, v56, v19, -v23
	v_fmac_f32_e32 v64, v58, v18
	v_fmac_f32_e32 v66, v56, v18
	ds_read_b128 v[22:25], v78 offset:256
	ds_read_b128 v[18:21], v78 offset:272
	ds_write2_b64 v80, v[30:31], v[32:33] offset1:67
	ds_write2_b64 v80, v[64:65], v[66:67] offset0:134 offset1:201
	v_add_co_u32 v64, s3, v68, s4
	v_add_co_ci_u32_e64 v65, null, s5, v69, s3
	s_waitcnt lgkmcnt(0)
	s_barrier
	buffer_gl0_inv
	ds_read2_b64 v[101:104], v81 offset1:1
	ds_read2_b64 v[105:108], v81 offset0:2 offset1:3
	s_waitcnt lgkmcnt(0)
	s_barrier
	buffer_gl0_inv
	flat_load_dwordx2 v[72:73], v[26:27]
	flat_load_dwordx2 v[70:71], v[28:29]
	;; [unrolled: 1-line block ×4, first 2 shown]
	ds_read_b64 v[26:27], v79
	v_add_f32_e32 v92, 0, v101
	v_add_f32_e32 v93, 0, v102
	;; [unrolled: 1-line block ×7, first 2 shown]
	s_waitcnt vmcnt(2) lgkmcnt(0)
	v_mul_f32_e32 v29, v71, v26
	v_mul_f32_e32 v28, v73, v26
	;; [unrolled: 1-line block ×4, first 2 shown]
	s_waitcnt vmcnt(1)
	v_mul_f32_e32 v30, v67, v26
	v_mul_f32_e32 v113, v67, v27
	s_waitcnt vmcnt(0)
	v_mul_f32_e32 v31, v69, v26
	v_mul_f32_e32 v115, v69, v27
	v_fma_f32 v110, v72, v27, -v28
	v_fma_f32 v112, v70, v27, -v29
	v_fmac_f32_e32 v109, v72, v26
	v_fmac_f32_e32 v111, v70, v26
	v_fma_f32 v114, v66, v27, -v30
	v_fma_f32 v116, v68, v27, -v31
	v_fmac_f32_e32 v113, v66, v26
	v_fmac_f32_e32 v115, v68, v26
	ds_read_b128 v[30:33], v78 offset:384
	ds_read_b128 v[26:29], v78 offset:400
	ds_write2_b64 v80, v[109:110], v[111:112] offset1:67
	ds_write2_b64 v80, v[113:114], v[115:116] offset0:134 offset1:201
	s_waitcnt lgkmcnt(0)
	s_barrier
	buffer_gl0_inv
	ds_read2_b64 v[109:112], v81 offset1:1
	ds_read2_b64 v[85:88], v81 offset0:2 offset1:3
	s_waitcnt lgkmcnt(0)
	s_barrier
	buffer_gl0_inv
	v_add_f32_e32 v94, 0, v109
	v_add_f32_e32 v95, 0, v110
	;; [unrolled: 1-line block ×10, first 2 shown]
	ds_write2_b64 v84, v[89:90], v[91:92] offset1:16
	ds_write2_b64 v84, v[85:86], v[87:88] offset0:32 offset1:48
	s_waitcnt lgkmcnt(0)
	s_barrier
	buffer_gl0_inv
	s_and_saveexec_b32 s14, s2
	s_cbranch_execz .LBB44_143
; %bb.147:                              ;   in Loop: Header=BB44_144 Depth=1
	ds_read_b64 v[97:98], v82
	ds_read2_b64 v[85:88], v82 offset0:1 offset1:2
	ds_read2_b64 v[89:92], v82 offset0:3 offset1:4
	;; [unrolled: 1-line block ×3, first 2 shown]
	s_waitcnt lgkmcnt(2)
	v_add_f32_e32 v38, v85, v97
	v_add_f32_e32 v85, v86, v98
	v_add_f32_e32 v38, v87, v38
	v_add_f32_e32 v97, v88, v85
	ds_read2_b64 v[85:88], v82 offset0:7 offset1:8
	s_waitcnt lgkmcnt(2)
	v_add_f32_e32 v38, v38, v89
	v_add_f32_e32 v89, v97, v90
	v_add_f32_e32 v38, v38, v91
	v_add_f32_e32 v97, v89, v92
	ds_read2_b64 v[89:92], v82 offset0:9 offset1:10
	;; [unrolled: 6-line block ×4, first 2 shown]
	s_waitcnt lgkmcnt(2)
	v_add_f32_e32 v38, v38, v89
	v_add_f32_e32 v89, v97, v90
	;; [unrolled: 1-line block ×4, first 2 shown]
	ds_read_b64 v[89:90], v83
	s_waitcnt lgkmcnt(2)
	v_add_f32_e32 v38, v38, v93
	v_add_f32_e32 v91, v91, v94
	;; [unrolled: 1-line block ×4, first 2 shown]
	s_waitcnt lgkmcnt(1)
	v_add_f32_e32 v85, v38, v85
	v_add_f32_e32 v86, v91, v86
	v_add_nc_u32_e32 v38, s11, v0
	v_add_f32_e32 v87, v85, v87
	v_add_f32_e32 v88, v86, v88
	v_lshlrev_b64 v[85:86], 3, v[38:39]
	s_waitcnt lgkmcnt(0)
	v_add_f32_e32 v87, v87, v89
	v_add_f32_e32 v88, v88, v90
	v_add_co_u32 v85, s3, s7, v85
	v_add_co_ci_u32_e64 v86, null, s8, v86, s3
	global_store_dwordx2 v[85:86], v[87:88], off
	s_branch .LBB44_143
.LBB44_148:
	v_mad_u32_u24 v0, 0x218, v1, v74
	s_nor_b32 s0, s0, vcc_lo
	ds_write_b64 v0, v[36:37]
	s_waitcnt lgkmcnt(0)
	s_barrier
	buffer_gl0_inv
	s_and_saveexec_b32 s1, s0
	s_cbranch_execz .LBB44_150
; %bb.149:
	ds_read2_b64 v[0:3], v74 offset1:67
	ds_read2_b64 v[4:7], v74 offset0:134 offset1:201
	s_waitcnt lgkmcnt(1)
	v_add_f32_e32 v0, v2, v0
	v_add_f32_e32 v1, v3, v1
	s_waitcnt lgkmcnt(0)
	v_add_f32_e32 v2, v4, v0
	v_add_f32_e32 v3, v5, v1
	v_lshlrev_b64 v[0:1], 3, v[34:35]
	v_add_f32_e32 v2, v2, v6
	v_add_f32_e32 v3, v3, v7
	v_add_co_u32 v0, vcc_lo, s7, v0
	v_add_co_ci_u32_e64 v1, null, s8, v1, vcc_lo
	global_store_dwordx2 v[0:1], v[2:3], off
.LBB44_150:
	s_endpgm
	.section	.rodata,"a",@progbits
	.p2align	6, 0x0
	.amdhsa_kernel _ZL26rocblas_hemvn_kernel_lowerILb1ELi64ELi4ELi33ELi32ELi16El19rocblas_complex_numIfEPKPKS1_PS1_EviT6_lT7_lT5_lS8_lS9_lS7_lT8_i
		.amdhsa_group_segment_fixed_size 9600
		.amdhsa_private_segment_fixed_size 0
		.amdhsa_kernarg_size 376
		.amdhsa_user_sgpr_count 6
		.amdhsa_user_sgpr_private_segment_buffer 1
		.amdhsa_user_sgpr_dispatch_ptr 0
		.amdhsa_user_sgpr_queue_ptr 0
		.amdhsa_user_sgpr_kernarg_segment_ptr 1
		.amdhsa_user_sgpr_dispatch_id 0
		.amdhsa_user_sgpr_flat_scratch_init 0
		.amdhsa_user_sgpr_private_segment_size 0
		.amdhsa_wavefront_size32 1
		.amdhsa_uses_dynamic_stack 0
		.amdhsa_system_sgpr_private_segment_wavefront_offset 0
		.amdhsa_system_sgpr_workgroup_id_x 1
		.amdhsa_system_sgpr_workgroup_id_y 0
		.amdhsa_system_sgpr_workgroup_id_z 1
		.amdhsa_system_sgpr_workgroup_info 0
		.amdhsa_system_vgpr_workitem_id 1
		.amdhsa_next_free_vgpr 117
		.amdhsa_next_free_sgpr 32
		.amdhsa_reserve_vcc 1
		.amdhsa_reserve_flat_scratch 1
		.amdhsa_float_round_mode_32 0
		.amdhsa_float_round_mode_16_64 0
		.amdhsa_float_denorm_mode_32 3
		.amdhsa_float_denorm_mode_16_64 3
		.amdhsa_dx10_clamp 1
		.amdhsa_ieee_mode 1
		.amdhsa_fp16_overflow 0
		.amdhsa_workgroup_processor_mode 1
		.amdhsa_memory_ordered 1
		.amdhsa_forward_progress 1
		.amdhsa_shared_vgpr_count 0
		.amdhsa_exception_fp_ieee_invalid_op 0
		.amdhsa_exception_fp_denorm_src 0
		.amdhsa_exception_fp_ieee_div_zero 0
		.amdhsa_exception_fp_ieee_overflow 0
		.amdhsa_exception_fp_ieee_underflow 0
		.amdhsa_exception_fp_ieee_inexact 0
		.amdhsa_exception_int_div_zero 0
	.end_amdhsa_kernel
	.section	.text._ZL26rocblas_hemvn_kernel_lowerILb1ELi64ELi4ELi33ELi32ELi16El19rocblas_complex_numIfEPKPKS1_PS1_EviT6_lT7_lT5_lS8_lS9_lS7_lT8_i,"axG",@progbits,_ZL26rocblas_hemvn_kernel_lowerILb1ELi64ELi4ELi33ELi32ELi16El19rocblas_complex_numIfEPKPKS1_PS1_EviT6_lT7_lT5_lS8_lS9_lS7_lT8_i,comdat
.Lfunc_end44:
	.size	_ZL26rocblas_hemvn_kernel_lowerILb1ELi64ELi4ELi33ELi32ELi16El19rocblas_complex_numIfEPKPKS1_PS1_EviT6_lT7_lT5_lS8_lS9_lS7_lT8_i, .Lfunc_end44-_ZL26rocblas_hemvn_kernel_lowerILb1ELi64ELi4ELi33ELi32ELi16El19rocblas_complex_numIfEPKPKS1_PS1_EviT6_lT7_lT5_lS8_lS9_lS7_lT8_i
                                        ; -- End function
	.set _ZL26rocblas_hemvn_kernel_lowerILb1ELi64ELi4ELi33ELi32ELi16El19rocblas_complex_numIfEPKPKS1_PS1_EviT6_lT7_lT5_lS8_lS9_lS7_lT8_i.num_vgpr, 117
	.set _ZL26rocblas_hemvn_kernel_lowerILb1ELi64ELi4ELi33ELi32ELi16El19rocblas_complex_numIfEPKPKS1_PS1_EviT6_lT7_lT5_lS8_lS9_lS7_lT8_i.num_agpr, 0
	.set _ZL26rocblas_hemvn_kernel_lowerILb1ELi64ELi4ELi33ELi32ELi16El19rocblas_complex_numIfEPKPKS1_PS1_EviT6_lT7_lT5_lS8_lS9_lS7_lT8_i.numbered_sgpr, 32
	.set _ZL26rocblas_hemvn_kernel_lowerILb1ELi64ELi4ELi33ELi32ELi16El19rocblas_complex_numIfEPKPKS1_PS1_EviT6_lT7_lT5_lS8_lS9_lS7_lT8_i.num_named_barrier, 0
	.set _ZL26rocblas_hemvn_kernel_lowerILb1ELi64ELi4ELi33ELi32ELi16El19rocblas_complex_numIfEPKPKS1_PS1_EviT6_lT7_lT5_lS8_lS9_lS7_lT8_i.private_seg_size, 0
	.set _ZL26rocblas_hemvn_kernel_lowerILb1ELi64ELi4ELi33ELi32ELi16El19rocblas_complex_numIfEPKPKS1_PS1_EviT6_lT7_lT5_lS8_lS9_lS7_lT8_i.uses_vcc, 1
	.set _ZL26rocblas_hemvn_kernel_lowerILb1ELi64ELi4ELi33ELi32ELi16El19rocblas_complex_numIfEPKPKS1_PS1_EviT6_lT7_lT5_lS8_lS9_lS7_lT8_i.uses_flat_scratch, 1
	.set _ZL26rocblas_hemvn_kernel_lowerILb1ELi64ELi4ELi33ELi32ELi16El19rocblas_complex_numIfEPKPKS1_PS1_EviT6_lT7_lT5_lS8_lS9_lS7_lT8_i.has_dyn_sized_stack, 0
	.set _ZL26rocblas_hemvn_kernel_lowerILb1ELi64ELi4ELi33ELi32ELi16El19rocblas_complex_numIfEPKPKS1_PS1_EviT6_lT7_lT5_lS8_lS9_lS7_lT8_i.has_recursion, 0
	.set _ZL26rocblas_hemvn_kernel_lowerILb1ELi64ELi4ELi33ELi32ELi16El19rocblas_complex_numIfEPKPKS1_PS1_EviT6_lT7_lT5_lS8_lS9_lS7_lT8_i.has_indirect_call, 0
	.section	.AMDGPU.csdata,"",@progbits
; Kernel info:
; codeLenInByte = 8344
; TotalNumSgprs: 34
; NumVgprs: 117
; ScratchSize: 0
; MemoryBound: 1
; FloatMode: 240
; IeeeMode: 1
; LDSByteSize: 9600 bytes/workgroup (compile time only)
; SGPRBlocks: 0
; VGPRBlocks: 14
; NumSGPRsForWavesPerEU: 34
; NumVGPRsForWavesPerEU: 117
; Occupancy: 8
; WaveLimiterHint : 1
; COMPUTE_PGM_RSRC2:SCRATCH_EN: 0
; COMPUTE_PGM_RSRC2:USER_SGPR: 6
; COMPUTE_PGM_RSRC2:TRAP_HANDLER: 0
; COMPUTE_PGM_RSRC2:TGID_X_EN: 1
; COMPUTE_PGM_RSRC2:TGID_Y_EN: 0
; COMPUTE_PGM_RSRC2:TGID_Z_EN: 1
; COMPUTE_PGM_RSRC2:TIDIG_COMP_CNT: 1
	.section	.text._ZL36rocblas_hemvn_kernel_lower_block_sumILi64El19rocblas_complex_numIfEPKPS1_S1_EviT1_lS5_lT2_lT0_lPT3_i,"axG",@progbits,_ZL36rocblas_hemvn_kernel_lower_block_sumILi64El19rocblas_complex_numIfEPKPS1_S1_EviT1_lS5_lT2_lT0_lPT3_i,comdat
	.globl	_ZL36rocblas_hemvn_kernel_lower_block_sumILi64El19rocblas_complex_numIfEPKPS1_S1_EviT1_lS5_lT2_lT0_lPT3_i ; -- Begin function _ZL36rocblas_hemvn_kernel_lower_block_sumILi64El19rocblas_complex_numIfEPKPS1_S1_EviT1_lS5_lT2_lT0_lPT3_i
	.p2align	8
	.type	_ZL36rocblas_hemvn_kernel_lower_block_sumILi64El19rocblas_complex_numIfEPKPS1_S1_EviT1_lS5_lT2_lT0_lPT3_i,@function
_ZL36rocblas_hemvn_kernel_lower_block_sumILi64El19rocblas_complex_numIfEPKPS1_S1_EviT1_lS5_lT2_lT0_lPT3_i: ; @_ZL36rocblas_hemvn_kernel_lower_block_sumILi64El19rocblas_complex_numIfEPKPS1_S1_EviT1_lS5_lT2_lT0_lPT3_i
; %bb.0:
	s_clause 0x1
	s_load_dwordx4 s[8:11], s[4:5], 0x0
	s_load_dwordx2 s[12:13], s[4:5], 0x18
	s_mov_b32 s14, s7
	s_waitcnt lgkmcnt(0)
	s_or_b32 s0, s9, s10
	s_bitset0_b32 s0, 31
	s_cmp_eq_u32 s0, 0
	s_cselect_b32 s16, -1, 0
	s_cmp_lg_u32 s0, 0
	s_mov_b32 s0, -1
	s_cbranch_scc1 .LBB45_2
; %bb.1:
	v_cmp_neq_f32_e64 s0, s12, 1.0
	v_cmp_neq_f32_e64 s1, s13, 0
	s_or_b32 s0, s0, s1
.LBB45_2:
	s_andn2_b32 vcc_lo, exec_lo, s0
	s_cbranch_vccnz .LBB45_19
; %bb.3:
	s_clause 0x1
	s_load_dwordx2 s[18:19], s[4:5], 0x28
	s_load_dwordx4 s[0:3], s[4:5], 0x30
	s_mov_b32 s15, 0
	v_lshl_or_b32 v0, s6, 6, v0
	s_lshl_b64 s[20:21], s[14:15], 3
	s_waitcnt lgkmcnt(0)
	s_add_u32 s18, s18, s20
	s_addc_u32 s19, s19, s21
	s_lshl_b64 s[20:21], s[0:1], 3
	s_load_dwordx2 s[18:19], s[18:19], 0x0
	v_cmp_gt_i32_e64 s0, s8, v0
	s_mov_b32 s1, -1
	s_waitcnt lgkmcnt(0)
	s_add_u32 s7, s18, s20
	s_addc_u32 s11, s19, s21
	s_andn2_b32 vcc_lo, exec_lo, s16
	s_cbranch_vccnz .LBB45_9
; %bb.4:
	s_and_saveexec_b32 s1, s0
	s_cbranch_execz .LBB45_8
; %bb.5:
	v_ashrrev_i32_e32 v1, 31, v0
	v_mul_lo_u32 v3, s3, v0
	v_cmp_neq_f32_e64 s0, s12, 0
	v_cmp_neq_f32_e64 s15, s13, 0
	v_mul_lo_u32 v4, s2, v1
	v_mad_u64_u32 v[1:2], null, s2, v0, 0
	s_or_b32 s0, s0, s15
	s_andn2_b32 vcc_lo, exec_lo, s0
	v_add3_u32 v2, v2, v4, v3
	v_mov_b32_e32 v3, 0
	v_mov_b32_e32 v4, 0
	v_lshlrev_b64 v[1:2], 3, v[1:2]
	s_cbranch_vccnz .LBB45_7
; %bb.6:
	v_add_co_u32 v3, vcc_lo, s7, v1
	v_add_co_ci_u32_e64 v4, null, s11, v2, vcc_lo
	flat_load_dwordx2 v[5:6], v[3:4]
	s_waitcnt vmcnt(0) lgkmcnt(0)
	v_mul_f32_e32 v3, s13, v6
	v_mul_f32_e32 v4, s12, v6
	v_fma_f32 v3, v5, s12, -v3
	v_fmac_f32_e32 v4, s13, v5
.LBB45_7:
	v_add_co_u32 v1, vcc_lo, s7, v1
	v_add_co_ci_u32_e64 v2, null, s11, v2, vcc_lo
	flat_store_dwordx2 v[1:2], v[3:4]
.LBB45_8:
	s_or_b32 exec_lo, exec_lo, s1
	s_mov_b32 s1, 0
.LBB45_9:
	s_andn2_b32 vcc_lo, exec_lo, s1
	s_cbranch_vccnz .LBB45_19
; %bb.10:
	s_mov_b32 s0, exec_lo
	v_cmpx_gt_i32_e64 s8, v0
	s_cbranch_execz .LBB45_19
; %bb.11:
	s_load_dword s15, s[4:5], 0x58
	v_mov_b32_e32 v3, 0
	v_mov_b32_e32 v4, 0
	s_waitcnt lgkmcnt(0)
	s_cmp_ge_i32 s6, s15
	s_cbranch_scc1 .LBB45_14
; %bb.12:
	s_load_dwordx2 s[0:1], s[4:5], 0x48
	v_mad_u64_u32 v[1:2], null, s8, s6, v[0:1]
	s_ashr_i32 s5, s8, 31
	s_mul_hi_u32 s4, s8, s14
	s_mul_i32 s16, s5, s14
	s_mul_i32 s14, s8, s14
	s_add_i32 s4, s4, s16
	s_mul_hi_u32 s17, s14, s15
	v_ashrrev_i32_e32 v2, 31, v1
	s_mul_i32 s4, s4, s15
	s_mul_i32 s16, s14, s15
	s_add_i32 s17, s17, s4
	v_mov_b32_e32 v3, 0
	v_lshlrev_b64 v[1:2], 3, v[1:2]
	s_lshl_b64 s[16:17], s[16:17], 3
	v_mov_b32_e32 v4, 0
	s_mov_b32 s4, s8
	s_waitcnt lgkmcnt(0)
	s_add_u32 s0, s0, s16
	s_addc_u32 s1, s1, s17
	v_add_co_u32 v1, vcc_lo, s0, v1
	v_add_co_ci_u32_e64 v2, null, s1, v2, vcc_lo
	s_lshl_b64 s[0:1], s[4:5], 3
	v_add_co_u32 v1, vcc_lo, v1, 4
	v_add_co_ci_u32_e64 v2, null, 0, v2, vcc_lo
.LBB45_13:                              ; =>This Inner Loop Header: Depth=1
	global_load_dwordx2 v[5:6], v[1:2], off offset:-4
	v_add_co_u32 v1, vcc_lo, v1, s0
	v_add_co_ci_u32_e64 v2, null, s1, v2, vcc_lo
	s_add_i32 s6, s6, 1
	s_cmp_ge_i32 s6, s15
	s_waitcnt vmcnt(0)
	v_add_f32_e32 v4, v4, v5
	v_add_f32_e32 v3, v3, v6
	s_cbranch_scc0 .LBB45_13
.LBB45_14:
	v_ashrrev_i32_e32 v1, 31, v0
	v_mul_f32_e32 v7, s10, v3
	v_mul_f32_e32 v2, s9, v3
	v_cmp_neq_f32_e64 s0, s12, 0
	v_cmp_neq_f32_e64 s1, s13, 0
	v_mul_lo_u32 v5, s3, v0
	v_mul_lo_u32 v6, s2, v1
	v_fma_f32 v1, v4, s9, -v7
	v_fmac_f32_e32 v2, s10, v4
	s_or_b32 s0, s0, s1
	s_andn2_b32 vcc_lo, exec_lo, s0
	s_mov_b32 s0, 0
	s_cbranch_vccz .LBB45_16
; %bb.15:
	v_mad_u64_u32 v[3:4], null, s2, v0, 0
	v_add3_u32 v4, v4, v6, v5
	s_andn2_b32 vcc_lo, exec_lo, s0
	s_cbranch_vccz .LBB45_17
	s_branch .LBB45_18
.LBB45_16:
                                        ; implicit-def: $vgpr3_vgpr4
.LBB45_17:
	v_mad_u64_u32 v[3:4], null, s2, v0, 0
	v_add3_u32 v4, v4, v6, v5
	v_lshlrev_b64 v[5:6], 3, v[3:4]
	v_add_co_u32 v5, vcc_lo, s7, v5
	v_add_co_ci_u32_e64 v6, null, s11, v6, vcc_lo
	flat_load_dwordx2 v[5:6], v[5:6]
	s_waitcnt vmcnt(0) lgkmcnt(0)
	v_mul_f32_e32 v0, s13, v6
	v_mul_f32_e32 v6, s12, v6
	v_fma_f32 v0, v5, s12, -v0
	v_fmac_f32_e32 v6, s13, v5
	v_add_f32_e32 v1, v1, v0
	v_add_f32_e32 v2, v2, v6
.LBB45_18:
	v_lshlrev_b64 v[3:4], 3, v[3:4]
	v_add_co_u32 v3, vcc_lo, s7, v3
	v_add_co_ci_u32_e64 v4, null, s11, v4, vcc_lo
	flat_store_dwordx2 v[3:4], v[1:2]
.LBB45_19:
	s_endpgm
	.section	.rodata,"a",@progbits
	.p2align	6, 0x0
	.amdhsa_kernel _ZL36rocblas_hemvn_kernel_lower_block_sumILi64El19rocblas_complex_numIfEPKPS1_S1_EviT1_lS5_lT2_lT0_lPT3_i
		.amdhsa_group_segment_fixed_size 0
		.amdhsa_private_segment_fixed_size 0
		.amdhsa_kernarg_size 344
		.amdhsa_user_sgpr_count 6
		.amdhsa_user_sgpr_private_segment_buffer 1
		.amdhsa_user_sgpr_dispatch_ptr 0
		.amdhsa_user_sgpr_queue_ptr 0
		.amdhsa_user_sgpr_kernarg_segment_ptr 1
		.amdhsa_user_sgpr_dispatch_id 0
		.amdhsa_user_sgpr_flat_scratch_init 0
		.amdhsa_user_sgpr_private_segment_size 0
		.amdhsa_wavefront_size32 1
		.amdhsa_uses_dynamic_stack 0
		.amdhsa_system_sgpr_private_segment_wavefront_offset 0
		.amdhsa_system_sgpr_workgroup_id_x 1
		.amdhsa_system_sgpr_workgroup_id_y 0
		.amdhsa_system_sgpr_workgroup_id_z 1
		.amdhsa_system_sgpr_workgroup_info 0
		.amdhsa_system_vgpr_workitem_id 0
		.amdhsa_next_free_vgpr 8
		.amdhsa_next_free_sgpr 22
		.amdhsa_reserve_vcc 1
		.amdhsa_reserve_flat_scratch 0
		.amdhsa_float_round_mode_32 0
		.amdhsa_float_round_mode_16_64 0
		.amdhsa_float_denorm_mode_32 3
		.amdhsa_float_denorm_mode_16_64 3
		.amdhsa_dx10_clamp 1
		.amdhsa_ieee_mode 1
		.amdhsa_fp16_overflow 0
		.amdhsa_workgroup_processor_mode 1
		.amdhsa_memory_ordered 1
		.amdhsa_forward_progress 1
		.amdhsa_shared_vgpr_count 0
		.amdhsa_exception_fp_ieee_invalid_op 0
		.amdhsa_exception_fp_denorm_src 0
		.amdhsa_exception_fp_ieee_div_zero 0
		.amdhsa_exception_fp_ieee_overflow 0
		.amdhsa_exception_fp_ieee_underflow 0
		.amdhsa_exception_fp_ieee_inexact 0
		.amdhsa_exception_int_div_zero 0
	.end_amdhsa_kernel
	.section	.text._ZL36rocblas_hemvn_kernel_lower_block_sumILi64El19rocblas_complex_numIfEPKPS1_S1_EviT1_lS5_lT2_lT0_lPT3_i,"axG",@progbits,_ZL36rocblas_hemvn_kernel_lower_block_sumILi64El19rocblas_complex_numIfEPKPS1_S1_EviT1_lS5_lT2_lT0_lPT3_i,comdat
.Lfunc_end45:
	.size	_ZL36rocblas_hemvn_kernel_lower_block_sumILi64El19rocblas_complex_numIfEPKPS1_S1_EviT1_lS5_lT2_lT0_lPT3_i, .Lfunc_end45-_ZL36rocblas_hemvn_kernel_lower_block_sumILi64El19rocblas_complex_numIfEPKPS1_S1_EviT1_lS5_lT2_lT0_lPT3_i
                                        ; -- End function
	.set _ZL36rocblas_hemvn_kernel_lower_block_sumILi64El19rocblas_complex_numIfEPKPS1_S1_EviT1_lS5_lT2_lT0_lPT3_i.num_vgpr, 8
	.set _ZL36rocblas_hemvn_kernel_lower_block_sumILi64El19rocblas_complex_numIfEPKPS1_S1_EviT1_lS5_lT2_lT0_lPT3_i.num_agpr, 0
	.set _ZL36rocblas_hemvn_kernel_lower_block_sumILi64El19rocblas_complex_numIfEPKPS1_S1_EviT1_lS5_lT2_lT0_lPT3_i.numbered_sgpr, 22
	.set _ZL36rocblas_hemvn_kernel_lower_block_sumILi64El19rocblas_complex_numIfEPKPS1_S1_EviT1_lS5_lT2_lT0_lPT3_i.num_named_barrier, 0
	.set _ZL36rocblas_hemvn_kernel_lower_block_sumILi64El19rocblas_complex_numIfEPKPS1_S1_EviT1_lS5_lT2_lT0_lPT3_i.private_seg_size, 0
	.set _ZL36rocblas_hemvn_kernel_lower_block_sumILi64El19rocblas_complex_numIfEPKPS1_S1_EviT1_lS5_lT2_lT0_lPT3_i.uses_vcc, 1
	.set _ZL36rocblas_hemvn_kernel_lower_block_sumILi64El19rocblas_complex_numIfEPKPS1_S1_EviT1_lS5_lT2_lT0_lPT3_i.uses_flat_scratch, 0
	.set _ZL36rocblas_hemvn_kernel_lower_block_sumILi64El19rocblas_complex_numIfEPKPS1_S1_EviT1_lS5_lT2_lT0_lPT3_i.has_dyn_sized_stack, 0
	.set _ZL36rocblas_hemvn_kernel_lower_block_sumILi64El19rocblas_complex_numIfEPKPS1_S1_EviT1_lS5_lT2_lT0_lPT3_i.has_recursion, 0
	.set _ZL36rocblas_hemvn_kernel_lower_block_sumILi64El19rocblas_complex_numIfEPKPS1_S1_EviT1_lS5_lT2_lT0_lPT3_i.has_indirect_call, 0
	.section	.AMDGPU.csdata,"",@progbits
; Kernel info:
; codeLenInByte = 788
; TotalNumSgprs: 24
; NumVgprs: 8
; ScratchSize: 0
; MemoryBound: 0
; FloatMode: 240
; IeeeMode: 1
; LDSByteSize: 0 bytes/workgroup (compile time only)
; SGPRBlocks: 0
; VGPRBlocks: 0
; NumSGPRsForWavesPerEU: 24
; NumVGPRsForWavesPerEU: 8
; Occupancy: 16
; WaveLimiterHint : 1
; COMPUTE_PGM_RSRC2:SCRATCH_EN: 0
; COMPUTE_PGM_RSRC2:USER_SGPR: 6
; COMPUTE_PGM_RSRC2:TRAP_HANDLER: 0
; COMPUTE_PGM_RSRC2:TGID_X_EN: 1
; COMPUTE_PGM_RSRC2:TGID_Y_EN: 0
; COMPUTE_PGM_RSRC2:TGID_Z_EN: 1
; COMPUTE_PGM_RSRC2:TIDIG_COMP_CNT: 0
	.section	.text._ZL26rocblas_hemvn_kernel_lowerILb1ELi64ELi4ELi33ELi32ELi16Ei19rocblas_complex_numIfEPKPKS1_PS1_EviT6_lT7_lT5_lS8_lS9_lS7_lT8_i,"axG",@progbits,_ZL26rocblas_hemvn_kernel_lowerILb1ELi64ELi4ELi33ELi32ELi16Ei19rocblas_complex_numIfEPKPKS1_PS1_EviT6_lT7_lT5_lS8_lS9_lS7_lT8_i,comdat
	.globl	_ZL26rocblas_hemvn_kernel_lowerILb1ELi64ELi4ELi33ELi32ELi16Ei19rocblas_complex_numIfEPKPKS1_PS1_EviT6_lT7_lT5_lS8_lS9_lS7_lT8_i ; -- Begin function _ZL26rocblas_hemvn_kernel_lowerILb1ELi64ELi4ELi33ELi32ELi16Ei19rocblas_complex_numIfEPKPKS1_PS1_EviT6_lT7_lT5_lS8_lS9_lS7_lT8_i
	.p2align	8
	.type	_ZL26rocblas_hemvn_kernel_lowerILb1ELi64ELi4ELi33ELi32ELi16Ei19rocblas_complex_numIfEPKPKS1_PS1_EviT6_lT7_lT5_lS8_lS9_lS7_lT8_i,@function
_ZL26rocblas_hemvn_kernel_lowerILb1ELi64ELi4ELi33ELi32ELi16Ei19rocblas_complex_numIfEPKPKS1_PS1_EviT6_lT7_lT5_lS8_lS9_lS7_lT8_i: ; @_ZL26rocblas_hemvn_kernel_lowerILb1ELi64ELi4ELi33ELi32ELi16Ei19rocblas_complex_numIfEPKPKS1_PS1_EviT6_lT7_lT5_lS8_lS9_lS7_lT8_i
; %bb.0:
	s_load_dwordx2 s[0:1], s[4:5], 0x84
	s_add_u32 s8, s4, 0x78
	s_addc_u32 s9, s5, 0
	s_waitcnt lgkmcnt(0)
	s_lshr_b32 s2, s0, 16
	s_and_b32 s0, s0, 0xffff
	s_and_b32 s1, s1, 0xffff
	s_mul_i32 s0, s2, s0
	s_mul_i32 s0, s0, s1
	s_cmpk_lg_i32 s0, 0x100
	s_cbranch_scc1 .LBB46_150
; %bb.1:
	s_load_dwordx2 s[0:1], s[4:5], 0x4
	v_mov_b32_e32 v2, v1
	s_mov_b32 s12, s7
	s_waitcnt lgkmcnt(0)
	s_or_b32 s0, s0, s1
	s_bitset0_b32 s0, 31
	s_cmp_lg_u32 s0, 0
	s_mov_b32 s0, -1
	s_cbranch_scc1 .LBB46_3
; %bb.2:
	s_load_dwordx2 s[0:1], s[4:5], 0x58
	s_waitcnt lgkmcnt(0)
	v_cmp_eq_f32_e64 s0, s0, 1.0
	v_cmp_eq_f32_e64 s1, s1, 0
	s_and_b32 s0, s0, s1
	s_andn2_b32 vcc_lo, exec_lo, s0
	s_mov_b32 s0, 0
.LBB46_3:
	s_andn2_b32 vcc_lo, exec_lo, s0
	s_cbranch_vccnz .LBB46_150
; %bb.4:
	s_clause 0x1
	s_load_dwordx4 s[0:3], s[4:5], 0x18
	s_load_dwordx4 s[16:19], s[4:5], 0x38
	s_mov_b32 s13, 0
	s_load_dword s11, s[4:5], 0x48
	s_lshl_b64 s[14:15], s[12:13], 3
	s_waitcnt lgkmcnt(0)
	s_add_u32 s0, s0, s14
	s_addc_u32 s1, s1, s15
	s_add_u32 s14, s16, s14
	s_addc_u32 s15, s17, s15
	s_lshl_b64 s[16:17], s[18:19], 3
	s_load_dwordx2 s[14:15], s[14:15], 0x0
	s_load_dword s13, s[4:5], 0x0
	s_load_dword s26, s[8:9], 0x0
	s_load_dwordx2 s[8:9], s[0:1], 0x0
	s_waitcnt lgkmcnt(0)
	s_add_u32 s7, s14, s16
	s_addc_u32 s10, s15, s17
	s_lshl_b32 s14, s6, 6
	s_ashr_i32 s27, s13, 31
	v_add_nc_u32_e32 v35, s14, v0
	s_lshr_b32 s0, s27, 26
	s_add_i32 s15, s26, -1
	s_add_i32 s1, s13, s0
	v_cmp_ne_u32_e64 s0, 0, v2
	v_mul_lo_u32 v3, s11, v35
	s_andn2_b32 s1, s1, 63
	s_sub_i32 s16, s13, s1
	v_cmp_eq_u32_e64 s1, 0, v2
	s_cmp_eq_u32 s6, s15
	s_cselect_b32 s16, s16, 0
	v_ashrrev_i32_e32 v4, 31, v3
	v_lshlrev_b64 v[3:4], 3, v[3:4]
	v_add_co_u32 v19, vcc_lo, s7, v3
	v_add_co_ci_u32_e64 v20, null, s10, v4, vcc_lo
	s_mov_b32 s7, -1
	s_and_saveexec_b32 s10, s1
	s_cbranch_execz .LBB46_9
; %bb.5:
	v_cmp_le_i32_e32 vcc_lo, s16, v0
	s_cmp_lg_u32 s16, 0
	v_lshl_add_u32 v1, v0, 3, 0x2380
	s_cselect_b32 s15, -1, 0
	s_and_b32 s15, s15, vcc_lo
	s_and_saveexec_b32 s17, s15
	s_xor_b32 s15, exec_lo, s17
; %bb.6:
	v_mov_b32_e32 v3, 0
	v_mov_b32_e32 v4, v3
	ds_write_b64 v1, v[3:4]
                                        ; implicit-def: $vgpr1
; %bb.7:
	s_andn2_saveexec_b32 s15, s15
	s_cbranch_execz .LBB46_9
; %bb.8:
	flat_load_dwordx2 v[3:4], v[19:20]
	s_waitcnt vmcnt(0) lgkmcnt(0)
	ds_write_b64 v1, v[3:4]
.LBB46_9:
	s_or_b32 exec_lo, exec_lo, s10
	s_load_dword s18, s[4:5], 0x28
	v_lshl_add_u32 v25, v2, 6, v0
	v_and_b32_e32 v1, 31, v0
	s_lshl_b64 s[2:3], s[2:3], 3
	s_add_u32 s8, s8, s2
	v_lshrrev_b32_e32 v7, 5, v25
	s_addc_u32 s9, s9, s3
	s_ashr_i32 s15, s14, 31
	s_lshl_b64 s[2:3], s[14:15], 3
	s_add_u32 s8, s8, s2
	s_addc_u32 s9, s9, s3
	s_waitcnt lgkmcnt(0)
	v_mad_u64_u32 v[3:4], null, s18, v7, v[1:2]
	s_mul_i32 s2, s18, s14
	s_ashr_i32 s3, s2, 31
	s_lshl_b64 s[20:21], s[2:3], 3
	s_cmp_lg_u32 s16, 0
	v_ashrrev_i32_e32 v4, 31, v3
	s_cselect_b32 s15, -1, 0
	s_cmp_eq_u32 s16, 0
	s_cselect_b32 s10, -1, 0
	v_lshlrev_b64 v[21:22], 3, v[3:4]
	v_add_co_u32 v3, vcc_lo, s8, v21
	v_add_co_ci_u32_e64 v4, null, s9, v22, vcc_lo
	v_add_co_u32 v3, vcc_lo, v3, s20
	v_add_co_ci_u32_e64 v4, null, s21, v4, vcc_lo
	s_and_b32 vcc_lo, exec_lo, s15
	s_cbranch_vccnz .LBB46_11
; %bb.10:
	s_lshl_b32 s2, s18, 3
	s_ashr_i32 s19, s18, 31
	s_ashr_i32 s3, s2, 31
	v_mul_u32_u24_e32 v14, 0x108, v7
	s_lshl_b64 s[2:3], s[2:3], 3
	s_mov_b32 s7, 0
	v_add_co_u32 v5, vcc_lo, v3, s2
	v_add_co_ci_u32_e64 v6, null, s3, v4, vcc_lo
	s_lshl_b64 s[2:3], s[18:19], 6
	v_lshl_add_u32 v14, v1, 3, v14
	v_add_co_u32 v8, vcc_lo, v5, s2
	v_add_co_ci_u32_e64 v9, null, s3, v6, vcc_lo
	v_add_co_u32 v10, vcc_lo, v8, s2
	v_add_co_ci_u32_e64 v11, null, s3, v9, vcc_lo
	s_clause 0x3
	flat_load_dwordx2 v[12:13], v[3:4]
	flat_load_dwordx2 v[5:6], v[5:6]
	;; [unrolled: 1-line block ×4, first 2 shown]
	s_waitcnt vmcnt(3) lgkmcnt(3)
	ds_write_b64 v14, v[12:13]
	s_waitcnt vmcnt(2) lgkmcnt(3)
	ds_write_b64 v14, v[5:6] offset:2112
	s_waitcnt vmcnt(1) lgkmcnt(3)
	ds_write_b64 v14, v[8:9] offset:4224
	;; [unrolled: 2-line block ×3, first 2 shown]
.LBB46_11:
	v_lshlrev_b32_e32 v8, 3, v1
	s_andn2_b32 vcc_lo, exec_lo, s7
	s_cbranch_vccnz .LBB46_29
; %bb.12:
	v_sub_co_u32 v5, vcc_lo, v3, v8
	s_ashr_i32 s17, s16, 31
	v_subrev_co_ci_u32_e64 v6, null, 0, v4, vcc_lo
	s_lshl_b64 s[8:9], s[16:17], 3
	v_cmp_le_i32_e64 s2, s16, v7
	v_add_co_u32 v5, vcc_lo, v5, s8
	v_add_co_ci_u32_e64 v6, null, s9, v6, vcc_lo
	v_mul_u32_u24_e32 v9, 0x108, v7
	v_add_co_u32 v5, vcc_lo, v5, -8
	v_add_co_ci_u32_e64 v6, null, -1, v6, vcc_lo
	v_cmp_gt_i32_e32 vcc_lo, s16, v1
	v_cndmask_b32_e32 v6, v6, v4, vcc_lo
	v_cndmask_b32_e32 v5, v5, v3, vcc_lo
	s_and_saveexec_b32 s3, s2
	s_xor_b32 s2, exec_lo, s3
	s_cbranch_execz .LBB46_14
; %bb.13:
	v_mov_b32_e32 v10, 0
	v_add_nc_u32_e32 v12, v8, v9
	v_mov_b32_e32 v11, v10
	ds_write_b64 v12, v[10:11]
.LBB46_14:
	s_andn2_saveexec_b32 s2, s2
	s_cbranch_execz .LBB46_16
; %bb.15:
	flat_load_dwordx2 v[10:11], v[5:6]
	v_add_nc_u32_e32 v12, v8, v9
	s_waitcnt vmcnt(0) lgkmcnt(0)
	ds_write_b64 v12, v[10:11]
.LBB46_16:
	s_or_b32 exec_lo, exec_lo, s2
	v_add_nc_u32_e32 v10, 8, v7
	v_cmp_le_i32_e64 s2, s16, v10
	s_and_saveexec_b32 s3, s2
	s_xor_b32 s2, exec_lo, s3
	s_cbranch_execz .LBB46_18
; %bb.17:
	v_mov_b32_e32 v10, 0
	v_add_nc_u32_e32 v12, v9, v8
	v_mov_b32_e32 v11, v10
	ds_write_b64 v12, v[10:11] offset:2112
.LBB46_18:
	s_andn2_saveexec_b32 s3, s2
	s_cbranch_execz .LBB46_20
; %bb.19:
	s_lshl_b32 s22, s18, 3
	v_add_nc_u32_e32 v12, v9, v8
	s_ashr_i32 s23, s22, 31
	s_lshl_b64 s[22:23], s[22:23], 3
	v_add_co_u32 v10, s2, v5, s22
	v_add_co_ci_u32_e64 v11, null, s23, v6, s2
	flat_load_dwordx2 v[10:11], v[10:11]
	s_waitcnt vmcnt(0) lgkmcnt(0)
	ds_write_b64 v12, v[10:11] offset:2112
.LBB46_20:
	s_or_b32 exec_lo, exec_lo, s3
	v_add_nc_u32_e32 v10, 16, v7
	v_cmp_le_i32_e64 s2, s16, v10
	s_and_saveexec_b32 s3, s2
	s_xor_b32 s2, exec_lo, s3
	s_cbranch_execz .LBB46_22
; %bb.21:
	v_mov_b32_e32 v10, 0
	v_add_nc_u32_e32 v12, v9, v8
	v_mov_b32_e32 v11, v10
	ds_write_b64 v12, v[10:11] offset:4224
.LBB46_22:
	s_andn2_saveexec_b32 s3, s2
	s_cbranch_execz .LBB46_24
; %bb.23:
	s_lshl_b32 s22, s18, 4
	v_add_nc_u32_e32 v12, v9, v8
	s_ashr_i32 s23, s22, 31
	s_lshl_b64 s[22:23], s[22:23], 3
	v_add_co_u32 v10, s2, v5, s22
	v_add_co_ci_u32_e64 v11, null, s23, v6, s2
	flat_load_dwordx2 v[10:11], v[10:11]
	s_waitcnt vmcnt(0) lgkmcnt(0)
	ds_write_b64 v12, v[10:11] offset:4224
.LBB46_24:
	s_or_b32 exec_lo, exec_lo, s3
	v_add_nc_u32_e32 v10, 24, v7
	v_cmp_le_i32_e64 s2, s16, v10
	s_and_saveexec_b32 s3, s2
	s_xor_b32 s2, exec_lo, s3
	s_cbranch_execz .LBB46_26
; %bb.25:
	v_mov_b32_e32 v10, 0
	v_add_nc_u32_e32 v9, v9, v8
	v_mov_b32_e32 v11, v10
	ds_write_b64 v9, v[10:11] offset:6336
                                        ; implicit-def: $vgpr9
.LBB46_26:
	s_andn2_saveexec_b32 s3, s2
	s_cbranch_execz .LBB46_28
; %bb.27:
	s_mul_i32 s22, s18, 24
	v_add_nc_u32_e32 v9, v9, v8
	s_ashr_i32 s23, s22, 31
	s_lshl_b64 s[22:23], s[22:23], 3
	v_add_co_u32 v10, s2, v5, s22
	v_add_co_ci_u32_e64 v11, null, s23, v6, s2
	flat_load_dwordx2 v[10:11], v[10:11]
	s_waitcnt vmcnt(0) lgkmcnt(0)
	ds_write_b64 v9, v[10:11] offset:6336
.LBB46_28:
	s_or_b32 exec_lo, exec_lo, s3
	v_add_co_u32 v5, s2, v5, v8
	v_add_co_ci_u32_e64 v6, null, 0, v6, s2
	v_sub_co_u32 v5, s2, v5, s8
	v_subrev_co_ci_u32_e64 v6, null, s9, v6, s2
	v_add_co_u32 v5, s2, v5, 8
	v_add_co_ci_u32_e64 v6, null, 0, v6, s2
	v_cndmask_b32_e32 v3, v5, v3, vcc_lo
	v_cndmask_b32_e32 v4, v6, v4, vcc_lo
.LBB46_29:
	v_lshlrev_b32_e32 v5, 2, v7
	v_mul_u32_u24_e32 v6, 0x108, v1
	s_mov_b32 s2, 0
	s_waitcnt lgkmcnt(0)
	s_barrier
	v_cmp_ge_u32_e64 s3, v5, v1
	buffer_gl0_inv
                                        ; implicit-def: $vgpr10
	s_and_saveexec_b32 s7, s3
	s_xor_b32 s7, exec_lo, s7
	s_cbranch_execz .LBB46_33
; %bb.30:
	s_mov_b32 s8, exec_lo
                                        ; implicit-def: $vgpr10
	v_cmpx_eq_u32_e64 v5, v1
	s_xor_b32 s8, exec_lo, s8
; %bb.31:
	v_add_nc_u32_e32 v10, v8, v6
	s_mov_b32 s2, exec_lo
; %bb.32:
	s_or_b32 exec_lo, exec_lo, s8
	s_and_b32 s2, s2, exec_lo
.LBB46_33:
	s_or_saveexec_b32 s7, s7
	v_lshl_or_b32 v9, v1, 8, v8
	v_mov_b32_e32 v11, 0
	v_mad_u32_u24 v13, 0x420, v7, v8
	s_xor_b32 exec_lo, exec_lo, s7
	s_cbranch_execz .LBB46_35
; %bb.34:
	ds_read_b64 v[14:15], v13
	v_lshl_add_u32 v10, v5, 3, v9
	s_or_b32 s2, s2, exec_lo
	s_waitcnt lgkmcnt(0)
	v_xor_b32_e32 v11, 0x80000000, v15
	ds_write_b32 v10, v14
.LBB46_35:
	s_or_b32 exec_lo, exec_lo, s7
	s_and_saveexec_b32 s7, s2
; %bb.36:
	ds_write_b32 v10, v11 offset:4
; %bb.37:
	s_or_b32 exec_lo, exec_lo, s7
	v_or_b32_e32 v10, 1, v5
	s_mov_b32 s2, 0
                                        ; implicit-def: $vgpr11
	v_cmp_ge_u32_e64 s7, v10, v1
	s_and_saveexec_b32 s8, s7
	s_xor_b32 s8, exec_lo, s8
	s_cbranch_execz .LBB46_41
; %bb.38:
	s_mov_b32 s9, exec_lo
                                        ; implicit-def: $vgpr11
	v_cmpx_eq_u32_e64 v10, v1
; %bb.39:
	v_add_nc_u32_e32 v11, v8, v6
	s_mov_b32 s2, exec_lo
; %bb.40:
	s_or_b32 exec_lo, exec_lo, s9
	s_and_b32 s2, s2, exec_lo
.LBB46_41:
	s_or_saveexec_b32 s8, s8
	v_mov_b32_e32 v12, 0
	v_mad_u32_u24 v14, 0x108, v10, v8
	s_xor_b32 exec_lo, exec_lo, s8
	s_cbranch_execz .LBB46_43
; %bb.42:
	ds_read_b64 v[15:16], v14
	v_lshl_add_u32 v17, v5, 3, v9
	s_or_b32 s2, s2, exec_lo
	v_add_nc_u32_e32 v11, 8, v17
	s_waitcnt lgkmcnt(0)
	v_xor_b32_e32 v12, 0x80000000, v16
	ds_write_b32 v17, v15 offset:8
.LBB46_43:
	s_or_b32 exec_lo, exec_lo, s8
	s_and_saveexec_b32 s8, s2
; %bb.44:
	ds_write_b32 v11, v12 offset:4
; %bb.45:
	s_or_b32 exec_lo, exec_lo, s8
	v_or_b32_e32 v11, 2, v5
	s_mov_b32 s2, 0
                                        ; implicit-def: $vgpr12
	v_cmp_ge_u32_e64 s8, v11, v1
	s_and_saveexec_b32 s9, s8
	s_xor_b32 s9, exec_lo, s9
	s_cbranch_execnz .LBB46_103
; %bb.46:
	s_or_saveexec_b32 s9, s9
	v_mov_b32_e32 v15, 0
	s_xor_b32 exec_lo, exec_lo, s9
	s_cbranch_execnz .LBB46_106
.LBB46_47:
	s_or_b32 exec_lo, exec_lo, s9
	s_and_saveexec_b32 s9, s2
.LBB46_48:
	ds_write_b32 v12, v15 offset:4
.LBB46_49:
	s_or_b32 exec_lo, exec_lo, s9
	v_or_b32_e32 v12, 3, v5
	s_mov_b32 s2, 0
                                        ; implicit-def: $vgpr15
	v_cmp_ge_u32_e64 s9, v12, v1
	s_and_saveexec_b32 s17, s9
	s_xor_b32 s17, exec_lo, s17
	s_cbranch_execnz .LBB46_107
; %bb.50:
	s_or_saveexec_b32 s17, s17
	v_mov_b32_e32 v16, 0
	s_xor_b32 exec_lo, exec_lo, s17
	s_cbranch_execnz .LBB46_110
.LBB46_51:
	s_or_b32 exec_lo, exec_lo, s17
	s_and_saveexec_b32 s17, s2
.LBB46_52:
	ds_write_b32 v15, v16 offset:4
.LBB46_53:
	s_or_b32 exec_lo, exec_lo, s17
	v_lshlrev_b32_e32 v9, 3, v5
	s_waitcnt lgkmcnt(0)
	s_barrier
	buffer_gl0_inv
	ds_read_b64 v[23:24], v13
	ds_read_b128 v[15:18], v9 offset:9088
	ds_read2_b64 v[26:29], v14 offset1:33
	ds_read_b128 v[30:33], v9 offset:9104
	ds_read_b64 v[13:14], v14 offset:528
	v_mul_u32_u24_e32 v34, 33, v1
	v_cmp_gt_u32_e64 s2, 32, v25
	s_waitcnt lgkmcnt(0)
	s_barrier
	buffer_gl0_inv
	v_mul_f32_e32 v36, v16, v24
	v_mul_f32_e32 v24, v15, v24
	;; [unrolled: 1-line block ×5, first 2 shown]
	v_fma_f32 v15, v15, v23, -v36
	v_fmac_f32_e32 v24, v16, v23
	v_mul_f32_e32 v29, v30, v29
	v_fma_f32 v17, v17, v26, -v37
	v_fmac_f32_e32 v27, v18, v26
	v_add_f32_e32 v15, 0, v15
	v_add_f32_e32 v18, 0, v24
	v_mul_f32_e32 v16, v33, v14
	v_mul_f32_e32 v14, v32, v14
	v_fma_f32 v23, v30, v28, -v38
	v_fmac_f32_e32 v29, v31, v28
	v_add_f32_e32 v15, v15, v17
	v_add_f32_e32 v17, v18, v27
	v_lshlrev_b32_e32 v26, 3, v34
	v_fma_f32 v16, v32, v13, -v16
	v_fmac_f32_e32 v14, v33, v13
	v_add_f32_e32 v13, v15, v23
	v_add_f32_e32 v15, v17, v29
	v_mov_b32_e32 v36, 0
	v_lshl_add_u32 v27, v7, 3, v26
	v_mov_b32_e32 v37, 0
	v_add_f32_e32 v13, v13, v16
	v_add_f32_e32 v14, v15, v14
	ds_write_b64 v27, v[13:14]
	s_waitcnt lgkmcnt(0)
	s_barrier
	buffer_gl0_inv
	s_and_saveexec_b32 s17, s2
	s_cbranch_execz .LBB46_55
; %bb.54:
	ds_read2_b64 v[13:16], v26 offset1:7
	ds_read2_b64 v[28:31], v26 offset0:1 offset1:2
	ds_read2_b64 v[36:39], v26 offset0:3 offset1:4
	;; [unrolled: 1-line block ×3, first 2 shown]
	s_waitcnt lgkmcnt(2)
	v_add_f32_e32 v13, v28, v13
	v_add_f32_e32 v14, v29, v14
	v_add_f32_e32 v13, v30, v13
	v_add_f32_e32 v14, v31, v14
	s_waitcnt lgkmcnt(1)
	v_add_f32_e32 v13, v13, v36
	v_add_f32_e32 v14, v14, v37
	v_add_f32_e32 v13, v13, v38
	v_add_f32_e32 v14, v14, v39
	;; [unrolled: 5-line block ×3, first 2 shown]
	v_add_f32_e32 v36, v13, v15
	v_add_f32_e32 v37, v14, v16
.LBB46_55:
	s_or_b32 exec_lo, exec_lo, s17
	s_lshl_b32 s22, s18, 5
	v_cndmask_b32_e64 v13, 0, 1, s10
	s_ashr_i32 s23, s22, 31
	s_lshl_b64 s[22:23], s[22:23], 3
	s_barrier
	v_add_co_u32 v3, vcc_lo, v3, s22
	v_add_co_ci_u32_e64 v4, null, s23, v4, vcc_lo
	buffer_gl0_inv
	v_add_co_u32 v14, vcc_lo, 0x100, v3
	v_add_co_ci_u32_e64 v15, null, 0, v4, vcc_lo
	s_andn2_b32 vcc_lo, exec_lo, s10
	s_mov_b32 s10, -1
	s_cbranch_vccnz .LBB46_57
; %bb.56:
	s_lshl_b32 s24, s18, 3
	s_ashr_i32 s19, s18, 31
	s_ashr_i32 s25, s24, 31
	v_mad_u32_u24 v18, 0x108, v7, v8
	s_lshl_b64 s[24:25], s[24:25], 3
	s_mov_b32 s10, 0
	v_add_co_u32 v16, vcc_lo, v3, s24
	v_add_co_ci_u32_e64 v17, null, s25, v4, vcc_lo
	s_lshl_b64 s[24:25], s[18:19], 6
	v_add_co_u32 v23, vcc_lo, v16, s24
	v_add_co_ci_u32_e64 v24, null, s25, v17, vcc_lo
	v_add_co_u32 v28, vcc_lo, v23, s24
	v_add_co_ci_u32_e64 v29, null, s25, v24, vcc_lo
	s_clause 0x3
	flat_load_dwordx2 v[30:31], v[3:4] offset:256
	flat_load_dwordx2 v[16:17], v[16:17] offset:256
	flat_load_dwordx2 v[23:24], v[23:24] offset:256
	flat_load_dwordx2 v[28:29], v[28:29] offset:256
	s_waitcnt vmcnt(3) lgkmcnt(3)
	ds_write_b64 v18, v[30:31]
	s_waitcnt vmcnt(2) lgkmcnt(3)
	ds_write_b64 v18, v[16:17] offset:2112
	s_waitcnt vmcnt(1) lgkmcnt(3)
	ds_write_b64 v18, v[23:24] offset:4224
	;; [unrolled: 2-line block ×3, first 2 shown]
.LBB46_57:
	s_andn2_b32 vcc_lo, exec_lo, s10
	s_cbranch_vccnz .LBB46_75
; %bb.58:
	v_sub_co_u32 v3, vcc_lo, v3, v8
	s_ashr_i32 s17, s16, 31
	v_subrev_co_ci_u32_e64 v4, null, 0, v4, vcc_lo
	s_lshl_b64 s[24:25], s[16:17], 3
	v_or_b32_e32 v16, 32, v1
	v_add_co_u32 v3, vcc_lo, v3, s24
	v_add_co_ci_u32_e64 v4, null, s25, v4, vcc_lo
	s_sub_i32 s17, s16, 32
	v_add_co_u32 v3, vcc_lo, v3, -8
	v_add_co_ci_u32_e64 v4, null, -1, v4, vcc_lo
	v_cmp_gt_i32_e32 vcc_lo, s16, v16
	v_cmp_le_i32_e64 s10, s17, v7
	v_mul_u32_u24_e32 v16, 0x108, v7
	v_cndmask_b32_e32 v4, v4, v15, vcc_lo
	v_cndmask_b32_e32 v3, v3, v14, vcc_lo
	s_and_saveexec_b32 s19, s10
	s_xor_b32 s10, exec_lo, s19
	s_cbranch_execz .LBB46_60
; %bb.59:
	v_mov_b32_e32 v17, 0
	v_add_nc_u32_e32 v23, v8, v16
	v_mov_b32_e32 v18, v17
	ds_write_b64 v23, v[17:18]
.LBB46_60:
	s_andn2_saveexec_b32 s10, s10
	s_cbranch_execz .LBB46_62
; %bb.61:
	flat_load_dwordx2 v[17:18], v[3:4]
	v_add_nc_u32_e32 v23, v8, v16
	s_waitcnt vmcnt(0) lgkmcnt(0)
	ds_write_b64 v23, v[17:18]
.LBB46_62:
	s_or_b32 exec_lo, exec_lo, s10
	v_add_nc_u32_e32 v17, 8, v7
	v_cmp_le_i32_e64 s10, s17, v17
	s_and_saveexec_b32 s19, s10
	s_xor_b32 s10, exec_lo, s19
	s_cbranch_execz .LBB46_64
; %bb.63:
	v_mov_b32_e32 v17, 0
	v_add_nc_u32_e32 v23, v16, v8
	v_mov_b32_e32 v18, v17
	ds_write_b64 v23, v[17:18] offset:2112
.LBB46_64:
	s_andn2_saveexec_b32 s19, s10
	s_cbranch_execz .LBB46_66
; %bb.65:
	s_lshl_b32 s28, s18, 3
	v_add_nc_u32_e32 v23, v16, v8
	s_ashr_i32 s29, s28, 31
	s_lshl_b64 s[28:29], s[28:29], 3
	v_add_co_u32 v17, s10, v3, s28
	v_add_co_ci_u32_e64 v18, null, s29, v4, s10
	flat_load_dwordx2 v[17:18], v[17:18]
	s_waitcnt vmcnt(0) lgkmcnt(0)
	ds_write_b64 v23, v[17:18] offset:2112
.LBB46_66:
	s_or_b32 exec_lo, exec_lo, s19
	v_add_nc_u32_e32 v17, 16, v7
	v_cmp_le_i32_e64 s10, s17, v17
	s_and_saveexec_b32 s19, s10
	s_xor_b32 s10, exec_lo, s19
	s_cbranch_execz .LBB46_68
; %bb.67:
	v_mov_b32_e32 v17, 0
	v_add_nc_u32_e32 v23, v16, v8
	v_mov_b32_e32 v18, v17
	ds_write_b64 v23, v[17:18] offset:4224
.LBB46_68:
	s_andn2_saveexec_b32 s19, s10
	s_cbranch_execz .LBB46_70
; %bb.69:
	s_lshl_b32 s28, s18, 4
	v_add_nc_u32_e32 v23, v16, v8
	s_ashr_i32 s29, s28, 31
	s_lshl_b64 s[28:29], s[28:29], 3
	v_add_co_u32 v17, s10, v3, s28
	v_add_co_ci_u32_e64 v18, null, s29, v4, s10
	flat_load_dwordx2 v[17:18], v[17:18]
	s_waitcnt vmcnt(0) lgkmcnt(0)
	ds_write_b64 v23, v[17:18] offset:4224
.LBB46_70:
	s_or_b32 exec_lo, exec_lo, s19
	v_add_nc_u32_e32 v17, 24, v7
	v_cmp_le_i32_e64 s10, s17, v17
	s_and_saveexec_b32 s17, s10
	s_xor_b32 s10, exec_lo, s17
	s_cbranch_execz .LBB46_72
; %bb.71:
	v_mov_b32_e32 v17, 0
	v_add_nc_u32_e32 v16, v16, v8
	v_mov_b32_e32 v18, v17
	ds_write_b64 v16, v[17:18] offset:6336
                                        ; implicit-def: $vgpr16
.LBB46_72:
	s_andn2_saveexec_b32 s17, s10
	s_cbranch_execz .LBB46_74
; %bb.73:
	s_mul_i32 s28, s18, 24
	v_add_nc_u32_e32 v16, v16, v8
	s_ashr_i32 s29, s28, 31
	s_lshl_b64 s[28:29], s[28:29], 3
	v_add_co_u32 v17, s10, v3, s28
	v_add_co_ci_u32_e64 v18, null, s29, v4, s10
	flat_load_dwordx2 v[17:18], v[17:18]
	s_waitcnt vmcnt(0) lgkmcnt(0)
	ds_write_b64 v16, v[17:18] offset:6336
.LBB46_74:
	s_or_b32 exec_lo, exec_lo, s17
	v_add_co_u32 v3, s10, v3, v8
	v_add_co_ci_u32_e64 v4, null, 0, v4, s10
	v_sub_co_u32 v3, s10, v3, s24
	v_subrev_co_ci_u32_e64 v4, null, s25, v4, s10
	v_add_co_u32 v3, s10, 0x108, v3
	v_add_co_ci_u32_e64 v4, null, 0, v4, s10
	v_cndmask_b32_e32 v14, v3, v14, vcc_lo
	v_cndmask_b32_e32 v15, v4, v15, vcc_lo
.LBB46_75:
	v_mul_u32_u24_e32 v3, 0x420, v7
	v_add_nc_u32_e32 v9, 0x2380, v9
	v_mul_u32_u24_e32 v4, 0x108, v10
	s_mov_b32 s10, 0
	s_waitcnt lgkmcnt(0)
	s_barrier
	buffer_gl0_inv
                                        ; implicit-def: $vgpr16
	s_and_saveexec_b32 s17, s3
	s_xor_b32 s3, exec_lo, s17
	s_cbranch_execz .LBB46_79
; %bb.76:
	s_mov_b32 s17, exec_lo
                                        ; implicit-def: $vgpr16
	v_cmpx_eq_u32_e64 v5, v1
	s_xor_b32 s17, exec_lo, s17
; %bb.77:
	s_mov_b32 s10, exec_lo
	v_add_nc_u32_e32 v16, v8, v6
; %bb.78:
	s_or_b32 exec_lo, exec_lo, s17
	s_and_b32 s10, s10, exec_lo
.LBB46_79:
	s_or_saveexec_b32 s3, s3
	v_mov_b32_e32 v17, 0
	v_add_nc_u32_e32 v3, v8, v3
	s_xor_b32 exec_lo, exec_lo, s3
	s_cbranch_execz .LBB46_81
; %bb.80:
	ds_read_b64 v[23:24], v3
	v_lshl_add_u32 v16, v5, 3, v26
	s_or_b32 s10, s10, exec_lo
	s_waitcnt lgkmcnt(0)
	v_xor_b32_e32 v17, 0x80000000, v24
	ds_write_b32 v16, v23
.LBB46_81:
	s_or_b32 exec_lo, exec_lo, s3
	s_and_saveexec_b32 s3, s10
; %bb.82:
	ds_write_b32 v16, v17 offset:4
; %bb.83:
	s_or_b32 exec_lo, exec_lo, s3
	s_mov_b32 s3, 0
                                        ; implicit-def: $vgpr16
	s_and_saveexec_b32 s10, s7
	s_xor_b32 s7, exec_lo, s10
	s_cbranch_execz .LBB46_87
; %bb.84:
	s_mov_b32 s10, exec_lo
                                        ; implicit-def: $vgpr16
	v_cmpx_eq_u32_e64 v10, v1
; %bb.85:
	v_add_nc_u32_e32 v16, v8, v6
	s_mov_b32 s3, exec_lo
; %bb.86:
	s_or_b32 exec_lo, exec_lo, s10
	s_and_b32 s3, s3, exec_lo
.LBB46_87:
	s_or_saveexec_b32 s7, s7
	v_mov_b32_e32 v10, 0
	v_add_nc_u32_e32 v4, v8, v4
	s_xor_b32 exec_lo, exec_lo, s7
	s_cbranch_execz .LBB46_89
; %bb.88:
	ds_read_b64 v[17:18], v4
	v_lshl_add_u32 v23, v5, 3, v26
	s_or_b32 s3, s3, exec_lo
	v_add_nc_u32_e32 v16, 8, v23
	s_waitcnt lgkmcnt(0)
	v_xor_b32_e32 v10, 0x80000000, v18
	ds_write_b32 v23, v17 offset:8
.LBB46_89:
	s_or_b32 exec_lo, exec_lo, s7
	s_and_saveexec_b32 s7, s3
; %bb.90:
	ds_write_b32 v16, v10 offset:4
; %bb.91:
	s_or_b32 exec_lo, exec_lo, s7
	s_mov_b32 s3, 0
                                        ; implicit-def: $vgpr10
	s_and_saveexec_b32 s7, s8
	s_xor_b32 s7, exec_lo, s7
	s_cbranch_execnz .LBB46_111
; %bb.92:
	s_or_saveexec_b32 s7, s7
	v_mov_b32_e32 v11, 0
	s_xor_b32 exec_lo, exec_lo, s7
	s_cbranch_execnz .LBB46_114
.LBB46_93:
	s_or_b32 exec_lo, exec_lo, s7
	s_and_saveexec_b32 s7, s3
.LBB46_94:
	ds_write_b32 v10, v11 offset:4
.LBB46_95:
	s_or_b32 exec_lo, exec_lo, s7
	s_mov_b32 s3, 0
                                        ; implicit-def: $vgpr10
	s_and_saveexec_b32 s7, s9
	s_xor_b32 s7, exec_lo, s7
	s_cbranch_execnz .LBB46_115
; %bb.96:
	s_or_saveexec_b32 s7, s7
	v_mov_b32_e32 v6, 0
	s_xor_b32 exec_lo, exec_lo, s7
	s_cbranch_execnz .LBB46_118
.LBB46_97:
	s_or_b32 exec_lo, exec_lo, s7
	s_and_saveexec_b32 s7, s3
.LBB46_98:
	ds_write_b32 v10, v6 offset:4
.LBB46_99:
	s_or_b32 exec_lo, exec_lo, s7
	s_waitcnt lgkmcnt(0)
	s_barrier
	buffer_gl0_inv
	ds_read_b64 v[10:11], v3
	ds_read_b128 v[28:31], v9 offset:256
	ds_read2_b64 v[38:41], v4 offset1:33
	ds_read_b128 v[42:45], v9 offset:272
	ds_read_b64 v[3:4], v4 offset:528
	v_cmp_eq_u32_e64 s3, 1, v7
	s_waitcnt lgkmcnt(0)
	s_barrier
	buffer_gl0_inv
	v_mul_f32_e32 v6, v29, v11
	v_mul_f32_e32 v11, v28, v11
	;; [unrolled: 1-line block ×5, first 2 shown]
	v_fma_f32 v6, v28, v10, -v6
	v_fmac_f32_e32 v11, v29, v10
	v_mul_f32_e32 v18, v42, v41
	v_fma_f32 v12, v30, v38, -v12
	v_fmac_f32_e32 v16, v31, v38
	v_add_f32_e32 v6, 0, v6
	v_add_f32_e32 v11, 0, v11
	v_mul_f32_e32 v10, v45, v4
	v_mul_f32_e32 v4, v44, v4
	v_fma_f32 v17, v42, v40, -v17
	v_fmac_f32_e32 v18, v43, v40
	v_add_f32_e32 v6, v6, v12
	v_add_f32_e32 v11, v11, v16
	v_fma_f32 v10, v44, v3, -v10
	v_fmac_f32_e32 v4, v45, v3
	v_add_f32_e32 v3, v6, v17
	v_add_f32_e32 v6, v11, v18
	;; [unrolled: 1-line block ×4, first 2 shown]
	ds_write_b64 v27, v[3:4]
	s_waitcnt lgkmcnt(0)
	s_barrier
	buffer_gl0_inv
	s_and_saveexec_b32 s7, s3
	s_cbranch_execz .LBB46_101
; %bb.100:
	ds_read2_b64 v[28:31], v26 offset1:7
	ds_read2_b64 v[36:39], v26 offset0:1 offset1:2
	ds_read2_b64 v[40:43], v26 offset0:3 offset1:4
	;; [unrolled: 1-line block ×3, first 2 shown]
	s_waitcnt lgkmcnt(2)
	v_add_f32_e32 v3, v36, v28
	v_add_f32_e32 v4, v37, v29
	v_add_f32_e32 v3, v38, v3
	v_add_f32_e32 v4, v39, v4
	s_waitcnt lgkmcnt(1)
	v_add_f32_e32 v3, v3, v40
	v_add_f32_e32 v4, v4, v41
	v_add_f32_e32 v3, v3, v42
	v_add_f32_e32 v4, v4, v43
	s_waitcnt lgkmcnt(0)
	v_add_f32_e32 v3, v3, v44
	v_add_f32_e32 v4, v4, v45
	v_add_f32_e32 v3, v3, v46
	v_add_f32_e32 v4, v4, v47
	v_add_f32_e32 v36, v3, v30
	v_add_f32_e32 v37, v4, v31
.LBB46_101:
	s_or_b32 exec_lo, exec_lo, s7
	v_cmp_ne_u32_e32 vcc_lo, 1, v13
	v_sub_co_u32 v23, s7, v14, s22
	v_subrev_co_ci_u32_e64 v24, null, s23, v15, s7
	s_barrier
	buffer_gl0_inv
	s_cbranch_vccnz .LBB46_119
; %bb.102:
	s_lshl_b32 s8, s18, 3
	s_ashr_i32 s19, s18, 31
	s_ashr_i32 s9, s8, 31
	flat_load_dwordx2 v[10:11], v[23:24]
	s_lshl_b64 s[8:9], s[8:9], 3
	s_movk_i32 s7, 0x840
	v_add_co_u32 v3, vcc_lo, v23, s8
	v_add_co_ci_u32_e64 v4, null, s9, v24, vcc_lo
	s_lshl_b64 s[8:9], s[18:19], 6
	v_mul_u32_u24_e32 v6, 0x108, v7
	v_add_co_u32 v12, vcc_lo, v3, s8
	v_add_co_ci_u32_e64 v13, null, s9, v4, vcc_lo
	v_add_co_u32 v14, vcc_lo, v12, s8
	v_add_co_ci_u32_e64 v15, null, s9, v13, vcc_lo
	s_clause 0x2
	flat_load_dwordx2 v[16:17], v[3:4]
	flat_load_dwordx2 v[28:29], v[12:13]
	;; [unrolled: 1-line block ×3, first 2 shown]
	v_mad_u32_u24 v4, 0x108, v7, s7
	s_movk_i32 s7, 0x18c0
	s_movk_i32 s8, 0x1080
	v_mad_u32_u24 v12, 0x108, v7, v8
	v_mad_u32_u24 v13, 0x108, v7, s7
	;; [unrolled: 1-line block ×3, first 2 shown]
	v_add_nc_u32_e32 v18, v8, v4
	v_add_nc_u32_e32 v31, v8, v13
	;; [unrolled: 1-line block ×3, first 2 shown]
	s_waitcnt vmcnt(3) lgkmcnt(3)
	ds_write_b64 v12, v[10:11]
	v_add_nc_u32_e32 v10, 8, v7
	v_add_nc_u32_e32 v11, 16, v7
	;; [unrolled: 1-line block ×3, first 2 shown]
	s_waitcnt vmcnt(2) lgkmcnt(3)
	ds_write_b64 v18, v[16:17]
	s_waitcnt vmcnt(1) lgkmcnt(3)
	ds_write_b64 v30, v[28:29]
	;; [unrolled: 2-line block ×3, first 2 shown]
	s_cbranch_execz .LBB46_120
	s_branch .LBB46_137
.LBB46_103:
	s_mov_b32 s17, exec_lo
                                        ; implicit-def: $vgpr12
	v_cmpx_eq_u32_e64 v11, v1
; %bb.104:
	v_add_nc_u32_e32 v12, v8, v6
	s_mov_b32 s2, exec_lo
; %bb.105:
	s_or_b32 exec_lo, exec_lo, s17
	s_and_b32 s2, s2, exec_lo
	s_or_saveexec_b32 s9, s9
	v_mov_b32_e32 v15, 0
	s_xor_b32 exec_lo, exec_lo, s9
	s_cbranch_execz .LBB46_47
.LBB46_106:
	v_mad_u32_u24 v12, 0x108, v11, v8
	v_lshl_add_u32 v18, v5, 3, v9
	s_or_b32 s2, s2, exec_lo
	ds_read_b64 v[16:17], v12
	v_add_nc_u32_e32 v12, 16, v18
	s_waitcnt lgkmcnt(0)
	v_xor_b32_e32 v15, 0x80000000, v17
	ds_write_b32 v18, v16 offset:16
	s_or_b32 exec_lo, exec_lo, s9
	s_and_saveexec_b32 s9, s2
	s_cbranch_execnz .LBB46_48
	s_branch .LBB46_49
.LBB46_107:
	s_mov_b32 s19, exec_lo
                                        ; implicit-def: $vgpr15
	v_cmpx_eq_u32_e64 v12, v1
; %bb.108:
	v_add_nc_u32_e32 v15, v8, v6
	s_mov_b32 s2, exec_lo
; %bb.109:
	s_or_b32 exec_lo, exec_lo, s19
	s_and_b32 s2, s2, exec_lo
                                        ; implicit-def: $vgpr9
	s_or_saveexec_b32 s17, s17
	v_mov_b32_e32 v16, 0
	s_xor_b32 exec_lo, exec_lo, s17
	s_cbranch_execz .LBB46_51
.LBB46_110:
	v_mad_u32_u24 v15, 0x108, v12, v8
	v_lshl_add_u32 v9, v5, 3, v9
	s_or_b32 s2, s2, exec_lo
	ds_read_b64 v[17:18], v15
	v_add_nc_u32_e32 v15, 24, v9
	s_waitcnt lgkmcnt(0)
	v_xor_b32_e32 v16, 0x80000000, v18
	ds_write_b32 v9, v17 offset:24
	s_or_b32 exec_lo, exec_lo, s17
	s_and_saveexec_b32 s17, s2
	s_cbranch_execnz .LBB46_52
	s_branch .LBB46_53
.LBB46_111:
	s_mov_b32 s8, exec_lo
                                        ; implicit-def: $vgpr10
	v_cmpx_eq_u32_e64 v11, v1
; %bb.112:
	v_add_nc_u32_e32 v10, v8, v6
	s_mov_b32 s3, exec_lo
; %bb.113:
	s_or_b32 exec_lo, exec_lo, s8
	s_and_b32 s3, s3, exec_lo
	s_or_saveexec_b32 s7, s7
	v_mov_b32_e32 v11, 0
	s_xor_b32 exec_lo, exec_lo, s7
	s_cbranch_execz .LBB46_93
.LBB46_114:
	ds_read_b64 v[16:17], v4 offset:264
	v_lshl_add_u32 v18, v5, 3, v26
	s_or_b32 s3, s3, exec_lo
	v_add_nc_u32_e32 v10, 16, v18
	s_waitcnt lgkmcnt(0)
	v_xor_b32_e32 v11, 0x80000000, v17
	ds_write_b32 v18, v16 offset:16
	s_or_b32 exec_lo, exec_lo, s7
	s_and_saveexec_b32 s7, s3
	s_cbranch_execnz .LBB46_94
	s_branch .LBB46_95
.LBB46_115:
	s_mov_b32 s8, exec_lo
                                        ; implicit-def: $vgpr10
	v_cmpx_eq_u32_e64 v12, v1
; %bb.116:
	v_add_nc_u32_e32 v10, v8, v6
	s_mov_b32 s3, exec_lo
; %bb.117:
	s_or_b32 exec_lo, exec_lo, s8
	s_and_b32 s3, s3, exec_lo
	s_or_saveexec_b32 s7, s7
	v_mov_b32_e32 v6, 0
	s_xor_b32 exec_lo, exec_lo, s7
	s_cbranch_execz .LBB46_97
.LBB46_118:
	ds_read_b64 v[11:12], v4 offset:528
	v_lshl_add_u32 v16, v5, 3, v26
	s_or_b32 s3, s3, exec_lo
	v_add_nc_u32_e32 v10, 24, v16
	s_waitcnt lgkmcnt(0)
	v_xor_b32_e32 v6, 0x80000000, v12
	ds_write_b32 v16, v11 offset:24
	s_or_b32 exec_lo, exec_lo, s7
	s_and_saveexec_b32 s7, s3
	s_cbranch_execnz .LBB46_98
	s_branch .LBB46_99
.LBB46_119:
                                        ; implicit-def: $vgpr6
                                        ; implicit-def: $vgpr10
                                        ; implicit-def: $vgpr4
                                        ; implicit-def: $vgpr11
                                        ; implicit-def: $vgpr3
                                        ; implicit-def: $vgpr12
                                        ; implicit-def: $vgpr13
.LBB46_120:
	v_or_b32_e32 v1, 32, v1
	s_ashr_i32 s17, s16, 31
	v_cmp_le_i32_e64 s7, s16, v7
	s_lshl_b64 s[8:9], s[16:17], 3
	v_mul_u32_u24_e32 v6, 0x108, v7
	v_lshlrev_b32_e32 v3, 3, v1
	v_sub_co_u32 v3, vcc_lo, v23, v3
	v_subrev_co_ci_u32_e64 v4, null, 0, v24, vcc_lo
	v_add_co_u32 v3, vcc_lo, v3, s8
	v_add_co_ci_u32_e64 v4, null, s9, v4, vcc_lo
	v_add_co_u32 v3, vcc_lo, v3, -8
	v_add_co_ci_u32_e64 v4, null, -1, v4, vcc_lo
	v_cmp_gt_i32_e32 vcc_lo, s16, v1
	v_cndmask_b32_e32 v4, v4, v24, vcc_lo
	v_cndmask_b32_e32 v3, v3, v23, vcc_lo
	s_and_saveexec_b32 s10, s7
	s_xor_b32 s7, exec_lo, s10
	s_cbranch_execz .LBB46_122
; %bb.121:
	v_mov_b32_e32 v10, 0
	v_add_nc_u32_e32 v1, v8, v6
	v_mov_b32_e32 v11, v10
	ds_write_b64 v1, v[10:11]
.LBB46_122:
	s_andn2_saveexec_b32 s7, s7
	s_cbranch_execz .LBB46_124
; %bb.123:
	flat_load_dwordx2 v[10:11], v[3:4]
	v_add_nc_u32_e32 v1, v8, v6
	s_waitcnt vmcnt(0) lgkmcnt(0)
	ds_write_b64 v1, v[10:11]
.LBB46_124:
	s_or_b32 exec_lo, exec_lo, s7
	v_add_nc_u32_e32 v10, 8, v7
	v_cmp_le_i32_e64 s7, s16, v10
	s_and_saveexec_b32 s10, s7
	s_xor_b32 s7, exec_lo, s10
	s_cbranch_execz .LBB46_126
; %bb.125:
	v_mov_b32_e32 v11, 0
	v_add_nc_u32_e32 v1, v6, v8
	v_mov_b32_e32 v12, v11
	ds_write_b64 v1, v[11:12] offset:2112
.LBB46_126:
	s_andn2_saveexec_b32 s10, s7
	s_cbranch_execz .LBB46_128
; %bb.127:
	s_lshl_b32 s22, s18, 3
	v_add_nc_u32_e32 v1, v6, v8
	s_ashr_i32 s23, s22, 31
	s_lshl_b64 s[22:23], s[22:23], 3
	v_add_co_u32 v11, s7, v3, s22
	v_add_co_ci_u32_e64 v12, null, s23, v4, s7
	flat_load_dwordx2 v[11:12], v[11:12]
	s_waitcnt vmcnt(0) lgkmcnt(0)
	ds_write_b64 v1, v[11:12] offset:2112
.LBB46_128:
	s_or_b32 exec_lo, exec_lo, s10
	v_add_nc_u32_e32 v11, 16, v7
	v_cmp_le_i32_e64 s7, s16, v11
	s_and_saveexec_b32 s10, s7
	s_xor_b32 s7, exec_lo, s10
	s_cbranch_execz .LBB46_130
; %bb.129:
	v_mov_b32_e32 v12, 0
	v_add_nc_u32_e32 v1, v6, v8
	v_mov_b32_e32 v13, v12
	ds_write_b64 v1, v[12:13] offset:4224
.LBB46_130:
	s_andn2_saveexec_b32 s10, s7
	s_cbranch_execz .LBB46_132
; %bb.131:
	s_lshl_b32 s22, s18, 4
	v_add_nc_u32_e32 v1, v6, v8
	s_ashr_i32 s23, s22, 31
	s_lshl_b64 s[22:23], s[22:23], 3
	v_add_co_u32 v12, s7, v3, s22
	v_add_co_ci_u32_e64 v13, null, s23, v4, s7
	flat_load_dwordx2 v[12:13], v[12:13]
	s_waitcnt vmcnt(0) lgkmcnt(0)
	ds_write_b64 v1, v[12:13] offset:4224
.LBB46_132:
	s_or_b32 exec_lo, exec_lo, s10
	v_add_nc_u32_e32 v12, 24, v7
                                        ; implicit-def: $vgpr13
	v_cmp_le_i32_e64 s7, s16, v12
	s_and_saveexec_b32 s10, s7
	s_xor_b32 s7, exec_lo, s10
	s_cbranch_execz .LBB46_134
; %bb.133:
	v_add_nc_u32_e32 v13, 0x18c0, v6
	v_mov_b32_e32 v14, 0
	v_add_nc_u32_e32 v1, v8, v13
	v_mov_b32_e32 v15, v14
	ds_write_b64 v1, v[14:15]
.LBB46_134:
	s_andn2_saveexec_b32 s10, s7
	s_cbranch_execz .LBB46_136
; %bb.135:
	s_mul_i32 s22, s18, 24
	s_ashr_i32 s23, s22, 31
	s_lshl_b64 s[22:23], s[22:23], 3
	v_add_co_u32 v13, s7, v3, s22
	v_add_co_ci_u32_e64 v14, null, s23, v4, s7
	flat_load_dwordx2 v[14:15], v[13:14]
	v_add_nc_u32_e32 v13, 0x18c0, v6
	v_add_nc_u32_e32 v1, v8, v13
	s_waitcnt vmcnt(0) lgkmcnt(0)
	ds_write_b64 v1, v[14:15]
.LBB46_136:
	s_or_b32 exec_lo, exec_lo, s10
	v_add_co_u32 v1, s7, v3, v8
	v_add_co_ci_u32_e64 v3, null, 0, v4, s7
	v_add_nc_u32_e32 v4, 0x840, v6
	v_sub_co_u32 v1, s7, v1, s8
	v_subrev_co_ci_u32_e64 v3, null, s9, v3, s7
	v_add_co_u32 v1, s7, 0x108, v1
	v_add_co_ci_u32_e64 v3, null, 0, v3, s7
	v_cndmask_b32_e32 v23, v1, v23, vcc_lo
	v_cndmask_b32_e32 v24, v3, v24, vcc_lo
	v_add_nc_u32_e32 v3, 0x1080, v6
.LBB46_137:
	v_add_nc_u32_e32 v1, v8, v6
	v_lshlrev_b32_e32 v6, 3, v7
	v_add_nc_u32_e32 v4, v8, v4
	v_lshlrev_b32_e32 v7, 3, v10
	v_add_nc_u32_e32 v3, v8, v3
	s_waitcnt lgkmcnt(0)
	s_barrier
	buffer_gl0_inv
	v_lshlrev_b32_e32 v10, 3, v11
	v_add_nc_u32_e32 v8, v8, v13
	v_lshlrev_b32_e32 v11, 3, v12
	ds_read_b64 v[28:29], v1
	ds_read_b64 v[30:31], v6 offset:9088
	ds_read_b64 v[32:33], v4
	ds_read_b64 v[38:39], v7 offset:9088
	;; [unrolled: 2-line block ×3, first 2 shown]
	ds_read2_b32 v[44:45], v8 offset1:1
	ds_read_b64 v[46:47], v11 offset:9088
	v_lshl_add_u32 v1, v5, 3, v26
	ds_read_b128 v[11:14], v9 offset:256
	ds_read_b128 v[3:6], v9 offset:272
	ds_read2_b64 v[15:18], v1 offset1:1
	ds_read2_b64 v[7:10], v1 offset0:2 offset1:3
	s_waitcnt lgkmcnt(0)
	s_barrier
	buffer_gl0_inv
	v_mul_f32_e32 v1, v31, v29
	v_mul_f32_e32 v29, v30, v29
	;; [unrolled: 1-line block ×5, first 2 shown]
	v_fma_f32 v1, v30, v28, -v1
	v_fmac_f32_e32 v29, v31, v28
	v_mul_f32_e32 v28, v42, v41
	v_fma_f32 v30, v38, v32, -v34
	v_fmac_f32_e32 v33, v39, v32
	v_add_f32_e32 v1, 0, v1
	v_add_f32_e32 v29, 0, v29
	v_mul_f32_e32 v49, v47, v45
	v_mul_f32_e32 v31, v46, v45
	v_fma_f32 v32, v42, v40, -v48
	v_fmac_f32_e32 v28, v43, v40
	v_add_f32_e32 v1, v1, v30
	v_add_f32_e32 v29, v29, v33
	v_fma_f32 v30, v46, v44, -v49
	v_fmac_f32_e32 v31, v47, v44
	v_add_f32_e32 v1, v1, v32
	v_add_f32_e32 v29, v29, v28
	;; [unrolled: 1-line block ×4, first 2 shown]
	ds_write_b64 v27, v[28:29]
	s_waitcnt lgkmcnt(0)
	s_barrier
	buffer_gl0_inv
	s_and_saveexec_b32 s7, s3
	s_cbranch_execz .LBB46_139
; %bb.138:
	ds_read2_b64 v[28:31], v26 offset1:1
	ds_read2_b64 v[38:41], v26 offset0:2 offset1:3
	ds_read2_b64 v[42:45], v26 offset0:4 offset1:5
	s_waitcnt lgkmcnt(2)
	v_add_f32_e32 v1, v36, v28
	v_add_f32_e32 v28, v37, v29
	;; [unrolled: 1-line block ×4, first 2 shown]
	ds_read2_b64 v[28:31], v26 offset0:6 offset1:7
	s_waitcnt lgkmcnt(2)
	v_add_f32_e32 v1, v1, v38
	v_add_f32_e32 v32, v32, v39
	v_add_f32_e32 v1, v1, v40
	v_add_f32_e32 v32, v32, v41
	s_waitcnt lgkmcnt(1)
	v_add_f32_e32 v1, v1, v42
	v_add_f32_e32 v32, v32, v43
	v_add_f32_e32 v1, v1, v44
	v_add_f32_e32 v32, v32, v45
	;; [unrolled: 5-line block ×3, first 2 shown]
.LBB46_139:
	s_or_b32 exec_lo, exec_lo, s7
	v_mul_f32_e32 v1, v16, v12
	v_mul_f32_e32 v16, v16, v11
	v_mul_f32_e32 v28, v18, v14
	v_mul_f32_e32 v18, v18, v13
	v_mul_f32_e32 v29, v8, v4
	v_fmac_f32_e32 v1, v15, v11
	v_fma_f32 v11, v15, v12, -v16
	v_mul_f32_e32 v8, v8, v3
	v_fmac_f32_e32 v28, v17, v13
	v_fma_f32 v13, v17, v14, -v18
	v_add_f32_e32 v1, 0, v1
	v_add_f32_e32 v11, 0, v11
	v_mul_f32_e32 v12, v10, v6
	v_mul_f32_e32 v10, v10, v5
	v_fmac_f32_e32 v29, v7, v3
	v_add_f32_e32 v1, v1, v28
	v_fma_f32 v3, v7, v4, -v8
	v_add_f32_e32 v4, v11, v13
	v_fmac_f32_e32 v12, v9, v5
	v_fma_f32 v5, v9, v6, -v10
	v_add_f32_e32 v1, v1, v29
	v_add_f32_e32 v4, v4, v3
	s_barrier
	buffer_gl0_inv
	v_add_f32_e32 v3, v1, v12
	v_add_f32_e32 v4, v4, v5
	ds_write_b64 v27, v[3:4]
	s_waitcnt lgkmcnt(0)
	s_barrier
	buffer_gl0_inv
	s_and_saveexec_b32 s3, s2
	s_cbranch_execz .LBB46_141
; %bb.140:
	ds_read2_b64 v[3:6], v26 offset1:1
	ds_read2_b64 v[7:10], v26 offset0:2 offset1:3
	ds_read2_b64 v[11:14], v26 offset0:4 offset1:5
	s_waitcnt lgkmcnt(2)
	v_add_f32_e32 v1, v36, v3
	v_add_f32_e32 v3, v37, v4
	;; [unrolled: 1-line block ×4, first 2 shown]
	ds_read2_b64 v[3:6], v26 offset0:6 offset1:7
	s_waitcnt lgkmcnt(2)
	v_add_f32_e32 v1, v1, v7
	v_add_f32_e32 v7, v15, v8
	v_add_f32_e32 v1, v1, v9
	v_add_f32_e32 v7, v7, v10
	s_waitcnt lgkmcnt(1)
	v_add_f32_e32 v1, v1, v11
	v_add_f32_e32 v7, v7, v12
	v_add_f32_e32 v1, v1, v13
	v_add_f32_e32 v7, v7, v14
	;; [unrolled: 5-line block ×3, first 2 shown]
.LBB46_141:
	s_or_b32 exec_lo, exec_lo, s3
	s_load_dwordx2 s[2:3], s[4:5], 0x68
	s_mul_hi_u32 s4, s13, s12
	s_mul_i32 s27, s27, s12
	s_mul_i32 s5, s13, s12
	s_add_i32 s4, s4, s27
	s_mul_hi_u32 s7, s5, s26
	s_mul_i32 s8, s4, s26
	s_mul_i32 s4, s5, s26
	s_add_i32 s5, s7, s8
	s_mul_i32 s8, s13, s6
	s_lshl_b64 s[4:5], s[4:5], 3
	v_cmp_le_i32_e32 vcc_lo, s16, v0
	v_lshlrev_b32_e32 v72, 3, v0
	s_waitcnt lgkmcnt(0)
	s_barrier
	buffer_gl0_inv
	s_add_u32 s4, s2, s4
	s_addc_u32 s5, s3, s5
	s_ashr_i32 s9, s8, 31
	s_lshl_b64 s[2:3], s[8:9], 3
	s_add_u32 s7, s4, s2
	s_addc_u32 s10, s5, s3
	s_and_b32 vcc_lo, s15, vcc_lo
	s_cmp_lt_i32 s6, 1
	s_cbranch_scc1 .LBB46_148
; %bb.142:
	v_mul_lo_u32 v1, v2, s18
	v_sub_co_u32 v7, s2, v23, s20
	v_subrev_co_ci_u32_e64 v8, null, s21, v24, s2
	s_ashr_i32 s17, s16, 31
	v_add_co_u32 v7, s2, 0xffffff00, v7
	v_lshl_add_u32 v3, v1, 2, v0
	v_add_co_ci_u32_e64 v8, null, -1, v8, s2
	v_sub_co_u32 v7, s2, v7, v21
	v_ashrrev_i32_e32 v4, 31, v3
	v_sub_co_ci_u32_e64 v8, null, v8, v22, s2
	v_lshrrev_b32_e32 v5, 4, v25
	v_and_b32_e32 v6, 15, v0
	v_lshlrev_b64 v[3:4], 3, v[3:4]
	s_mul_i32 s4, s11, s14
	v_mov_b32_e32 v1, 0
	s_ashr_i32 s5, s4, 31
	v_add_nc_u32_e32 v75, 0x2180, v72
	s_lshl_b64 s[4:5], s[4:5], 3
	v_add_co_u32 v3, s2, v7, v3
	v_add_co_ci_u32_e64 v4, null, v8, v4, s2
	v_lshl_add_u32 v76, v2, 5, 0x2180
	v_sub_co_u32 v7, s2, v3, v72
	v_subrev_co_ci_u32_e64 v8, null, 0, v4, s2
	s_lshl_b64 s[2:3], s[16:17], 3
	v_add_nc_u32_e32 v77, 0x2380, v72
	v_add_co_u32 v7, s2, v7, s2
	v_add_co_ci_u32_e64 v8, null, s3, v8, s2
	v_mad_u32_u24 v78, 0x860, v2, v72
	v_add_co_u32 v7, s2, v7, -8
	v_add_co_ci_u32_e64 v8, null, -1, v8, s2
	v_sub_co_u32 v73, s2, v19, s4
	v_cndmask_b32_e32 v3, v3, v7, vcc_lo
	v_cndmask_b32_e32 v4, v4, v8, vcc_lo
	v_and_b32_e32 v7, 48, v0
	v_lshlrev_b32_e32 v8, 5, v5
	v_mul_i32_i24_e32 v5, 0xffffffe8, v5
	v_subrev_co_ci_u32_e64 v74, null, s5, v20, s2
	v_lshlrev_b32_e32 v7, 3, v7
	v_mad_u32_u24 v79, 0x218, v6, v8
	v_or_b32_e32 v8, 0x78, v72
	v_cmp_gt_u32_e64 s2, 64, v25
	s_ashr_i32 s19, s18, 31
	v_mad_u32_u24 v80, 0x218, v6, v7
	v_add_nc_u32_e32 v82, v79, v5
	v_mad_u32_u24 v81, 0x218, v6, v8
	s_lshl_b32 s11, s11, 6
	s_lshl_b64 s[4:5], s[18:19], 3
	s_mul_hi_i32 s12, s18, 0x68
	s_mul_i32 s13, s18, 0x68
	s_mov_b32 s8, 0
	s_branch .LBB46_144
.LBB46_143:                             ;   in Loop: Header=BB46_144 Depth=1
	s_or_b32 exec_lo, exec_lo, s9
	v_mul_f32_e32 v83, v39, v4
	v_mul_f32_e32 v4, v38, v4
	;; [unrolled: 1-line block ×5, first 2 shown]
	v_fma_f32 v38, v38, v3, -v83
	v_fmac_f32_e32 v4, v39, v3
	v_fma_f32 v42, v42, v5, -v84
	v_mul_f32_e32 v8, v44, v8
	v_mul_f32_e32 v83, v41, v10
	v_add_f32_e32 v36, v36, v38
	v_fma_f32 v3, v44, v7, -v85
	v_fmac_f32_e32 v6, v43, v5
	v_add_f32_e32 v4, v37, v4
	v_mul_f32_e32 v10, v40, v10
	v_add_f32_e32 v36, v36, v42
	v_mul_f32_e32 v38, v53, v16
	v_fma_f32 v5, v40, v9, -v83
	v_fmac_f32_e32 v8, v45, v7
	v_add_f32_e32 v4, v4, v6
	v_add_f32_e32 v3, v36, v3
	v_mul_f32_e32 v16, v52, v16
	v_mul_f32_e32 v39, v51, v18
	v_fma_f32 v6, v52, v15, -v38
	v_fmac_f32_e32 v10, v41, v9
	v_add_f32_e32 v3, v3, v5
	v_add_f32_e32 v4, v4, v8
	v_mul_f32_e32 v18, v50, v18
	v_mul_f32_e32 v5, v49, v12
	v_fma_f32 v7, v50, v17, -v39
	v_add_f32_e32 v3, v3, v6
	v_fmac_f32_e32 v16, v53, v15
	v_add_f32_e32 v4, v4, v10
	v_mul_f32_e32 v6, v47, v14
	v_fma_f32 v5, v48, v11, -v5
	v_add_f32_e32 v3, v3, v7
	v_mul_f32_e32 v7, v48, v12
	v_fmac_f32_e32 v18, v51, v17
	v_add_f32_e32 v4, v4, v16
	v_fma_f32 v6, v46, v13, -v6
	v_add_f32_e32 v3, v3, v5
	v_mul_f32_e32 v5, v61, v24
	v_fmac_f32_e32 v7, v49, v11
	v_add_f32_e32 v4, v4, v18
	v_mul_f32_e32 v8, v46, v14
	v_add_f32_e32 v3, v3, v6
	v_fma_f32 v5, v60, v23, -v5
	v_mul_f32_e32 v6, v59, v26
	v_add_f32_e32 v4, v4, v7
	v_fmac_f32_e32 v8, v47, v13
	v_mul_f32_e32 v7, v60, v24
	v_add_f32_e32 v3, v3, v5
	v_fma_f32 v5, v58, v25, -v6
	v_mul_f32_e32 v6, v57, v20
	v_add_f32_e32 v4, v4, v8
	v_fmac_f32_e32 v7, v61, v23
	v_mul_f32_e32 v8, v58, v26
	v_add_f32_e32 v3, v3, v5
	v_fma_f32 v5, v56, v19, -v6
	v_mul_f32_e32 v6, v55, v22
	v_add_f32_e32 v4, v4, v7
	v_fmac_f32_e32 v8, v59, v25
	v_mul_f32_e32 v7, v56, v20
	v_add_f32_e32 v3, v3, v5
	v_fma_f32 v5, v54, v21, -v6
	v_mul_f32_e32 v6, v71, v32
	v_add_f32_e32 v4, v4, v8
	v_fmac_f32_e32 v7, v57, v19
	v_mul_f32_e32 v8, v54, v22
	v_add_f32_e32 v3, v3, v5
	v_fma_f32 v5, v70, v31, -v6
	v_mul_f32_e32 v6, v69, v34
	v_add_f32_e32 v4, v4, v7
	v_fmac_f32_e32 v8, v55, v21
	v_mul_f32_e32 v7, v70, v32
	v_add_f32_e32 v3, v3, v5
	v_fma_f32 v5, v68, v33, -v6
	v_mul_f32_e32 v6, v68, v34
	v_add_f32_e32 v4, v4, v8
	v_fmac_f32_e32 v7, v71, v31
	v_mul_f32_e32 v8, v65, v28
	v_add_f32_e32 v3, v3, v5
	v_mul_f32_e32 v5, v64, v28
	v_fmac_f32_e32 v6, v69, v33
	v_add_f32_e32 v4, v4, v7
	v_fma_f32 v7, v64, v27, -v8
	v_mul_f32_e32 v8, v67, v30
	v_mul_f32_e32 v9, v66, v30
	v_fmac_f32_e32 v5, v65, v27
	v_add_f32_e32 v4, v4, v6
	v_add_f32_e32 v3, v3, v7
	v_fma_f32 v6, v66, v29, -v8
	v_fmac_f32_e32 v9, v67, v29
	v_add_nc_u32_e32 v0, 64, v0
	v_add_f32_e32 v4, v4, v5
	s_add_i32 s6, s6, -1
	v_add_f32_e32 v36, v3, v6
	v_add_co_u32 v3, s3, v62, s13
	v_add_f32_e32 v37, v4, v9
	v_add_co_ci_u32_e64 v4, null, s12, v63, s3
	s_add_i32 s8, s8, s11
	s_cmp_eq_u32 s6, 0
	s_waitcnt_vscnt null, 0x0
	s_barrier
	buffer_gl0_inv
	s_cbranch_scc1 .LBB46_148
.LBB46_144:                             ; =>This Inner Loop Header: Depth=1
	s_and_saveexec_b32 s14, s1
	s_cbranch_execz .LBB46_146
; %bb.145:                              ;   in Loop: Header=BB46_144 Depth=1
	s_ashr_i32 s9, s8, 31
	s_lshl_b64 s[16:17], s[8:9], 3
	v_add_co_u32 v5, s3, v73, s16
	v_add_co_ci_u32_e64 v6, null, s17, v74, s3
	flat_load_dwordx2 v[5:6], v[5:6]
	s_waitcnt vmcnt(0) lgkmcnt(0)
	ds_write_b64 v75, v[5:6]
.LBB46_146:                             ;   in Loop: Header=BB46_144 Depth=1
	s_or_b32 exec_lo, exec_lo, s14
	v_add_co_u32 v5, s3, v3, s4
	v_add_co_ci_u32_e64 v6, null, s5, v4, s3
	s_waitcnt lgkmcnt(0)
	s_barrier
	buffer_gl0_inv
	s_clause 0x1
	flat_load_dwordx2 v[38:39], v[3:4]
	flat_load_dwordx2 v[42:43], v[5:6]
	v_add_co_u32 v3, s3, v5, s4
	v_add_co_ci_u32_e64 v4, null, s5, v6, s3
	v_add_co_u32 v11, s3, v3, s4
	v_add_co_ci_u32_e64 v12, null, s5, v4, s3
	s_clause 0x1
	flat_load_dwordx2 v[44:45], v[3:4]
	flat_load_dwordx2 v[40:41], v[11:12]
	ds_read_b64 v[13:14], v77
	ds_read_b128 v[3:6], v76
	ds_read_b128 v[7:10], v76 offset:16
	v_add_co_u32 v11, s3, v11, s13
	v_add_co_ci_u32_e64 v12, null, s12, v12, s3
	v_add_co_u32 v19, s3, v11, s4
	v_add_co_ci_u32_e64 v20, null, s5, v12, s3
	s_waitcnt vmcnt(3) lgkmcnt(2)
	v_mul_f32_e32 v15, v39, v14
	v_mul_f32_e32 v16, v39, v13
	s_waitcnt vmcnt(2)
	v_mul_f32_e32 v17, v43, v14
	v_mul_f32_e32 v18, v43, v13
	v_fmac_f32_e32 v15, v38, v13
	v_fma_f32 v16, v38, v14, -v16
	v_fmac_f32_e32 v17, v42, v13
	v_fma_f32 v18, v42, v14, -v18
	s_waitcnt vmcnt(1)
	v_mul_f32_e32 v21, v45, v14
	s_waitcnt vmcnt(0)
	v_mul_f32_e32 v23, v41, v14
	v_mul_f32_e32 v22, v45, v13
	;; [unrolled: 1-line block ×3, first 2 shown]
	v_fmac_f32_e32 v21, v44, v13
	v_fmac_f32_e32 v23, v40, v13
	v_add_co_u32 v13, s3, v19, s4
	v_fma_f32 v22, v44, v14, -v22
	v_fma_f32 v24, v40, v14, -v24
	v_add_co_ci_u32_e64 v14, null, s5, v20, s3
	ds_write2_b64 v78, v[15:16], v[17:18] offset1:67
	ds_write2_b64 v78, v[21:22], v[23:24] offset0:134 offset1:201
	s_waitcnt lgkmcnt(0)
	s_barrier
	buffer_gl0_inv
	ds_read2_b64 v[83:86], v79 offset1:1
	ds_read2_b64 v[87:90], v79 offset0:2 offset1:3
	s_waitcnt lgkmcnt(0)
	s_barrier
	buffer_gl0_inv
	flat_load_dwordx2 v[52:53], v[11:12]
	v_add_co_u32 v11, s3, v13, s4
	v_add_co_ci_u32_e64 v12, null, s5, v14, s3
	s_clause 0x2
	flat_load_dwordx2 v[50:51], v[19:20]
	flat_load_dwordx2 v[48:49], v[13:14]
	;; [unrolled: 1-line block ×3, first 2 shown]
	ds_read_b64 v[13:14], v77
	v_add_co_u32 v19, s3, v11, s13
	v_add_co_ci_u32_e64 v20, null, s12, v12, s3
	v_add_co_u32 v21, s3, v19, s4
	v_add_co_ci_u32_e64 v22, null, s5, v20, s3
	v_add_f32_e32 v83, 0, v83
	v_add_co_u32 v23, s3, v21, s4
	v_add_co_ci_u32_e64 v24, null, s5, v22, s3
	v_add_f32_e32 v84, 0, v84
	;; [unrolled: 3-line block ×3, first 2 shown]
	v_add_f32_e32 v84, v84, v86
	v_add_f32_e32 v87, v83, v87
	v_add_f32_e32 v88, v84, v88
	v_add_f32_e32 v87, v87, v89
	v_add_f32_e32 v88, v88, v90
	s_waitcnt vmcnt(3) lgkmcnt(0)
	v_mul_f32_e32 v25, v53, v14
	v_mul_f32_e32 v11, v53, v13
	s_waitcnt vmcnt(2)
	v_mul_f32_e32 v27, v51, v14
	v_mul_f32_e32 v12, v51, v13
	s_waitcnt vmcnt(1)
	;; [unrolled: 3-line block ×3, first 2 shown]
	v_mul_f32_e32 v31, v47, v14
	v_mul_f32_e32 v16, v47, v13
	v_fmac_f32_e32 v25, v52, v13
	v_fma_f32 v26, v52, v14, -v11
	v_fmac_f32_e32 v27, v50, v13
	v_fma_f32 v28, v50, v14, -v12
	;; [unrolled: 2-line block ×4, first 2 shown]
	ds_read_b128 v[15:18], v76 offset:128
	ds_read_b128 v[11:14], v76 offset:144
	ds_write2_b64 v78, v[25:26], v[27:28] offset1:67
	ds_write2_b64 v78, v[29:30], v[31:32] offset0:134 offset1:201
	s_waitcnt lgkmcnt(0)
	s_barrier
	buffer_gl0_inv
	ds_read2_b64 v[91:94], v79 offset1:1
	ds_read2_b64 v[95:98], v79 offset0:2 offset1:3
	s_waitcnt lgkmcnt(0)
	s_barrier
	buffer_gl0_inv
	s_clause 0x2
	flat_load_dwordx2 v[60:61], v[19:20]
	flat_load_dwordx2 v[58:59], v[21:22]
	;; [unrolled: 1-line block ×4, first 2 shown]
	ds_read_b64 v[19:20], v77
	v_add_co_u32 v27, s3, v33, s13
	v_add_co_ci_u32_e64 v28, null, s12, v34, s3
	v_add_co_u32 v29, s3, v27, s4
	v_add_co_ci_u32_e64 v30, null, s5, v28, s3
	;; [unrolled: 2-line block ×3, first 2 shown]
	v_add_f32_e32 v91, 0, v91
	v_add_f32_e32 v92, 0, v92
	v_add_f32_e32 v91, v91, v93
	v_add_f32_e32 v89, v92, v94
	v_add_f32_e32 v90, v91, v95
	v_add_f32_e32 v95, v89, v96
	v_add_f32_e32 v89, v90, v97
	v_add_f32_e32 v90, v95, v98
	s_waitcnt vmcnt(3) lgkmcnt(0)
	v_mul_f32_e32 v21, v61, v19
	v_mul_f32_e32 v31, v61, v20
	s_waitcnt vmcnt(2)
	v_mul_f32_e32 v22, v59, v19
	v_mul_f32_e32 v33, v59, v20
	s_waitcnt vmcnt(1)
	v_mul_f32_e32 v23, v57, v19
	s_waitcnt vmcnt(0)
	v_mul_f32_e32 v24, v55, v19
	v_mul_f32_e32 v62, v57, v20
	;; [unrolled: 1-line block ×3, first 2 shown]
	v_fma_f32 v32, v60, v20, -v21
	v_fma_f32 v34, v58, v20, -v22
	v_fmac_f32_e32 v31, v60, v19
	v_fmac_f32_e32 v33, v58, v19
	v_fma_f32 v63, v56, v20, -v23
	v_fma_f32 v65, v54, v20, -v24
	v_fmac_f32_e32 v62, v56, v19
	v_fmac_f32_e32 v64, v54, v19
	ds_read_b128 v[23:26], v76 offset:256
	ds_read_b128 v[19:22], v76 offset:272
	ds_write2_b64 v78, v[31:32], v[33:34] offset1:67
	ds_write2_b64 v78, v[62:63], v[64:65] offset0:134 offset1:201
	v_add_co_u32 v62, s3, v66, s4
	v_add_co_ci_u32_e64 v63, null, s5, v67, s3
	s_waitcnt lgkmcnt(0)
	s_barrier
	buffer_gl0_inv
	ds_read2_b64 v[99:102], v79 offset1:1
	ds_read2_b64 v[103:106], v79 offset0:2 offset1:3
	s_waitcnt lgkmcnt(0)
	s_barrier
	buffer_gl0_inv
	flat_load_dwordx2 v[70:71], v[27:28]
	flat_load_dwordx2 v[68:69], v[29:30]
	;; [unrolled: 1-line block ×4, first 2 shown]
	ds_read_b64 v[27:28], v77
	v_add_f32_e32 v91, 0, v99
	v_add_f32_e32 v92, 0, v100
	;; [unrolled: 1-line block ×6, first 2 shown]
	s_waitcnt vmcnt(2) lgkmcnt(0)
	v_mul_f32_e32 v30, v69, v27
	v_mul_f32_e32 v29, v71, v27
	;; [unrolled: 1-line block ×4, first 2 shown]
	s_waitcnt vmcnt(1)
	v_mul_f32_e32 v31, v65, v27
	v_mul_f32_e32 v111, v65, v28
	s_waitcnt vmcnt(0)
	v_mul_f32_e32 v32, v67, v27
	v_mul_f32_e32 v113, v67, v28
	v_fma_f32 v108, v70, v28, -v29
	v_fma_f32 v110, v68, v28, -v30
	v_fmac_f32_e32 v107, v70, v27
	v_fmac_f32_e32 v109, v68, v27
	v_fma_f32 v112, v64, v28, -v31
	v_fma_f32 v114, v66, v28, -v32
	v_fmac_f32_e32 v111, v64, v27
	v_fmac_f32_e32 v113, v66, v27
	ds_read_b128 v[31:34], v76 offset:384
	ds_read_b128 v[27:30], v76 offset:400
	ds_write2_b64 v78, v[107:108], v[109:110] offset1:67
	ds_write2_b64 v78, v[111:112], v[113:114] offset0:134 offset1:201
	s_waitcnt lgkmcnt(0)
	s_barrier
	buffer_gl0_inv
	ds_read2_b64 v[107:110], v79 offset1:1
	ds_read2_b64 v[83:86], v79 offset0:2 offset1:3
	s_waitcnt lgkmcnt(0)
	s_barrier
	buffer_gl0_inv
	v_add_f32_e32 v93, 0, v107
	v_add_f32_e32 v94, 0, v108
	;; [unrolled: 1-line block ×10, first 2 shown]
	ds_write2_b64 v82, v[87:88], v[89:90] offset1:16
	ds_write2_b64 v82, v[83:84], v[85:86] offset0:32 offset1:48
	s_waitcnt lgkmcnt(0)
	s_barrier
	buffer_gl0_inv
	s_and_saveexec_b32 s9, s2
	s_cbranch_execz .LBB46_143
; %bb.147:                              ;   in Loop: Header=BB46_144 Depth=1
	ds_read_b64 v[95:96], v80
	ds_read2_b64 v[83:86], v80 offset0:1 offset1:2
	ds_read2_b64 v[87:90], v80 offset0:3 offset1:4
	;; [unrolled: 1-line block ×3, first 2 shown]
	s_waitcnt lgkmcnt(2)
	v_add_f32_e32 v83, v83, v95
	v_add_f32_e32 v84, v84, v96
	v_add_f32_e32 v95, v85, v83
	v_add_f32_e32 v96, v86, v84
	ds_read2_b64 v[83:86], v80 offset0:7 offset1:8
	s_waitcnt lgkmcnt(2)
	v_add_f32_e32 v87, v95, v87
	v_add_f32_e32 v88, v96, v88
	v_add_f32_e32 v95, v87, v89
	v_add_f32_e32 v96, v88, v90
	ds_read2_b64 v[87:90], v80 offset0:9 offset1:10
	;; [unrolled: 6-line block ×4, first 2 shown]
	s_waitcnt lgkmcnt(2)
	v_add_f32_e32 v87, v95, v87
	v_add_f32_e32 v88, v96, v88
	;; [unrolled: 1-line block ×4, first 2 shown]
	ds_read_b64 v[87:88], v81
	s_waitcnt lgkmcnt(2)
	v_add_f32_e32 v89, v89, v91
	v_add_f32_e32 v90, v90, v92
	;; [unrolled: 1-line block ×4, first 2 shown]
	s_waitcnt lgkmcnt(1)
	v_add_f32_e32 v83, v89, v83
	v_add_f32_e32 v84, v90, v84
	;; [unrolled: 1-line block ×4, first 2 shown]
	v_lshlrev_b64 v[83:84], 3, v[0:1]
	s_waitcnt lgkmcnt(0)
	v_add_f32_e32 v85, v85, v87
	v_add_f32_e32 v86, v86, v88
	v_add_co_u32 v83, s3, s7, v83
	v_add_co_ci_u32_e64 v84, null, s10, v84, s3
	global_store_dwordx2 v[83:84], v[85:86], off
	s_branch .LBB46_143
.LBB46_148:
	v_mad_u32_u24 v0, 0x218, v2, v72
	s_nor_b32 s0, s0, vcc_lo
	ds_write_b64 v0, v[36:37]
	s_waitcnt lgkmcnt(0)
	s_barrier
	buffer_gl0_inv
	s_and_saveexec_b32 s1, s0
	s_cbranch_execz .LBB46_150
; %bb.149:
	ds_read2_b64 v[0:3], v72 offset1:67
	ds_read2_b64 v[4:7], v72 offset0:134 offset1:201
	v_ashrrev_i32_e32 v36, 31, v35
	s_waitcnt lgkmcnt(1)
	v_add_f32_e32 v0, v2, v0
	v_add_f32_e32 v1, v3, v1
	s_waitcnt lgkmcnt(0)
	v_add_f32_e32 v2, v4, v0
	v_add_f32_e32 v3, v5, v1
	v_lshlrev_b64 v[0:1], 3, v[35:36]
	v_add_f32_e32 v2, v2, v6
	v_add_f32_e32 v3, v3, v7
	v_add_co_u32 v0, vcc_lo, s7, v0
	v_add_co_ci_u32_e64 v1, null, s10, v1, vcc_lo
	global_store_dwordx2 v[0:1], v[2:3], off
.LBB46_150:
	s_endpgm
	.section	.rodata,"a",@progbits
	.p2align	6, 0x0
	.amdhsa_kernel _ZL26rocblas_hemvn_kernel_lowerILb1ELi64ELi4ELi33ELi32ELi16Ei19rocblas_complex_numIfEPKPKS1_PS1_EviT6_lT7_lT5_lS8_lS9_lS7_lT8_i
		.amdhsa_group_segment_fixed_size 9600
		.amdhsa_private_segment_fixed_size 0
		.amdhsa_kernarg_size 376
		.amdhsa_user_sgpr_count 6
		.amdhsa_user_sgpr_private_segment_buffer 1
		.amdhsa_user_sgpr_dispatch_ptr 0
		.amdhsa_user_sgpr_queue_ptr 0
		.amdhsa_user_sgpr_kernarg_segment_ptr 1
		.amdhsa_user_sgpr_dispatch_id 0
		.amdhsa_user_sgpr_flat_scratch_init 0
		.amdhsa_user_sgpr_private_segment_size 0
		.amdhsa_wavefront_size32 1
		.amdhsa_uses_dynamic_stack 0
		.amdhsa_system_sgpr_private_segment_wavefront_offset 0
		.amdhsa_system_sgpr_workgroup_id_x 1
		.amdhsa_system_sgpr_workgroup_id_y 0
		.amdhsa_system_sgpr_workgroup_id_z 1
		.amdhsa_system_sgpr_workgroup_info 0
		.amdhsa_system_vgpr_workitem_id 1
		.amdhsa_next_free_vgpr 115
		.amdhsa_next_free_sgpr 30
		.amdhsa_reserve_vcc 1
		.amdhsa_reserve_flat_scratch 1
		.amdhsa_float_round_mode_32 0
		.amdhsa_float_round_mode_16_64 0
		.amdhsa_float_denorm_mode_32 3
		.amdhsa_float_denorm_mode_16_64 3
		.amdhsa_dx10_clamp 1
		.amdhsa_ieee_mode 1
		.amdhsa_fp16_overflow 0
		.amdhsa_workgroup_processor_mode 1
		.amdhsa_memory_ordered 1
		.amdhsa_forward_progress 1
		.amdhsa_shared_vgpr_count 0
		.amdhsa_exception_fp_ieee_invalid_op 0
		.amdhsa_exception_fp_denorm_src 0
		.amdhsa_exception_fp_ieee_div_zero 0
		.amdhsa_exception_fp_ieee_overflow 0
		.amdhsa_exception_fp_ieee_underflow 0
		.amdhsa_exception_fp_ieee_inexact 0
		.amdhsa_exception_int_div_zero 0
	.end_amdhsa_kernel
	.section	.text._ZL26rocblas_hemvn_kernel_lowerILb1ELi64ELi4ELi33ELi32ELi16Ei19rocblas_complex_numIfEPKPKS1_PS1_EviT6_lT7_lT5_lS8_lS9_lS7_lT8_i,"axG",@progbits,_ZL26rocblas_hemvn_kernel_lowerILb1ELi64ELi4ELi33ELi32ELi16Ei19rocblas_complex_numIfEPKPKS1_PS1_EviT6_lT7_lT5_lS8_lS9_lS7_lT8_i,comdat
.Lfunc_end46:
	.size	_ZL26rocblas_hemvn_kernel_lowerILb1ELi64ELi4ELi33ELi32ELi16Ei19rocblas_complex_numIfEPKPKS1_PS1_EviT6_lT7_lT5_lS8_lS9_lS7_lT8_i, .Lfunc_end46-_ZL26rocblas_hemvn_kernel_lowerILb1ELi64ELi4ELi33ELi32ELi16Ei19rocblas_complex_numIfEPKPKS1_PS1_EviT6_lT7_lT5_lS8_lS9_lS7_lT8_i
                                        ; -- End function
	.set _ZL26rocblas_hemvn_kernel_lowerILb1ELi64ELi4ELi33ELi32ELi16Ei19rocblas_complex_numIfEPKPKS1_PS1_EviT6_lT7_lT5_lS8_lS9_lS7_lT8_i.num_vgpr, 115
	.set _ZL26rocblas_hemvn_kernel_lowerILb1ELi64ELi4ELi33ELi32ELi16Ei19rocblas_complex_numIfEPKPKS1_PS1_EviT6_lT7_lT5_lS8_lS9_lS7_lT8_i.num_agpr, 0
	.set _ZL26rocblas_hemvn_kernel_lowerILb1ELi64ELi4ELi33ELi32ELi16Ei19rocblas_complex_numIfEPKPKS1_PS1_EviT6_lT7_lT5_lS8_lS9_lS7_lT8_i.numbered_sgpr, 30
	.set _ZL26rocblas_hemvn_kernel_lowerILb1ELi64ELi4ELi33ELi32ELi16Ei19rocblas_complex_numIfEPKPKS1_PS1_EviT6_lT7_lT5_lS8_lS9_lS7_lT8_i.num_named_barrier, 0
	.set _ZL26rocblas_hemvn_kernel_lowerILb1ELi64ELi4ELi33ELi32ELi16Ei19rocblas_complex_numIfEPKPKS1_PS1_EviT6_lT7_lT5_lS8_lS9_lS7_lT8_i.private_seg_size, 0
	.set _ZL26rocblas_hemvn_kernel_lowerILb1ELi64ELi4ELi33ELi32ELi16Ei19rocblas_complex_numIfEPKPKS1_PS1_EviT6_lT7_lT5_lS8_lS9_lS7_lT8_i.uses_vcc, 1
	.set _ZL26rocblas_hemvn_kernel_lowerILb1ELi64ELi4ELi33ELi32ELi16Ei19rocblas_complex_numIfEPKPKS1_PS1_EviT6_lT7_lT5_lS8_lS9_lS7_lT8_i.uses_flat_scratch, 1
	.set _ZL26rocblas_hemvn_kernel_lowerILb1ELi64ELi4ELi33ELi32ELi16Ei19rocblas_complex_numIfEPKPKS1_PS1_EviT6_lT7_lT5_lS8_lS9_lS7_lT8_i.has_dyn_sized_stack, 0
	.set _ZL26rocblas_hemvn_kernel_lowerILb1ELi64ELi4ELi33ELi32ELi16Ei19rocblas_complex_numIfEPKPKS1_PS1_EviT6_lT7_lT5_lS8_lS9_lS7_lT8_i.has_recursion, 0
	.set _ZL26rocblas_hemvn_kernel_lowerILb1ELi64ELi4ELi33ELi32ELi16Ei19rocblas_complex_numIfEPKPKS1_PS1_EviT6_lT7_lT5_lS8_lS9_lS7_lT8_i.has_indirect_call, 0
	.section	.AMDGPU.csdata,"",@progbits
; Kernel info:
; codeLenInByte = 8360
; TotalNumSgprs: 32
; NumVgprs: 115
; ScratchSize: 0
; MemoryBound: 1
; FloatMode: 240
; IeeeMode: 1
; LDSByteSize: 9600 bytes/workgroup (compile time only)
; SGPRBlocks: 0
; VGPRBlocks: 14
; NumSGPRsForWavesPerEU: 32
; NumVGPRsForWavesPerEU: 115
; Occupancy: 8
; WaveLimiterHint : 1
; COMPUTE_PGM_RSRC2:SCRATCH_EN: 0
; COMPUTE_PGM_RSRC2:USER_SGPR: 6
; COMPUTE_PGM_RSRC2:TRAP_HANDLER: 0
; COMPUTE_PGM_RSRC2:TGID_X_EN: 1
; COMPUTE_PGM_RSRC2:TGID_Y_EN: 0
; COMPUTE_PGM_RSRC2:TGID_Z_EN: 1
; COMPUTE_PGM_RSRC2:TIDIG_COMP_CNT: 1
	.section	.text._ZL36rocblas_hemvn_kernel_lower_block_sumILi64Ei19rocblas_complex_numIfEPKPS1_S1_EviT1_lS5_lT2_lT0_lPT3_i,"axG",@progbits,_ZL36rocblas_hemvn_kernel_lower_block_sumILi64Ei19rocblas_complex_numIfEPKPS1_S1_EviT1_lS5_lT2_lT0_lPT3_i,comdat
	.globl	_ZL36rocblas_hemvn_kernel_lower_block_sumILi64Ei19rocblas_complex_numIfEPKPS1_S1_EviT1_lS5_lT2_lT0_lPT3_i ; -- Begin function _ZL36rocblas_hemvn_kernel_lower_block_sumILi64Ei19rocblas_complex_numIfEPKPS1_S1_EviT1_lS5_lT2_lT0_lPT3_i
	.p2align	8
	.type	_ZL36rocblas_hemvn_kernel_lower_block_sumILi64Ei19rocblas_complex_numIfEPKPS1_S1_EviT1_lS5_lT2_lT0_lPT3_i,@function
_ZL36rocblas_hemvn_kernel_lower_block_sumILi64Ei19rocblas_complex_numIfEPKPS1_S1_EviT1_lS5_lT2_lT0_lPT3_i: ; @_ZL36rocblas_hemvn_kernel_lower_block_sumILi64Ei19rocblas_complex_numIfEPKPS1_S1_EviT1_lS5_lT2_lT0_lPT3_i
; %bb.0:
	s_clause 0x1
	s_load_dwordx4 s[8:11], s[4:5], 0x0
	s_load_dwordx2 s[2:3], s[4:5], 0x18
	s_mov_b32 s12, s7
	s_waitcnt lgkmcnt(0)
	s_or_b32 s0, s9, s10
	s_bitset0_b32 s0, 31
	s_cmp_eq_u32 s0, 0
	s_cselect_b32 s1, -1, 0
	s_cmp_lg_u32 s0, 0
	s_mov_b32 s0, -1
	s_cbranch_scc1 .LBB47_2
; %bb.1:
	v_cmp_neq_f32_e64 s0, s2, 1.0
	v_cmp_neq_f32_e64 s7, s3, 0
	s_or_b32 s0, s0, s7
.LBB47_2:
	s_andn2_b32 vcc_lo, exec_lo, s0
	s_cbranch_vccnz .LBB47_19
; %bb.3:
	s_load_dwordx4 s[16:19], s[4:5], 0x28
	s_mov_b32 s13, 0
	v_lshl_or_b32 v0, s6, 6, v0
	s_lshl_b64 s[14:15], s[12:13], 3
	s_load_dword s13, s[4:5], 0x38
	v_cmp_gt_i32_e64 s0, s8, v0
	s_waitcnt lgkmcnt(0)
	s_add_u32 s14, s16, s14
	s_addc_u32 s15, s17, s15
	s_lshl_b64 s[16:17], s[18:19], 3
	s_load_dwordx2 s[14:15], s[14:15], 0x0
	s_waitcnt lgkmcnt(0)
	s_add_u32 s7, s14, s16
	s_addc_u32 s11, s15, s17
	s_andn2_b32 vcc_lo, exec_lo, s1
	s_mov_b32 s1, -1
	s_cbranch_vccnz .LBB47_9
; %bb.4:
	s_and_saveexec_b32 s1, s0
	s_cbranch_execz .LBB47_8
; %bb.5:
	v_mul_lo_u32 v1, s13, v0
	v_cmp_neq_f32_e64 s0, s2, 0
	v_cmp_neq_f32_e64 s14, s3, 0
	v_mov_b32_e32 v3, 0
	v_mov_b32_e32 v4, 0
	s_or_b32 s0, s0, s14
	v_ashrrev_i32_e32 v2, 31, v1
	s_andn2_b32 vcc_lo, exec_lo, s0
	v_lshlrev_b64 v[1:2], 3, v[1:2]
	s_cbranch_vccnz .LBB47_7
; %bb.6:
	v_add_co_u32 v3, vcc_lo, s7, v1
	v_add_co_ci_u32_e64 v4, null, s11, v2, vcc_lo
	flat_load_dwordx2 v[5:6], v[3:4]
	s_waitcnt vmcnt(0) lgkmcnt(0)
	v_mul_f32_e32 v3, s3, v6
	v_mul_f32_e32 v4, s2, v6
	v_fma_f32 v3, v5, s2, -v3
	v_fmac_f32_e32 v4, s3, v5
.LBB47_7:
	v_add_co_u32 v1, vcc_lo, s7, v1
	v_add_co_ci_u32_e64 v2, null, s11, v2, vcc_lo
	flat_store_dwordx2 v[1:2], v[3:4]
.LBB47_8:
	s_or_b32 exec_lo, exec_lo, s1
	s_mov_b32 s1, 0
.LBB47_9:
	s_andn2_b32 vcc_lo, exec_lo, s1
	s_cbranch_vccnz .LBB47_19
; %bb.10:
	s_mov_b32 s0, exec_lo
	v_cmpx_gt_i32_e64 s8, v0
	s_cbranch_execz .LBB47_19
; %bb.11:
	s_load_dword s14, s[4:5], 0x58
	v_mov_b32_e32 v3, 0
	v_mov_b32_e32 v4, 0
	s_waitcnt lgkmcnt(0)
	s_cmp_ge_i32 s6, s14
	s_cbranch_scc1 .LBB47_14
; %bb.12:
	s_load_dwordx2 s[0:1], s[4:5], 0x48
	v_mad_u64_u32 v[1:2], null, s8, s6, v[0:1]
	s_ashr_i32 s5, s8, 31
	s_mul_hi_u32 s4, s8, s12
	s_mul_i32 s15, s5, s12
	s_mul_i32 s12, s8, s12
	s_add_i32 s4, s4, s15
	s_mul_hi_u32 s15, s12, s14
	v_ashrrev_i32_e32 v2, 31, v1
	s_mul_i32 s4, s4, s14
	s_mul_i32 s16, s12, s14
	s_add_i32 s17, s15, s4
	v_mov_b32_e32 v3, 0
	v_lshlrev_b64 v[1:2], 3, v[1:2]
	s_lshl_b64 s[16:17], s[16:17], 3
	v_mov_b32_e32 v4, 0
	s_mov_b32 s4, s8
	s_waitcnt lgkmcnt(0)
	s_add_u32 s0, s0, s16
	s_addc_u32 s1, s1, s17
	v_add_co_u32 v1, vcc_lo, s0, v1
	v_add_co_ci_u32_e64 v2, null, s1, v2, vcc_lo
	s_lshl_b64 s[0:1], s[4:5], 3
	v_add_co_u32 v1, vcc_lo, v1, 4
	v_add_co_ci_u32_e64 v2, null, 0, v2, vcc_lo
.LBB47_13:                              ; =>This Inner Loop Header: Depth=1
	global_load_dwordx2 v[5:6], v[1:2], off offset:-4
	v_add_co_u32 v1, vcc_lo, v1, s0
	v_add_co_ci_u32_e64 v2, null, s1, v2, vcc_lo
	s_add_i32 s6, s6, 1
	s_cmp_ge_i32 s6, s14
	s_waitcnt vmcnt(0)
	v_add_f32_e32 v4, v4, v5
	v_add_f32_e32 v3, v3, v6
	s_cbranch_scc0 .LBB47_13
.LBB47_14:
	v_mul_lo_u32 v2, s13, v0
	v_mul_f32_e32 v0, s10, v3
	v_mul_f32_e32 v1, s9, v3
	v_cmp_neq_f32_e64 s0, s2, 0
	v_cmp_neq_f32_e64 s1, s3, 0
	v_fma_f32 v0, v4, s9, -v0
	v_fmac_f32_e32 v1, s10, v4
	v_ashrrev_i32_e32 v3, 31, v2
	s_or_b32 s0, s0, s1
	s_andn2_b32 vcc_lo, exec_lo, s0
	s_mov_b32 s0, 0
	s_cbranch_vccnz .LBB47_16
; %bb.15:
	s_mov_b32 s0, -1
.LBB47_16:
	s_andn2_b32 vcc_lo, exec_lo, s0
	s_cbranch_vccnz .LBB47_18
; %bb.17:
	v_lshlrev_b64 v[4:5], 3, v[2:3]
	v_add_co_u32 v4, vcc_lo, s7, v4
	v_add_co_ci_u32_e64 v5, null, s11, v5, vcc_lo
	flat_load_dwordx2 v[4:5], v[4:5]
	s_waitcnt vmcnt(0) lgkmcnt(0)
	v_mul_f32_e32 v6, s3, v5
	v_mul_f32_e32 v5, s2, v5
	v_fma_f32 v6, v4, s2, -v6
	v_fmac_f32_e32 v5, s3, v4
	v_add_f32_e32 v0, v0, v6
	v_add_f32_e32 v1, v1, v5
.LBB47_18:
	v_lshlrev_b64 v[2:3], 3, v[2:3]
	v_add_co_u32 v2, vcc_lo, s7, v2
	v_add_co_ci_u32_e64 v3, null, s11, v3, vcc_lo
	flat_store_dwordx2 v[2:3], v[0:1]
.LBB47_19:
	s_endpgm
	.section	.rodata,"a",@progbits
	.p2align	6, 0x0
	.amdhsa_kernel _ZL36rocblas_hemvn_kernel_lower_block_sumILi64Ei19rocblas_complex_numIfEPKPS1_S1_EviT1_lS5_lT2_lT0_lPT3_i
		.amdhsa_group_segment_fixed_size 0
		.amdhsa_private_segment_fixed_size 0
		.amdhsa_kernarg_size 344
		.amdhsa_user_sgpr_count 6
		.amdhsa_user_sgpr_private_segment_buffer 1
		.amdhsa_user_sgpr_dispatch_ptr 0
		.amdhsa_user_sgpr_queue_ptr 0
		.amdhsa_user_sgpr_kernarg_segment_ptr 1
		.amdhsa_user_sgpr_dispatch_id 0
		.amdhsa_user_sgpr_flat_scratch_init 0
		.amdhsa_user_sgpr_private_segment_size 0
		.amdhsa_wavefront_size32 1
		.amdhsa_uses_dynamic_stack 0
		.amdhsa_system_sgpr_private_segment_wavefront_offset 0
		.amdhsa_system_sgpr_workgroup_id_x 1
		.amdhsa_system_sgpr_workgroup_id_y 0
		.amdhsa_system_sgpr_workgroup_id_z 1
		.amdhsa_system_sgpr_workgroup_info 0
		.amdhsa_system_vgpr_workitem_id 0
		.amdhsa_next_free_vgpr 7
		.amdhsa_next_free_sgpr 20
		.amdhsa_reserve_vcc 1
		.amdhsa_reserve_flat_scratch 0
		.amdhsa_float_round_mode_32 0
		.amdhsa_float_round_mode_16_64 0
		.amdhsa_float_denorm_mode_32 3
		.amdhsa_float_denorm_mode_16_64 3
		.amdhsa_dx10_clamp 1
		.amdhsa_ieee_mode 1
		.amdhsa_fp16_overflow 0
		.amdhsa_workgroup_processor_mode 1
		.amdhsa_memory_ordered 1
		.amdhsa_forward_progress 1
		.amdhsa_shared_vgpr_count 0
		.amdhsa_exception_fp_ieee_invalid_op 0
		.amdhsa_exception_fp_denorm_src 0
		.amdhsa_exception_fp_ieee_div_zero 0
		.amdhsa_exception_fp_ieee_overflow 0
		.amdhsa_exception_fp_ieee_underflow 0
		.amdhsa_exception_fp_ieee_inexact 0
		.amdhsa_exception_int_div_zero 0
	.end_amdhsa_kernel
	.section	.text._ZL36rocblas_hemvn_kernel_lower_block_sumILi64Ei19rocblas_complex_numIfEPKPS1_S1_EviT1_lS5_lT2_lT0_lPT3_i,"axG",@progbits,_ZL36rocblas_hemvn_kernel_lower_block_sumILi64Ei19rocblas_complex_numIfEPKPS1_S1_EviT1_lS5_lT2_lT0_lPT3_i,comdat
.Lfunc_end47:
	.size	_ZL36rocblas_hemvn_kernel_lower_block_sumILi64Ei19rocblas_complex_numIfEPKPS1_S1_EviT1_lS5_lT2_lT0_lPT3_i, .Lfunc_end47-_ZL36rocblas_hemvn_kernel_lower_block_sumILi64Ei19rocblas_complex_numIfEPKPS1_S1_EviT1_lS5_lT2_lT0_lPT3_i
                                        ; -- End function
	.set _ZL36rocblas_hemvn_kernel_lower_block_sumILi64Ei19rocblas_complex_numIfEPKPS1_S1_EviT1_lS5_lT2_lT0_lPT3_i.num_vgpr, 7
	.set _ZL36rocblas_hemvn_kernel_lower_block_sumILi64Ei19rocblas_complex_numIfEPKPS1_S1_EviT1_lS5_lT2_lT0_lPT3_i.num_agpr, 0
	.set _ZL36rocblas_hemvn_kernel_lower_block_sumILi64Ei19rocblas_complex_numIfEPKPS1_S1_EviT1_lS5_lT2_lT0_lPT3_i.numbered_sgpr, 20
	.set _ZL36rocblas_hemvn_kernel_lower_block_sumILi64Ei19rocblas_complex_numIfEPKPS1_S1_EviT1_lS5_lT2_lT0_lPT3_i.num_named_barrier, 0
	.set _ZL36rocblas_hemvn_kernel_lower_block_sumILi64Ei19rocblas_complex_numIfEPKPS1_S1_EviT1_lS5_lT2_lT0_lPT3_i.private_seg_size, 0
	.set _ZL36rocblas_hemvn_kernel_lower_block_sumILi64Ei19rocblas_complex_numIfEPKPS1_S1_EviT1_lS5_lT2_lT0_lPT3_i.uses_vcc, 1
	.set _ZL36rocblas_hemvn_kernel_lower_block_sumILi64Ei19rocblas_complex_numIfEPKPS1_S1_EviT1_lS5_lT2_lT0_lPT3_i.uses_flat_scratch, 0
	.set _ZL36rocblas_hemvn_kernel_lower_block_sumILi64Ei19rocblas_complex_numIfEPKPS1_S1_EviT1_lS5_lT2_lT0_lPT3_i.has_dyn_sized_stack, 0
	.set _ZL36rocblas_hemvn_kernel_lower_block_sumILi64Ei19rocblas_complex_numIfEPKPS1_S1_EviT1_lS5_lT2_lT0_lPT3_i.has_recursion, 0
	.set _ZL36rocblas_hemvn_kernel_lower_block_sumILi64Ei19rocblas_complex_numIfEPKPS1_S1_EviT1_lS5_lT2_lT0_lPT3_i.has_indirect_call, 0
	.section	.AMDGPU.csdata,"",@progbits
; Kernel info:
; codeLenInByte = 720
; TotalNumSgprs: 22
; NumVgprs: 7
; ScratchSize: 0
; MemoryBound: 0
; FloatMode: 240
; IeeeMode: 1
; LDSByteSize: 0 bytes/workgroup (compile time only)
; SGPRBlocks: 0
; VGPRBlocks: 0
; NumSGPRsForWavesPerEU: 22
; NumVGPRsForWavesPerEU: 7
; Occupancy: 16
; WaveLimiterHint : 1
; COMPUTE_PGM_RSRC2:SCRATCH_EN: 0
; COMPUTE_PGM_RSRC2:USER_SGPR: 6
; COMPUTE_PGM_RSRC2:TRAP_HANDLER: 0
; COMPUTE_PGM_RSRC2:TGID_X_EN: 1
; COMPUTE_PGM_RSRC2:TGID_Y_EN: 0
; COMPUTE_PGM_RSRC2:TGID_Z_EN: 1
; COMPUTE_PGM_RSRC2:TIDIG_COMP_CNT: 0
	.section	.text._ZL26rocblas_hemvn_kernel_upperILb1ELi64ELi4ELi33ELi32ELi16ElPK19rocblas_complex_numIdEPKS3_PS1_EviT6_lT7_lT5_lS8_lS9_lS7_lT8_i,"axG",@progbits,_ZL26rocblas_hemvn_kernel_upperILb1ELi64ELi4ELi33ELi32ELi16ElPK19rocblas_complex_numIdEPKS3_PS1_EviT6_lT7_lT5_lS8_lS9_lS7_lT8_i,comdat
	.globl	_ZL26rocblas_hemvn_kernel_upperILb1ELi64ELi4ELi33ELi32ELi16ElPK19rocblas_complex_numIdEPKS3_PS1_EviT6_lT7_lT5_lS8_lS9_lS7_lT8_i ; -- Begin function _ZL26rocblas_hemvn_kernel_upperILb1ELi64ELi4ELi33ELi32ELi16ElPK19rocblas_complex_numIdEPKS3_PS1_EviT6_lT7_lT5_lS8_lS9_lS7_lT8_i
	.p2align	8
	.type	_ZL26rocblas_hemvn_kernel_upperILb1ELi64ELi4ELi33ELi32ELi16ElPK19rocblas_complex_numIdEPKS3_PS1_EviT6_lT7_lT5_lS8_lS9_lS7_lT8_i,@function
_ZL26rocblas_hemvn_kernel_upperILb1ELi64ELi4ELi33ELi32ELi16ElPK19rocblas_complex_numIdEPKS3_PS1_EviT6_lT7_lT5_lS8_lS9_lS7_lT8_i: ; @_ZL26rocblas_hemvn_kernel_upperILb1ELi64ELi4ELi33ELi32ELi16ElPK19rocblas_complex_numIdEPKS3_PS1_EviT6_lT7_lT5_lS8_lS9_lS7_lT8_i
; %bb.0:
	s_load_dwordx2 s[0:1], s[4:5], 0x84
	s_add_u32 s16, s4, 0x78
	s_addc_u32 s17, s5, 0
	s_waitcnt lgkmcnt(0)
	s_lshr_b32 s2, s0, 16
	s_and_b32 s0, s0, 0xffff
	s_and_b32 s1, s1, 0xffff
	s_mul_i32 s0, s2, s0
	s_mul_i32 s0, s0, s1
	s_cmpk_lg_i32 s0, 0x100
	s_cbranch_scc1 .LBB48_201
; %bb.1:
	s_load_dwordx8 s[8:15], s[4:5], 0x8
	s_mov_b32 s18, s7
	s_mov_b32 s19, 0
	s_waitcnt lgkmcnt(0)
	s_mul_i32 s1, s11, s7
	s_mul_hi_u32 s2, s10, s7
	s_mul_i32 s0, s10, s7
	s_add_i32 s1, s2, s1
	s_lshl_b64 s[0:1], s[0:1], 4
	s_add_u32 s0, s8, s0
	s_addc_u32 s1, s9, s1
	s_load_dwordx4 s[0:3], s[0:1], 0x0
	s_waitcnt lgkmcnt(0)
	v_cmp_neq_f64_e64 s7, s[0:1], 0
	v_cmp_neq_f64_e64 s8, s[2:3], 0
	s_clause 0x1
	s_load_dwordx2 s[20:21], s[4:5], 0x68
	s_load_dwordx4 s[0:3], s[4:5], 0x58
	s_or_b32 s7, s7, s8
	s_and_b32 vcc_lo, exec_lo, s7
	s_mov_b32 s7, -1
	s_cbranch_vccnz .LBB48_3
; %bb.2:
	s_waitcnt lgkmcnt(0)
	s_mul_i32 s3, s3, s18
	s_mul_hi_u32 s7, s2, s18
	s_mul_i32 s2, s2, s18
	s_add_i32 s3, s7, s3
	s_mov_b32 s7, 0
	s_lshl_b64 s[2:3], s[2:3], 4
	s_add_u32 s0, s0, s2
	s_addc_u32 s1, s1, s3
	s_load_dwordx4 s[0:3], s[0:1], 0x0
	s_waitcnt lgkmcnt(0)
	v_cmp_eq_f64_e64 s0, s[0:1], 1.0
	v_cmp_eq_f64_e64 s1, s[2:3], 0
	s_and_b32 s0, s0, s1
	s_andn2_b32 vcc_lo, exec_lo, s0
.LBB48_3:
	s_andn2_b32 vcc_lo, exec_lo, s7
	s_cbranch_vccnz .LBB48_201
; %bb.4:
	s_waitcnt lgkmcnt(0)
	s_clause 0x1
	s_load_dwordx4 s[0:3], s[4:5], 0x38
	s_load_dword s24, s[4:5], 0x0
	s_lshl_b64 s[10:11], s[18:19], 3
	s_load_dwordx2 s[8:9], s[4:5], 0x48
	s_add_u32 s22, s12, s10
	s_addc_u32 s23, s13, s11
	s_load_dword s19, s[16:17], 0x0
	s_waitcnt lgkmcnt(0)
	s_add_u32 s0, s0, s10
	s_addc_u32 s1, s1, s11
	s_lshl_b64 s[2:3], s[2:3], 4
	s_load_dwordx2 s[0:1], s[0:1], 0x0
	s_waitcnt lgkmcnt(0)
	s_add_u32 s0, s0, s2
	s_addc_u32 s1, s1, s3
	s_lshl_b32 s12, s6, 6
	s_load_dwordx2 s[16:17], s[4:5], 0x28
	s_load_dwordx2 s[2:3], s[22:23], 0x0
	v_add_nc_u32_e32 v167, s12, v0
	s_ashr_i32 s25, s24, 31
	s_add_i32 s5, s19, -1
	s_lshr_b32 s4, s25, 26
	v_ashrrev_i32_e32 v168, 31, v167
	v_mul_lo_u32 v4, s9, v167
	v_mad_u64_u32 v[2:3], null, s8, v167, 0
	s_add_i32 s4, s24, s4
	v_mul_lo_u32 v5, s8, v168
	s_andn2_b32 s4, s4, 63
	s_sub_i32 s22, s24, s4
	s_cmp_eq_u32 s6, s5
	s_mov_b32 s4, -1
	s_cselect_b32 s10, s22, 0
	v_add3_u32 v3, v3, v5, v4
	v_lshlrev_b64 v[2:3], 4, v[2:3]
	v_add_co_u32 v40, vcc_lo, s0, v2
	v_add_co_ci_u32_e64 v41, null, s1, v3, vcc_lo
	v_cmp_eq_u32_e64 s0, 0, v1
	s_and_saveexec_b32 s1, s0
	s_cbranch_execz .LBB48_9
; %bb.5:
	v_cmp_le_i32_e32 vcc_lo, s10, v0
	s_cmp_lg_u32 s10, 0
	v_lshl_add_u32 v2, v0, 4, 0x4700
	s_cselect_b32 s5, -1, 0
	s_and_b32 s5, s5, vcc_lo
	s_and_saveexec_b32 s7, s5
	s_xor_b32 s5, exec_lo, s7
	s_cbranch_execz .LBB48_7
; %bb.6:
	v_mov_b32_e32 v3, 0
	v_mov_b32_e32 v4, v3
	;; [unrolled: 1-line block ×4, first 2 shown]
	ds_write_b128 v2, v[3:6]
                                        ; implicit-def: $vgpr2
.LBB48_7:
	s_andn2_saveexec_b32 s5, s5
	s_cbranch_execz .LBB48_9
; %bb.8:
	flat_load_dwordx4 v[3:6], v[40:41]
	s_waitcnt vmcnt(0) lgkmcnt(0)
	ds_write2_b64 v2, v[3:4], v[5:6] offset1:1
.LBB48_9:
	s_or_b32 exec_lo, exec_lo, s1
	v_lshl_add_u32 v44, v1, 6, v0
	v_and_b32_e32 v10, 31, v0
	v_mov_b32_e32 v11, 0
	s_lshl_b64 s[14:15], s[14:15], 4
	s_waitcnt lgkmcnt(0)
	s_mul_hi_u32 s1, s16, s12
	v_lshrrev_b32_e32 v13, 5, v44
	s_add_u32 s7, s2, s14
	s_addc_u32 s3, s3, s15
	s_ashr_i32 s13, s12, 31
	s_mul_i32 s5, s17, s12
	v_mad_u64_u32 v[2:3], null, s16, v13, v[10:11]
	s_lshl_b64 s[14:15], s[12:13], 4
	s_mul_i32 s11, s16, s13
	s_add_u32 s7, s7, s14
	s_addc_u32 s14, s3, s15
	s_add_i32 s1, s1, s11
	s_mul_i32 s2, s16, s12
	v_mad_u64_u32 v[3:4], null, s17, v13, v[3:4]
	s_add_i32 s3, s1, s5
	v_cmp_gt_i32_e64 s1, s10, v10
	s_lshl_b64 s[2:3], s[2:3], 4
	s_cmp_eq_u32 s10, 0
	v_lshlrev_b32_e32 v15, 4, v10
	s_cselect_b32 s23, -1, 0
	v_lshlrev_b64 v[38:39], 4, v[2:3]
	s_cmp_lg_u32 s10, 0
	v_lshlrev_b32_e32 v14, 4, v10
	s_cselect_b32 s26, -1, 0
                                        ; implicit-def: $vgpr6_vgpr7
	v_add_co_u32 v2, vcc_lo, s7, v38
	v_add_co_ci_u32_e64 v3, null, s14, v39, vcc_lo
	s_and_b32 vcc_lo, exec_lo, s26
	v_add_co_u32 v2, s2, v2, s2
	v_add_co_ci_u32_e64 v3, null, s3, v3, s2
	s_cbranch_vccz .LBB48_27
; %bb.10:
	v_sub_co_u32 v4, vcc_lo, v2, v15
	s_ashr_i32 s11, s10, 31
	v_subrev_co_ci_u32_e64 v5, null, 0, v3, vcc_lo
	s_lshl_b64 s[2:3], s[10:11], 4
	v_mad_u32_u24 v7, 0x210, v13, v14
	v_add_co_u32 v4, vcc_lo, v4, s2
	v_add_co_ci_u32_e64 v5, null, s3, v5, vcc_lo
	s_mov_b32 s4, exec_lo
	v_add_co_u32 v4, vcc_lo, v4, -16
	v_add_co_ci_u32_e64 v5, null, -1, v5, vcc_lo
	v_cndmask_b32_e64 v4, v4, v2, s1
	v_cndmask_b32_e64 v5, v5, v3, s1
	v_cmpx_le_i32_e64 s10, v13
	s_xor_b32 s4, exec_lo, s4
	s_cbranch_execz .LBB48_12
; %bb.11:
	v_mov_b32_e32 v16, 0
	v_mov_b32_e32 v17, v16
	;; [unrolled: 1-line block ×4, first 2 shown]
	ds_write_b128 v7, v[16:19]
                                        ; implicit-def: $vgpr7
.LBB48_12:
	s_or_saveexec_b32 s4, s4
	v_mul_u32_u24_e32 v6, 0x210, v13
	s_xor_b32 exec_lo, exec_lo, s4
	s_cbranch_execz .LBB48_14
; %bb.13:
	flat_load_dwordx4 v[16:19], v[4:5]
	s_waitcnt vmcnt(0) lgkmcnt(0)
	ds_write2_b64 v7, v[16:17], v[18:19] offset1:1
.LBB48_14:
	s_or_b32 exec_lo, exec_lo, s4
	v_add_nc_u32_e32 v7, 8, v13
	v_cmp_le_i32_e32 vcc_lo, s10, v7
	v_add_nc_u32_e32 v7, v6, v14
	s_and_saveexec_b32 s4, vcc_lo
	s_xor_b32 s4, exec_lo, s4
	s_cbranch_execz .LBB48_16
; %bb.15:
	v_mov_b32_e32 v16, 0
	v_mov_b32_e32 v17, v16
	;; [unrolled: 1-line block ×4, first 2 shown]
	ds_write_b128 v7, v[16:19] offset:4224
.LBB48_16:
	s_andn2_saveexec_b32 s4, s4
	s_cbranch_execz .LBB48_18
; %bb.17:
	s_lshl_b64 s[14:15], s[16:17], 7
	v_add_co_u32 v8, vcc_lo, v4, s14
	v_add_co_ci_u32_e64 v9, null, s15, v5, vcc_lo
	flat_load_dwordx4 v[16:19], v[8:9]
	v_add3_u32 v8, v6, v14, 0x1080
	s_waitcnt vmcnt(0) lgkmcnt(0)
	ds_write2_b64 v8, v[16:17], v[18:19] offset1:1
.LBB48_18:
	s_or_b32 exec_lo, exec_lo, s4
	v_add_nc_u32_e32 v8, 16, v13
	s_mov_b32 s4, exec_lo
	v_cmpx_le_i32_e64 s10, v8
	s_xor_b32 s4, exec_lo, s4
	s_cbranch_execz .LBB48_20
; %bb.19:
	v_mov_b32_e32 v16, 0
	v_mov_b32_e32 v17, v16
	;; [unrolled: 1-line block ×4, first 2 shown]
	ds_write_b128 v7, v[16:19] offset:8448
.LBB48_20:
	s_andn2_saveexec_b32 s4, s4
	s_cbranch_execz .LBB48_22
; %bb.21:
	s_lshl_b64 s[14:15], s[16:17], 8
	v_add_co_u32 v8, vcc_lo, v4, s14
	v_add_co_ci_u32_e64 v9, null, s15, v5, vcc_lo
	flat_load_dwordx4 v[16:19], v[8:9]
	v_add3_u32 v8, v6, v14, 0x2100
	s_waitcnt vmcnt(0) lgkmcnt(0)
	ds_write2_b64 v8, v[16:17], v[18:19] offset1:1
.LBB48_22:
	s_or_b32 exec_lo, exec_lo, s4
	v_add_nc_u32_e32 v8, 24, v13
	s_mov_b32 s4, exec_lo
	v_cmpx_le_i32_e64 s10, v8
	s_xor_b32 s4, exec_lo, s4
	s_cbranch_execz .LBB48_24
; %bb.23:
	v_mov_b32_e32 v16, 0
                                        ; implicit-def: $vgpr6
	v_mov_b32_e32 v17, v16
	v_mov_b32_e32 v18, v16
	;; [unrolled: 1-line block ×3, first 2 shown]
	ds_write_b128 v7, v[16:19] offset:12672
.LBB48_24:
	s_andn2_saveexec_b32 s4, s4
	s_cbranch_execz .LBB48_26
; %bb.25:
	v_mad_u64_u32 v[7:8], null, 0x180, s16, v[4:5]
	v_add3_u32 v6, v6, v14, 0x3180
	v_mad_u64_u32 v[8:9], null, 0x180, s17, v[8:9]
	flat_load_dwordx4 v[16:19], v[7:8]
	s_waitcnt vmcnt(0) lgkmcnt(0)
	ds_write2_b64 v6, v[16:17], v[18:19] offset1:1
.LBB48_26:
	s_or_b32 exec_lo, exec_lo, s4
	v_add_co_u32 v4, vcc_lo, v4, v15
	v_add_co_ci_u32_e64 v5, null, 0, v5, vcc_lo
	s_mov_b32 s4, 0
	v_sub_co_u32 v4, vcc_lo, v4, s2
	v_subrev_co_ci_u32_e64 v5, null, s3, v5, vcc_lo
	v_add_co_u32 v4, vcc_lo, v4, 16
	v_add_co_ci_u32_e64 v5, null, 0, v5, vcc_lo
	v_cndmask_b32_e64 v6, v4, v2, s1
	v_cndmask_b32_e64 v7, v5, v3, s1
.LBB48_27:
	s_and_b32 vcc_lo, exec_lo, s4
	s_cbranch_vccz .LBB48_29
; %bb.28:
	flat_load_dwordx4 v[4:7], v[2:3]
	v_mul_u32_u24_e32 v8, 0x210, v13
	s_lshl_b64 s[2:3], s[16:17], 7
	v_lshl_add_u32 v11, v10, 4, v8
	v_add_co_u32 v8, vcc_lo, v2, s2
	v_add_co_ci_u32_e64 v9, null, s3, v3, vcc_lo
	v_add_nc_u32_e32 v12, 0x1080, v11
	s_waitcnt vmcnt(0) lgkmcnt(0)
	ds_write2_b64 v11, v[4:5], v[6:7] offset1:1
	flat_load_dwordx4 v[4:7], v[8:9]
	v_add_co_u32 v8, vcc_lo, v8, s2
	v_add_co_ci_u32_e64 v9, null, s3, v9, vcc_lo
	s_waitcnt vmcnt(0) lgkmcnt(0)
	ds_write2_b64 v12, v[4:5], v[6:7] offset1:1
	flat_load_dwordx4 v[4:7], v[8:9]
	v_add_co_u32 v8, vcc_lo, v8, s2
	v_add_nc_u32_e32 v12, 0x2100, v11
	v_add_co_ci_u32_e64 v9, null, s3, v9, vcc_lo
	s_waitcnt vmcnt(0) lgkmcnt(0)
	ds_write2_b64 v12, v[4:5], v[6:7] offset1:1
	flat_load_dwordx4 v[16:19], v[8:9]
	v_mov_b32_e32 v7, v3
	v_add_nc_u32_e32 v4, 0x3180, v11
	v_mov_b32_e32 v6, v2
	s_waitcnt vmcnt(0) lgkmcnt(0)
	ds_write2_b64 v4, v[16:17], v[18:19] offset1:1
.LBB48_29:
	v_lshlrev_b32_e32 v18, 2, v13
	v_mul_u32_u24_e32 v16, 0x210, v10
	s_mov_b32 s1, 0
	s_waitcnt lgkmcnt(0)
	s_barrier
	v_cmp_le_u32_e64 s2, v18, v10
	buffer_gl0_inv
                                        ; implicit-def: $vgpr8
	s_and_saveexec_b32 s3, s2
	s_xor_b32 s3, exec_lo, s3
	s_cbranch_execz .LBB48_33
; %bb.30:
	s_mov_b32 s4, exec_lo
                                        ; implicit-def: $vgpr8
	v_cmpx_eq_u32_e64 v18, v10
	s_xor_b32 s4, exec_lo, s4
; %bb.31:
	s_mov_b32 s1, exec_lo
	v_add_nc_u32_e32 v8, v14, v16
; %bb.32:
	s_or_b32 exec_lo, exec_lo, s4
	s_and_b32 s1, s1, exec_lo
.LBB48_33:
	s_or_saveexec_b32 s3, s3
	v_lshl_or_b32 v2, v10, 9, v14
	v_mov_b32_e32 v4, 0
	v_mov_b32_e32 v5, 0
	v_mad_u32_u24 v9, 0x840, v13, v14
	v_lshl_add_u32 v11, v18, 4, v2
	s_xor_b32 exec_lo, exec_lo, s3
	s_cbranch_execz .LBB48_35
; %bb.34:
	ds_read_b128 v[2:5], v9
	v_mov_b32_e32 v8, v11
	s_or_b32 s1, s1, exec_lo
	s_waitcnt lgkmcnt(0)
	v_xor_b32_e32 v5, 0x80000000, v5
	ds_write_b64 v11, v[2:3]
.LBB48_35:
	s_or_b32 exec_lo, exec_lo, s3
	s_and_saveexec_b32 s3, s1
; %bb.36:
	ds_write_b64 v8, v[4:5] offset:8
; %bb.37:
	s_or_b32 exec_lo, exec_lo, s3
	v_or_b32_e32 v19, 1, v18
	v_cmp_ge_u32_e64 s3, v18, v10
	s_mov_b32 s1, 0
                                        ; implicit-def: $vgpr4_vgpr5
                                        ; implicit-def: $vgpr12
	v_mad_u32_u24 v8, 0x210, v19, v14
	s_and_saveexec_b32 s4, s3
	s_xor_b32 s4, exec_lo, s4
	s_cbranch_execz .LBB48_77
; %bb.38:
	ds_read_b128 v[2:5], v8
	s_mov_b32 s1, exec_lo
	v_add_nc_u32_e32 v12, 16, v11
	s_waitcnt lgkmcnt(0)
	v_xor_b32_e32 v5, 0x80000000, v5
	ds_write_b64 v11, v[2:3] offset:16
	s_andn2_saveexec_b32 s4, s4
	s_cbranch_execnz .LBB48_78
.LBB48_39:
	s_or_b32 exec_lo, exec_lo, s4
	s_and_saveexec_b32 s4, s1
.LBB48_40:
	ds_write_b64 v12, v[4:5] offset:8
.LBB48_41:
	s_or_b32 exec_lo, exec_lo, s4
	v_or_b32_e32 v20, 2, v18
	s_mov_b32 s1, 0
                                        ; implicit-def: $vgpr12
	v_cmp_le_u32_e64 s4, v20, v10
	s_and_saveexec_b32 s5, s4
	s_xor_b32 s5, exec_lo, s5
	s_cbranch_execz .LBB48_45
; %bb.42:
	s_mov_b32 s7, exec_lo
                                        ; implicit-def: $vgpr12
	v_cmpx_eq_u32_e64 v20, v10
; %bb.43:
	v_add_nc_u32_e32 v12, v14, v16
	s_mov_b32 s1, exec_lo
; %bb.44:
	s_or_b32 exec_lo, exec_lo, s7
	s_and_b32 s1, s1, exec_lo
.LBB48_45:
	s_or_saveexec_b32 s5, s5
	v_mov_b32_e32 v4, 0
	v_mov_b32_e32 v5, 0
	s_xor_b32 exec_lo, exec_lo, s5
	s_cbranch_execz .LBB48_47
; %bb.46:
	v_mad_u32_u24 v2, 0x210, v20, v14
	v_add_nc_u32_e32 v12, 32, v11
	s_or_b32 s1, s1, exec_lo
	ds_read_b128 v[2:5], v2
	s_waitcnt lgkmcnt(0)
	v_xor_b32_e32 v5, 0x80000000, v5
	ds_write_b64 v11, v[2:3] offset:32
.LBB48_47:
	s_or_b32 exec_lo, exec_lo, s5
	s_and_saveexec_b32 s5, s1
; %bb.48:
	ds_write_b64 v12, v[4:5] offset:8
; %bb.49:
	s_or_b32 exec_lo, exec_lo, s5
	v_or_b32_e32 v21, 3, v18
	s_mov_b32 s1, 0
                                        ; implicit-def: $vgpr12
	v_cmp_le_u32_e64 s5, v21, v10
	s_and_saveexec_b32 s7, s5
	s_xor_b32 s7, exec_lo, s7
	s_cbranch_execz .LBB48_53
; %bb.50:
	s_mov_b32 s11, exec_lo
                                        ; implicit-def: $vgpr12
	v_cmpx_eq_u32_e64 v21, v10
; %bb.51:
	v_add_nc_u32_e32 v12, v14, v16
	s_mov_b32 s1, exec_lo
; %bb.52:
	s_or_b32 exec_lo, exec_lo, s11
	s_and_b32 s1, s1, exec_lo
                                        ; implicit-def: $vgpr11
.LBB48_53:
	s_or_saveexec_b32 s7, s7
	v_mov_b32_e32 v4, 0
	v_mov_b32_e32 v5, 0
	s_xor_b32 exec_lo, exec_lo, s7
	s_cbranch_execz .LBB48_55
; %bb.54:
	v_mad_u32_u24 v2, 0x210, v21, v14
	v_add_nc_u32_e32 v12, 48, v11
	s_or_b32 s1, s1, exec_lo
	ds_read_b128 v[2:5], v2
	s_waitcnt lgkmcnt(0)
	v_xor_b32_e32 v5, 0x80000000, v5
	ds_write_b64 v11, v[2:3] offset:48
.LBB48_55:
	s_or_b32 exec_lo, exec_lo, s7
	s_and_saveexec_b32 s7, s1
; %bb.56:
	ds_write_b64 v12, v[4:5] offset:8
; %bb.57:
	s_or_b32 exec_lo, exec_lo, s7
	v_lshlrev_b32_e32 v22, 4, v18
	s_waitcnt lgkmcnt(0)
	s_barrier
	buffer_gl0_inv
	ds_read_b128 v[2:5], v9
	ds_read_b128 v[23:26], v22 offset:18176
	ds_read_b128 v[27:30], v8
	ds_read_b128 v[31:34], v8 offset:1056
	ds_read_b128 v[45:48], v22 offset:18192
	;; [unrolled: 1-line block ×4, first 2 shown]
	v_cmp_gt_u32_e64 s1, 32, v44
	s_waitcnt lgkmcnt(5)
	v_mul_f64 v[11:12], v[25:26], v[4:5]
	v_mul_f64 v[4:5], v[23:24], v[4:5]
	s_waitcnt lgkmcnt(2)
	v_mul_f64 v[8:9], v[47:48], v[29:30]
	v_mul_f64 v[29:30], v[45:46], v[29:30]
	s_waitcnt lgkmcnt(0)
	v_mul_f64 v[35:36], v[53:54], v[51:52]
	v_fma_f64 v[11:12], v[23:24], v[2:3], -v[11:12]
	v_fma_f64 v[23:24], v[25:26], v[2:3], v[4:5]
	v_mul_f64 v[25:26], v[55:56], v[51:52]
	v_fma_f64 v[8:9], v[45:46], v[27:28], -v[8:9]
	v_fma_f64 v[27:28], v[47:48], v[27:28], v[29:30]
	ds_read_b128 v[2:5], v22 offset:18224
	v_fma_f64 v[35:36], v[55:56], v[49:50], v[35:36]
	s_waitcnt lgkmcnt(0)
	s_barrier
	buffer_gl0_inv
	v_add_f64 v[11:12], v[11:12], 0
	v_add_f64 v[23:24], v[23:24], 0
	v_fma_f64 v[25:26], v[53:54], v[49:50], -v[25:26]
	v_mul_f64 v[29:30], v[4:5], v[33:34]
	v_mul_f64 v[33:34], v[2:3], v[33:34]
	v_add_f64 v[8:9], v[11:12], v[8:9]
	v_add_f64 v[11:12], v[23:24], v[27:28]
	v_fma_f64 v[2:3], v[2:3], v[31:32], -v[29:30]
	v_fma_f64 v[4:5], v[4:5], v[31:32], v[33:34]
	v_add_f64 v[8:9], v[8:9], v[25:26]
	v_add_f64 v[11:12], v[11:12], v[35:36]
	;; [unrolled: 1-line block ×4, first 2 shown]
	v_mul_u32_u24_e32 v2, 33, v10
	v_mov_b32_e32 v4, 0
	v_mov_b32_e32 v5, 0
	v_lshlrev_b32_e32 v45, 4, v2
	v_mov_b32_e32 v2, 0
	v_mov_b32_e32 v3, 0
	v_lshl_add_u32 v46, v13, 4, v45
	ds_write_b128 v46, v[23:26]
	s_waitcnt lgkmcnt(0)
	s_barrier
	buffer_gl0_inv
	s_and_saveexec_b32 s7, s1
	s_cbranch_execz .LBB48_59
; %bb.58:
	ds_read_b128 v[2:5], v45
	ds_read_b128 v[23:26], v45 offset:16
	s_waitcnt lgkmcnt(0)
	v_add_f64 v[8:9], v[23:24], v[2:3]
	v_add_f64 v[11:12], v[25:26], v[4:5]
	ds_read_b128 v[2:5], v45 offset:32
	ds_read_b128 v[23:26], v45 offset:48
	s_waitcnt lgkmcnt(1)
	v_add_f64 v[2:3], v[8:9], v[2:3]
	v_add_f64 v[4:5], v[11:12], v[4:5]
	s_waitcnt lgkmcnt(0)
	v_add_f64 v[8:9], v[2:3], v[23:24]
	v_add_f64 v[11:12], v[4:5], v[25:26]
	ds_read_b128 v[2:5], v45 offset:64
	ds_read_b128 v[23:26], v45 offset:80
	s_waitcnt lgkmcnt(1)
	v_add_f64 v[2:3], v[8:9], v[2:3]
	v_add_f64 v[4:5], v[11:12], v[4:5]
	;; [unrolled: 8-line block ×3, first 2 shown]
	s_waitcnt lgkmcnt(0)
	v_add_f64 v[2:3], v[2:3], v[23:24]
	v_add_f64 v[4:5], v[4:5], v[25:26]
.LBB48_59:
	s_or_b32 exec_lo, exec_lo, s7
	s_lshl_b64 s[14:15], s[16:17], 9
	v_mad_u32_u24 v17, 0x210, v13, v14
	v_add_co_u32 v23, vcc_lo, v6, s14
	v_add_co_ci_u32_e64 v24, null, s15, v7, vcc_lo
	v_add_co_u32 v6, vcc_lo, 0x200, v23
	v_add_co_ci_u32_e64 v7, null, 0, v24, vcc_lo
	s_and_b32 vcc_lo, exec_lo, s26
	s_barrier
	buffer_gl0_inv
	s_cbranch_vccz .LBB48_81
; %bb.60:
	v_sub_co_u32 v8, vcc_lo, v23, v15
	s_ashr_i32 s11, s10, 31
	v_subrev_co_ci_u32_e64 v9, null, 0, v24, vcc_lo
	s_lshl_b64 s[14:15], s[10:11], 4
	v_or_b32_e32 v11, 32, v10
	v_add_co_u32 v8, vcc_lo, v8, s14
	v_add_co_ci_u32_e64 v9, null, s15, v9, vcc_lo
	s_sub_i32 s11, s10, 32
	v_add_co_u32 v8, vcc_lo, v8, -16
	v_add_co_ci_u32_e64 v9, null, -1, v9, vcc_lo
	v_cmp_gt_i32_e32 vcc_lo, s10, v11
	v_cmp_le_i32_e64 s7, s11, v13
	v_cndmask_b32_e32 v9, v9, v7, vcc_lo
	v_cndmask_b32_e32 v8, v8, v6, vcc_lo
	s_and_saveexec_b32 s27, s7
	s_xor_b32 s7, exec_lo, s27
	s_cbranch_execz .LBB48_62
; %bb.61:
	v_mov_b32_e32 v25, 0
	v_mov_b32_e32 v26, v25
	;; [unrolled: 1-line block ×4, first 2 shown]
	ds_write_b128 v17, v[25:28]
.LBB48_62:
	s_andn2_saveexec_b32 s7, s7
	s_cbranch_execz .LBB48_64
; %bb.63:
	flat_load_dwordx4 v[25:28], v[8:9]
	s_waitcnt vmcnt(0) lgkmcnt(0)
	ds_write2_b64 v17, v[25:26], v[27:28] offset1:1
.LBB48_64:
	s_or_b32 exec_lo, exec_lo, s7
	v_add_nc_u32_e32 v11, 8, v13
	v_cmp_le_i32_e64 s7, s11, v11
	v_mad_u32_u24 v11, 0x210, v11, v14
	s_and_saveexec_b32 s27, s7
	s_xor_b32 s7, exec_lo, s27
	s_cbranch_execz .LBB48_66
; %bb.65:
	v_mov_b32_e32 v25, 0
	v_mov_b32_e32 v26, v25
	;; [unrolled: 1-line block ×4, first 2 shown]
	ds_write_b128 v11, v[25:28]
                                        ; implicit-def: $vgpr11
.LBB48_66:
	s_andn2_saveexec_b32 s27, s7
	s_cbranch_execz .LBB48_68
; %bb.67:
	s_lshl_b64 s[28:29], s[16:17], 7
	v_add_co_u32 v25, s7, v8, s28
	v_add_co_ci_u32_e64 v26, null, s29, v9, s7
	flat_load_dwordx4 v[25:28], v[25:26]
	s_waitcnt vmcnt(0) lgkmcnt(0)
	ds_write2_b64 v11, v[25:26], v[27:28] offset1:1
.LBB48_68:
	s_or_b32 exec_lo, exec_lo, s27
	v_add_nc_u32_e32 v11, 16, v13
	v_cmp_le_i32_e64 s7, s11, v11
	v_mad_u32_u24 v11, 0x210, v11, v14
	s_and_saveexec_b32 s27, s7
	s_xor_b32 s7, exec_lo, s27
	s_cbranch_execz .LBB48_70
; %bb.69:
	v_mov_b32_e32 v25, 0
	v_mov_b32_e32 v26, v25
	;; [unrolled: 1-line block ×4, first 2 shown]
	ds_write_b128 v11, v[25:28]
                                        ; implicit-def: $vgpr11
.LBB48_70:
	s_andn2_saveexec_b32 s27, s7
	s_cbranch_execz .LBB48_72
; %bb.71:
	s_lshl_b64 s[28:29], s[16:17], 8
	v_add_co_u32 v25, s7, v8, s28
	v_add_co_ci_u32_e64 v26, null, s29, v9, s7
	flat_load_dwordx4 v[25:28], v[25:26]
	s_waitcnt vmcnt(0) lgkmcnt(0)
	ds_write2_b64 v11, v[25:26], v[27:28] offset1:1
.LBB48_72:
	s_or_b32 exec_lo, exec_lo, s27
	v_add_nc_u32_e32 v11, 24, v13
	v_cmp_le_i32_e64 s7, s11, v11
	v_mad_u32_u24 v11, 0x210, v11, v14
	s_and_saveexec_b32 s11, s7
	s_xor_b32 s7, exec_lo, s11
	s_cbranch_execz .LBB48_74
; %bb.73:
	v_mov_b32_e32 v25, 0
	v_mov_b32_e32 v26, v25
	;; [unrolled: 1-line block ×4, first 2 shown]
	ds_write_b128 v11, v[25:28]
                                        ; implicit-def: $vgpr11
.LBB48_74:
	s_andn2_saveexec_b32 s7, s7
	s_cbranch_execz .LBB48_76
; %bb.75:
	v_mad_u64_u32 v[25:26], null, 0x180, s16, v[8:9]
	v_mov_b32_e32 v12, v26
	v_mad_u64_u32 v[26:27], null, 0x180, s17, v[12:13]
	flat_load_dwordx4 v[25:28], v[25:26]
	s_waitcnt vmcnt(0) lgkmcnt(0)
	ds_write2_b64 v11, v[25:26], v[27:28] offset1:1
.LBB48_76:
	s_or_b32 exec_lo, exec_lo, s7
	v_add_co_u32 v8, s7, v8, v15
	v_add_co_ci_u32_e64 v9, null, 0, v9, s7
	v_sub_co_u32 v8, s7, v8, s14
	v_subrev_co_ci_u32_e64 v9, null, s15, v9, s7
	v_add_co_u32 v8, s7, 0x210, v8
	v_add_co_ci_u32_e64 v9, null, 0, v9, s7
	v_cndmask_b32_e32 v11, v8, v6, vcc_lo
	v_cndmask_b32_e32 v12, v9, v7, vcc_lo
	s_branch .LBB48_83
.LBB48_77:
	s_andn2_saveexec_b32 s4, s4
	s_cbranch_execz .LBB48_39
.LBB48_78:
	s_mov_b32 s5, s1
	s_mov_b32 s7, exec_lo
                                        ; implicit-def: $vgpr12
	v_cmpx_eq_u32_e64 v19, v10
; %bb.79:
	v_add_nc_u32_e32 v12, v14, v16
	s_or_b32 s5, s1, exec_lo
; %bb.80:
	s_or_b32 exec_lo, exec_lo, s7
	v_mov_b32_e32 v4, 0
	v_mov_b32_e32 v5, 0
	s_andn2_b32 s1, s1, exec_lo
	s_and_b32 s5, s5, exec_lo
	s_or_b32 s1, s1, s5
	s_or_b32 exec_lo, exec_lo, s4
	s_and_saveexec_b32 s4, s1
	s_cbranch_execnz .LBB48_40
	s_branch .LBB48_41
.LBB48_81:
                                        ; implicit-def: $vgpr11_vgpr12
	s_cbranch_execz .LBB48_83
; %bb.82:
	flat_load_dwordx4 v[25:28], v[6:7]
	s_lshl_b64 s[14:15], s[16:17], 7
	v_add_nc_u32_e32 v11, 0x1080, v17
	v_add_co_u32 v8, vcc_lo, v23, s14
	v_add_co_ci_u32_e64 v9, null, s15, v24, vcc_lo
	s_waitcnt vmcnt(0) lgkmcnt(0)
	ds_write2_b64 v17, v[25:26], v[27:28] offset1:1
	flat_load_dwordx4 v[23:26], v[8:9] offset:512
	v_add_co_u32 v8, vcc_lo, v8, s14
	v_add_co_ci_u32_e64 v9, null, s15, v9, vcc_lo
	s_waitcnt vmcnt(0) lgkmcnt(0)
	ds_write2_b64 v11, v[23:24], v[25:26] offset1:1
	flat_load_dwordx4 v[23:26], v[8:9] offset:512
	v_add_co_u32 v8, vcc_lo, v8, s14
	v_add_nc_u32_e32 v11, 0x2100, v17
	v_add_co_ci_u32_e64 v9, null, s15, v9, vcc_lo
	s_waitcnt vmcnt(0) lgkmcnt(0)
	ds_write2_b64 v11, v[23:24], v[25:26] offset1:1
	flat_load_dwordx4 v[23:26], v[8:9] offset:512
	v_mov_b32_e32 v12, v7
	v_add_nc_u32_e32 v8, 0x3180, v17
	v_mov_b32_e32 v11, v6
	s_waitcnt vmcnt(0) lgkmcnt(0)
	ds_write2_b64 v8, v[23:24], v[25:26] offset1:1
.LBB48_83:
	v_mul_u32_u24_e32 v6, 0x840, v13
	s_mov_b32 s7, 0
	s_waitcnt lgkmcnt(0)
	s_barrier
	buffer_gl0_inv
                                        ; implicit-def: $vgpr23
	s_and_saveexec_b32 s11, s2
	s_xor_b32 s2, exec_lo, s11
	s_cbranch_execz .LBB48_87
; %bb.84:
	s_mov_b32 s11, exec_lo
                                        ; implicit-def: $vgpr23
	v_cmpx_eq_u32_e64 v18, v10
	s_xor_b32 s11, exec_lo, s11
; %bb.85:
	v_add_nc_u32_e32 v23, v14, v16
	s_mov_b32 s7, exec_lo
; %bb.86:
	s_or_b32 exec_lo, exec_lo, s11
	s_and_b32 s7, s7, exec_lo
.LBB48_87:
	s_or_saveexec_b32 s2, s2
	v_mov_b32_e32 v8, 0
	v_mov_b32_e32 v9, 0
	v_add_nc_u32_e32 v34, v14, v6
	v_lshl_add_u32 v18, v18, 4, v45
	s_xor_b32 exec_lo, exec_lo, s2
	s_cbranch_execz .LBB48_89
; %bb.88:
	ds_read_b128 v[6:9], v34
	v_mov_b32_e32 v23, v18
	s_or_b32 s7, s7, exec_lo
	s_waitcnt lgkmcnt(0)
	v_xor_b32_e32 v9, 0x80000000, v9
	ds_write_b64 v18, v[6:7]
.LBB48_89:
	s_or_b32 exec_lo, exec_lo, s2
	v_mul_u32_u24_e32 v6, 0x210, v19
	s_and_saveexec_b32 s2, s7
; %bb.90:
	ds_write_b64 v23, v[8:9] offset:8
; %bb.91:
	s_or_b32 exec_lo, exec_lo, s2
	v_add_nc_u32_e32 v47, v14, v6
	s_mov_b32 s2, 0
                                        ; implicit-def: $vgpr8_vgpr9
                                        ; implicit-def: $vgpr23
	s_and_saveexec_b32 s7, s3
	s_xor_b32 s3, exec_lo, s7
	s_cbranch_execz .LBB48_131
; %bb.92:
	ds_read_b128 v[6:9], v47
	s_mov_b32 s2, exec_lo
	v_add_nc_u32_e32 v23, 16, v18
                                        ; implicit-def: $vgpr19
	s_waitcnt lgkmcnt(0)
	v_xor_b32_e32 v9, 0x80000000, v9
	ds_write_b64 v18, v[6:7] offset:16
	s_andn2_saveexec_b32 s3, s3
	s_cbranch_execnz .LBB48_132
.LBB48_93:
	s_or_b32 exec_lo, exec_lo, s3
	s_and_saveexec_b32 s3, s2
.LBB48_94:
	ds_write_b64 v23, v[8:9] offset:8
.LBB48_95:
	s_or_b32 exec_lo, exec_lo, s3
	s_mov_b32 s2, 0
                                        ; implicit-def: $vgpr19
	s_and_saveexec_b32 s3, s4
	s_xor_b32 s3, exec_lo, s3
	s_cbranch_execz .LBB48_99
; %bb.96:
	s_mov_b32 s4, exec_lo
                                        ; implicit-def: $vgpr19
	v_cmpx_eq_u32_e64 v20, v10
; %bb.97:
	v_add_nc_u32_e32 v19, v14, v16
	s_mov_b32 s2, exec_lo
; %bb.98:
	s_or_b32 exec_lo, exec_lo, s4
	s_and_b32 s2, s2, exec_lo
.LBB48_99:
	s_or_saveexec_b32 s3, s3
	v_mov_b32_e32 v8, 0
	v_mov_b32_e32 v9, 0
	s_xor_b32 exec_lo, exec_lo, s3
	s_cbranch_execz .LBB48_101
; %bb.100:
	ds_read_b128 v[6:9], v47 offset:528
	v_add_nc_u32_e32 v19, 32, v18
	s_or_b32 s2, s2, exec_lo
	s_waitcnt lgkmcnt(0)
	v_xor_b32_e32 v9, 0x80000000, v9
	ds_write_b64 v18, v[6:7] offset:32
.LBB48_101:
	s_or_b32 exec_lo, exec_lo, s3
	s_and_saveexec_b32 s3, s2
; %bb.102:
	ds_write_b64 v19, v[8:9] offset:8
; %bb.103:
	s_or_b32 exec_lo, exec_lo, s3
	s_mov_b32 s2, 0
                                        ; implicit-def: $vgpr19
	s_and_saveexec_b32 s3, s5
	s_xor_b32 s3, exec_lo, s3
	s_cbranch_execz .LBB48_107
; %bb.104:
	s_mov_b32 s4, exec_lo
                                        ; implicit-def: $vgpr19
	v_cmpx_eq_u32_e64 v21, v10
; %bb.105:
	v_add_nc_u32_e32 v19, v14, v16
	s_mov_b32 s2, exec_lo
; %bb.106:
	s_or_b32 exec_lo, exec_lo, s4
	s_and_b32 s2, s2, exec_lo
                                        ; implicit-def: $vgpr18
.LBB48_107:
	s_or_saveexec_b32 s3, s3
	v_mov_b32_e32 v8, 0
	v_mov_b32_e32 v9, 0
	s_xor_b32 exec_lo, exec_lo, s3
	s_cbranch_execz .LBB48_109
; %bb.108:
	ds_read_b128 v[6:9], v47 offset:1056
	v_add_nc_u32_e32 v19, 48, v18
	s_or_b32 s2, s2, exec_lo
	s_waitcnt lgkmcnt(0)
	v_xor_b32_e32 v9, 0x80000000, v9
	ds_write_b64 v18, v[6:7] offset:48
.LBB48_109:
	s_or_b32 exec_lo, exec_lo, s3
	v_add_nc_u32_e32 v16, 0x4700, v22
	s_and_saveexec_b32 s3, s2
; %bb.110:
	ds_write_b64 v19, v[8:9] offset:8
; %bb.111:
	s_or_b32 exec_lo, exec_lo, s3
	s_waitcnt lgkmcnt(0)
	s_barrier
	buffer_gl0_inv
	ds_read_b128 v[6:9], v34
	ds_read_b128 v[18:21], v16 offset:512
	ds_read_b128 v[22:25], v16 offset:528
	ds_read_b128 v[26:29], v47
	ds_read_b128 v[30:33], v47 offset:1056
	ds_read_b128 v[48:51], v16 offset:544
	;; [unrolled: 1-line block ×3, first 2 shown]
	v_cmp_eq_u32_e64 s2, 1, v13
	s_waitcnt lgkmcnt(5)
	v_mul_f64 v[35:36], v[20:21], v[8:9]
	v_mul_f64 v[8:9], v[18:19], v[8:9]
	s_waitcnt lgkmcnt(3)
	v_mul_f64 v[42:43], v[24:25], v[28:29]
	v_mul_f64 v[28:29], v[22:23], v[28:29]
	v_fma_f64 v[18:19], v[18:19], v[6:7], -v[35:36]
	v_fma_f64 v[20:21], v[20:21], v[6:7], v[8:9]
	s_waitcnt lgkmcnt(0)
	v_mul_f64 v[35:36], v[50:51], v[54:55]
	v_mul_f64 v[54:55], v[48:49], v[54:55]
	v_fma_f64 v[22:23], v[22:23], v[26:27], -v[42:43]
	v_fma_f64 v[24:25], v[24:25], v[26:27], v[28:29]
	ds_read_b128 v[6:9], v16 offset:560
	s_waitcnt lgkmcnt(0)
	s_barrier
	buffer_gl0_inv
	v_add_f64 v[18:19], v[18:19], 0
	v_add_f64 v[20:21], v[20:21], 0
	v_mul_f64 v[26:27], v[8:9], v[32:33]
	v_mul_f64 v[28:29], v[6:7], v[32:33]
	v_fma_f64 v[32:33], v[48:49], v[52:53], -v[35:36]
	v_fma_f64 v[35:36], v[50:51], v[52:53], v[54:55]
	v_add_f64 v[18:19], v[18:19], v[22:23]
	v_add_f64 v[20:21], v[20:21], v[24:25]
	v_fma_f64 v[6:7], v[6:7], v[30:31], -v[26:27]
	v_fma_f64 v[8:9], v[8:9], v[30:31], v[28:29]
	v_add_f64 v[18:19], v[18:19], v[32:33]
	v_add_f64 v[20:21], v[20:21], v[35:36]
	;; [unrolled: 1-line block ×4, first 2 shown]
	ds_write_b128 v46, v[6:9]
	s_waitcnt lgkmcnt(0)
	s_barrier
	buffer_gl0_inv
	s_and_saveexec_b32 s3, s2
	s_cbranch_execz .LBB48_113
; %bb.112:
	ds_read_b128 v[2:5], v45
	ds_read_b128 v[6:9], v45 offset:16
	s_waitcnt lgkmcnt(0)
	v_add_f64 v[18:19], v[6:7], v[2:3]
	v_add_f64 v[20:21], v[8:9], v[4:5]
	ds_read_b128 v[2:5], v45 offset:32
	ds_read_b128 v[6:9], v45 offset:48
	s_waitcnt lgkmcnt(1)
	v_add_f64 v[2:3], v[18:19], v[2:3]
	v_add_f64 v[4:5], v[20:21], v[4:5]
	s_waitcnt lgkmcnt(0)
	v_add_f64 v[18:19], v[2:3], v[6:7]
	v_add_f64 v[20:21], v[4:5], v[8:9]
	ds_read_b128 v[2:5], v45 offset:64
	ds_read_b128 v[6:9], v45 offset:80
	s_waitcnt lgkmcnt(1)
	v_add_f64 v[2:3], v[18:19], v[2:3]
	v_add_f64 v[4:5], v[20:21], v[4:5]
	;; [unrolled: 8-line block ×3, first 2 shown]
	s_waitcnt lgkmcnt(0)
	v_add_f64 v[2:3], v[2:3], v[6:7]
	v_add_f64 v[4:5], v[4:5], v[8:9]
.LBB48_113:
	s_or_b32 exec_lo, exec_lo, s3
	v_add_co_u32 v6, vcc_lo, 0xfffffe00, v11
	v_add_co_ci_u32_e64 v7, null, -1, v12, vcc_lo
	s_and_b32 vcc_lo, exec_lo, s26
	s_barrier
	buffer_gl0_inv
	s_cbranch_vccz .LBB48_135
; %bb.114:
	v_sub_co_u32 v8, vcc_lo, v6, v15
	s_ashr_i32 s11, s10, 31
	v_subrev_co_ci_u32_e64 v9, null, 0, v7, vcc_lo
	s_lshl_b64 s[4:5], s[10:11], 4
	s_sub_i32 s7, s10, 32
	v_add_co_u32 v8, vcc_lo, v8, s4
	v_add_co_ci_u32_e64 v9, null, s5, v9, vcc_lo
	v_cmp_le_i32_e64 s3, s7, v13
	v_add_co_u32 v8, vcc_lo, v8, -16
	v_add_co_ci_u32_e64 v9, null, -1, v9, vcc_lo
	v_cmp_gt_i32_e32 vcc_lo, s10, v10
	v_cndmask_b32_e32 v9, v9, v7, vcc_lo
	v_cndmask_b32_e32 v8, v8, v6, vcc_lo
	s_and_saveexec_b32 s11, s3
	s_xor_b32 s3, exec_lo, s11
	s_cbranch_execz .LBB48_116
; %bb.115:
	v_mov_b32_e32 v18, 0
	v_mov_b32_e32 v19, v18
	;; [unrolled: 1-line block ×4, first 2 shown]
	ds_write_b128 v17, v[18:21]
.LBB48_116:
	s_andn2_saveexec_b32 s3, s3
	s_cbranch_execz .LBB48_118
; %bb.117:
	flat_load_dwordx4 v[18:21], v[8:9]
	s_waitcnt vmcnt(0) lgkmcnt(0)
	ds_write2_b64 v17, v[18:19], v[20:21] offset1:1
.LBB48_118:
	s_or_b32 exec_lo, exec_lo, s3
	v_add_nc_u32_e32 v10, 8, v13
	v_cmp_le_i32_e64 s3, s7, v10
	v_mad_u32_u24 v11, 0x210, v10, v14
	s_and_saveexec_b32 s11, s3
	s_xor_b32 s3, exec_lo, s11
	s_cbranch_execz .LBB48_120
; %bb.119:
	v_mov_b32_e32 v18, 0
	v_mov_b32_e32 v19, v18
	;; [unrolled: 1-line block ×4, first 2 shown]
	ds_write_b128 v11, v[18:21]
                                        ; implicit-def: $vgpr11
.LBB48_120:
	s_andn2_saveexec_b32 s11, s3
	s_cbranch_execz .LBB48_122
; %bb.121:
	s_lshl_b64 s[14:15], s[16:17], 7
	v_add_co_u32 v18, s3, v8, s14
	v_add_co_ci_u32_e64 v19, null, s15, v9, s3
	flat_load_dwordx4 v[18:21], v[18:19]
	s_waitcnt vmcnt(0) lgkmcnt(0)
	ds_write2_b64 v11, v[18:19], v[20:21] offset1:1
.LBB48_122:
	s_or_b32 exec_lo, exec_lo, s11
	v_add_nc_u32_e32 v12, 16, v13
	v_cmp_le_i32_e64 s3, s7, v12
	v_mad_u32_u24 v11, 0x210, v12, v14
	s_and_saveexec_b32 s11, s3
	s_xor_b32 s3, exec_lo, s11
	s_cbranch_execz .LBB48_124
; %bb.123:
	v_mov_b32_e32 v18, 0
	v_mov_b32_e32 v19, v18
	;; [unrolled: 1-line block ×4, first 2 shown]
	ds_write_b128 v11, v[18:21]
                                        ; implicit-def: $vgpr11
.LBB48_124:
	s_andn2_saveexec_b32 s11, s3
	s_cbranch_execz .LBB48_126
; %bb.125:
	s_lshl_b64 s[14:15], s[16:17], 8
	v_add_co_u32 v18, s3, v8, s14
	v_add_co_ci_u32_e64 v19, null, s15, v9, s3
	flat_load_dwordx4 v[18:21], v[18:19]
	s_waitcnt vmcnt(0) lgkmcnt(0)
	ds_write2_b64 v11, v[18:19], v[20:21] offset1:1
.LBB48_126:
	s_or_b32 exec_lo, exec_lo, s11
	v_add_nc_u32_e32 v11, 24, v13
	v_cmp_le_i32_e64 s3, s7, v11
	v_mad_u32_u24 v18, 0x210, v11, v14
	s_and_saveexec_b32 s7, s3
	s_xor_b32 s3, exec_lo, s7
	s_cbranch_execz .LBB48_128
; %bb.127:
	v_mov_b32_e32 v19, 0
	v_mov_b32_e32 v20, v19
	;; [unrolled: 1-line block ×4, first 2 shown]
	ds_write_b128 v18, v[19:22]
                                        ; implicit-def: $vgpr18
.LBB48_128:
	s_andn2_saveexec_b32 s3, s3
	s_cbranch_execz .LBB48_130
; %bb.129:
	v_mad_u64_u32 v[19:20], null, 0x180, s16, v[8:9]
	v_mad_u64_u32 v[20:21], null, 0x180, s17, v[20:21]
	flat_load_dwordx4 v[19:22], v[19:20]
	s_waitcnt vmcnt(0) lgkmcnt(0)
	ds_write2_b64 v18, v[19:20], v[21:22] offset1:1
.LBB48_130:
	s_or_b32 exec_lo, exec_lo, s3
	v_add_co_u32 v8, s3, v8, v15
	v_add_co_ci_u32_e64 v9, null, 0, v9, s3
	v_sub_co_u32 v8, s3, v8, s4
	v_subrev_co_ci_u32_e64 v9, null, s5, v9, s3
	v_add_co_u32 v8, s3, v8, 16
	v_add_co_ci_u32_e64 v9, null, 0, v9, s3
	v_cndmask_b32_e32 v42, v8, v6, vcc_lo
	v_cndmask_b32_e32 v43, v9, v7, vcc_lo
	s_branch .LBB48_137
.LBB48_131:
	s_andn2_saveexec_b32 s3, s3
	s_cbranch_execz .LBB48_93
.LBB48_132:
	s_mov_b32 s7, s2
	s_mov_b32 s11, exec_lo
                                        ; implicit-def: $vgpr23
	v_cmpx_eq_u32_e64 v19, v10
; %bb.133:
	v_add_nc_u32_e32 v23, v14, v16
	s_or_b32 s7, s2, exec_lo
; %bb.134:
	s_or_b32 exec_lo, exec_lo, s11
	v_mov_b32_e32 v8, 0
	v_mov_b32_e32 v9, 0
	s_andn2_b32 s2, s2, exec_lo
	s_and_b32 s7, s7, exec_lo
	s_or_b32 s2, s2, s7
	s_or_b32 exec_lo, exec_lo, s3
	s_and_saveexec_b32 s3, s2
	s_cbranch_execnz .LBB48_94
	s_branch .LBB48_95
.LBB48_135:
                                        ; implicit-def: $vgpr42_vgpr43
                                        ; implicit-def: $vgpr10
                                        ; implicit-def: $vgpr12
                                        ; implicit-def: $vgpr11
	s_cbranch_execz .LBB48_137
; %bb.136:
	flat_load_dwordx4 v[8:11], v[6:7]
	s_lshl_b64 s[4:5], s[16:17], 7
	v_mov_b32_e32 v43, v7
	v_add_co_u32 v21, vcc_lo, v6, s4
	v_add_co_ci_u32_e64 v22, null, s5, v7, vcc_lo
	v_add_nc_u32_e32 v12, 16, v13
	v_mov_b32_e32 v42, v6
	s_waitcnt vmcnt(0) lgkmcnt(0)
	ds_write2_b64 v17, v[8:9], v[10:11] offset1:1
	flat_load_dwordx4 v[17:20], v[21:22]
	v_add_nc_u32_e32 v10, 8, v13
	v_add_co_u32 v8, vcc_lo, v21, s4
	v_add_co_ci_u32_e64 v9, null, s5, v22, vcc_lo
	v_mad_u32_u24 v14, 0x210, v10, v14
	v_add_nc_u32_e32 v11, 0x1080, v14
	s_waitcnt vmcnt(0) lgkmcnt(0)
	ds_write2_b64 v14, v[17:18], v[19:20] offset1:1
	flat_load_dwordx4 v[17:20], v[8:9]
	v_add_co_u32 v8, vcc_lo, v8, s4
	v_add_co_ci_u32_e64 v9, null, s5, v9, vcc_lo
	s_waitcnt vmcnt(0) lgkmcnt(0)
	ds_write2_b64 v11, v[17:18], v[19:20] offset1:1
	flat_load_dwordx4 v[17:20], v[8:9]
	v_add_nc_u32_e32 v11, 24, v13
	v_add_nc_u32_e32 v8, 0x2100, v14
	s_waitcnt vmcnt(0) lgkmcnt(0)
	ds_write2_b64 v8, v[17:18], v[19:20] offset1:1
.LBB48_137:
	v_lshlrev_b32_e32 v13, 4, v13
	s_waitcnt lgkmcnt(0)
	s_barrier
	buffer_gl0_inv
	v_lshlrev_b32_e32 v10, 4, v10
	v_add_nc_u32_e32 v6, v45, v13
	ds_read_b128 v[6:9], v6
	ds_read_b128 v[17:20], v13 offset:18176
	v_add_nc_u32_e32 v13, v45, v10
	ds_read_b128 v[21:24], v13
	ds_read_b128 v[25:28], v10 offset:18176
	v_lshlrev_b32_e32 v10, 4, v12
	v_add_nc_u32_e32 v12, v45, v10
	ds_read_b128 v[12:15], v12
	ds_read_b128 v[29:32], v10 offset:18176
	v_lshlrev_b32_e32 v10, 4, v11
	s_waitcnt lgkmcnt(4)
	v_mul_f64 v[35:36], v[8:9], v[19:20]
	v_mul_f64 v[8:9], v[8:9], v[17:18]
	s_waitcnt lgkmcnt(2)
	v_mul_f64 v[48:49], v[23:24], v[27:28]
	v_mul_f64 v[23:24], v[23:24], v[25:26]
	v_fma_f64 v[35:36], v[6:7], v[17:18], v[35:36]
	v_fma_f64 v[50:51], v[6:7], v[19:20], -v[8:9]
	v_add_nc_u32_e32 v6, v45, v10
	ds_read_b128 v[6:9], v6
	ds_read_b128 v[17:20], v10 offset:18176
	s_waitcnt lgkmcnt(2)
	v_mul_f64 v[10:11], v[14:15], v[31:32]
	v_mul_f64 v[14:15], v[14:15], v[29:30]
	v_fma_f64 v[25:26], v[21:22], v[25:26], v[48:49]
	v_fma_f64 v[21:22], v[21:22], v[27:28], -v[23:24]
	v_add_f64 v[23:24], v[35:36], 0
	v_add_f64 v[27:28], v[50:51], 0
	s_waitcnt lgkmcnt(0)
	v_mul_f64 v[35:36], v[8:9], v[19:20]
	v_mul_f64 v[8:9], v[8:9], v[17:18]
	v_fma_f64 v[10:11], v[12:13], v[29:30], v[10:11]
	v_fma_f64 v[12:13], v[12:13], v[31:32], -v[14:15]
	v_add_f64 v[14:15], v[23:24], v[25:26]
	v_add_f64 v[21:22], v[27:28], v[21:22]
	v_fma_f64 v[17:18], v[6:7], v[17:18], v[35:36]
	v_fma_f64 v[6:7], v[6:7], v[19:20], -v[8:9]
	v_add_f64 v[8:9], v[14:15], v[10:11]
	v_add_f64 v[10:11], v[21:22], v[12:13]
	ds_read_b128 v[30:33], v16 offset:512
	ds_read_b128 v[22:25], v16 offset:528
	v_add_f64 v[48:49], v[8:9], v[17:18]
	v_add_f64 v[50:51], v[10:11], v[6:7]
	ds_read_b128 v[10:13], v16 offset:544
	ds_read_b128 v[6:9], v16 offset:560
	ds_read_b128 v[26:29], v47
	ds_read_b128 v[18:21], v47 offset:528
	ds_read_b128 v[34:37], v34
	ds_read_b128 v[14:17], v47 offset:1056
	s_waitcnt lgkmcnt(0)
	s_barrier
	buffer_gl0_inv
	ds_write_b128 v46, v[48:51]
	s_waitcnt lgkmcnt(0)
	s_barrier
	buffer_gl0_inv
	s_and_saveexec_b32 s3, s2
	s_cbranch_execz .LBB48_139
; %bb.138:
	ds_read_b128 v[47:50], v45
	ds_read_b128 v[51:54], v45 offset:16
	s_waitcnt lgkmcnt(1)
	v_add_f64 v[2:3], v[2:3], v[47:48]
	v_add_f64 v[4:5], v[4:5], v[49:50]
	s_waitcnt lgkmcnt(0)
	v_add_f64 v[51:52], v[2:3], v[51:52]
	v_add_f64 v[53:54], v[4:5], v[53:54]
	ds_read_b128 v[2:5], v45 offset:32
	ds_read_b128 v[47:50], v45 offset:48
	s_waitcnt lgkmcnt(1)
	v_add_f64 v[2:3], v[51:52], v[2:3]
	v_add_f64 v[4:5], v[53:54], v[4:5]
	s_waitcnt lgkmcnt(0)
	v_add_f64 v[51:52], v[2:3], v[47:48]
	v_add_f64 v[53:54], v[4:5], v[49:50]
	ds_read_b128 v[2:5], v45 offset:64
	;; [unrolled: 8-line block ×3, first 2 shown]
	ds_read_b128 v[47:50], v45 offset:112
	s_waitcnt lgkmcnt(1)
	v_add_f64 v[2:3], v[51:52], v[2:3]
	v_add_f64 v[4:5], v[53:54], v[4:5]
	s_waitcnt lgkmcnt(0)
	v_add_f64 v[2:3], v[2:3], v[47:48]
	v_add_f64 v[4:5], v[4:5], v[49:50]
.LBB48_139:
	s_or_b32 exec_lo, exec_lo, s3
	v_mul_f64 v[47:48], v[32:33], v[36:37]
	v_mul_f64 v[36:37], v[30:31], v[36:37]
	;; [unrolled: 1-line block ×4, first 2 shown]
	s_barrier
	buffer_gl0_inv
	v_fma_f64 v[30:31], v[30:31], v[34:35], -v[47:48]
	v_fma_f64 v[32:33], v[32:33], v[34:35], v[36:37]
	v_mul_f64 v[34:35], v[12:13], v[20:21]
	v_mul_f64 v[20:21], v[10:11], v[20:21]
	v_fma_f64 v[22:23], v[22:23], v[26:27], -v[49:50]
	v_fma_f64 v[24:25], v[24:25], v[26:27], v[28:29]
	v_add_f64 v[26:27], v[30:31], 0
	v_add_f64 v[28:29], v[32:33], 0
	v_mul_f64 v[30:31], v[8:9], v[16:17]
	v_mul_f64 v[16:17], v[6:7], v[16:17]
	v_fma_f64 v[10:11], v[10:11], v[18:19], -v[34:35]
	v_fma_f64 v[12:13], v[12:13], v[18:19], v[20:21]
	v_add_f64 v[18:19], v[26:27], v[22:23]
	v_add_f64 v[20:21], v[28:29], v[24:25]
	v_fma_f64 v[6:7], v[6:7], v[14:15], -v[30:31]
	v_fma_f64 v[8:9], v[8:9], v[14:15], v[16:17]
	v_add_f64 v[10:11], v[18:19], v[10:11]
	v_add_f64 v[12:13], v[20:21], v[12:13]
	;; [unrolled: 1-line block ×4, first 2 shown]
	ds_write_b128 v46, v[6:9]
	s_waitcnt lgkmcnt(0)
	s_barrier
	buffer_gl0_inv
	s_and_saveexec_b32 s2, s1
	s_cbranch_execz .LBB48_141
; %bb.140:
	ds_read_b128 v[6:9], v45
	ds_read_b128 v[10:13], v45 offset:16
	s_waitcnt lgkmcnt(1)
	v_add_f64 v[2:3], v[2:3], v[6:7]
	v_add_f64 v[4:5], v[4:5], v[8:9]
	s_waitcnt lgkmcnt(0)
	v_add_f64 v[10:11], v[2:3], v[10:11]
	v_add_f64 v[12:13], v[4:5], v[12:13]
	ds_read_b128 v[2:5], v45 offset:32
	ds_read_b128 v[6:9], v45 offset:48
	s_waitcnt lgkmcnt(1)
	v_add_f64 v[2:3], v[10:11], v[2:3]
	v_add_f64 v[4:5], v[12:13], v[4:5]
	s_waitcnt lgkmcnt(0)
	v_add_f64 v[10:11], v[2:3], v[6:7]
	v_add_f64 v[12:13], v[4:5], v[8:9]
	ds_read_b128 v[2:5], v45 offset:64
	;; [unrolled: 8-line block ×3, first 2 shown]
	ds_read_b128 v[6:9], v45 offset:112
	s_waitcnt lgkmcnt(1)
	v_add_f64 v[2:3], v[10:11], v[2:3]
	v_add_f64 v[4:5], v[12:13], v[4:5]
	s_waitcnt lgkmcnt(0)
	v_add_f64 v[2:3], v[2:3], v[6:7]
	v_add_f64 v[4:5], v[4:5], v[8:9]
.LBB48_141:
	s_or_b32 exec_lo, exec_lo, s2
	s_mul_hi_u32 s1, s24, s18
	s_mul_i32 s25, s25, s18
	s_mul_i32 s2, s24, s18
	s_add_i32 s1, s1, s25
	s_mul_hi_u32 s3, s2, s19
	s_mul_i32 s1, s1, s19
	s_mul_i32 s2, s2, s19
	s_add_i32 s3, s3, s1
	s_mul_hi_i32 s5, s24, s6
	s_lshl_b64 s[2:3], s[2:3], 4
	s_mul_i32 s4, s24, s6
	s_add_u32 s1, s20, s2
	s_addc_u32 s2, s21, s3
	s_lshl_b64 s[4:5], s[4:5], 4
	v_lshlrev_b32_e32 v169, 4, v0
	s_add_u32 s3, s1, s4
	s_addc_u32 s7, s2, s5
	s_add_i32 s1, s6, 1
	s_cmp_ge_u32 s1, s19
	s_barrier
	buffer_gl0_inv
	s_cbranch_scc1 .LBB48_199
; %bb.142:
	v_lshlrev_b32_e32 v15, 6, v1
	v_lshrrev_b32_e32 v6, 4, v44
	v_and_b32_e32 v7, 15, v0
	v_and_b32_e32 v8, 48, v0
	v_or_b32_e32 v10, 0xf0, v169
	s_mul_i32 s1, s8, s13
	v_lshlrev_b32_e32 v9, 6, v6
	v_mul_i32_i24_e32 v16, 0xffffffd0, v6
	v_lshlrev_b32_e32 v8, 4, v8
	v_mad_u32_u24 v179, 0x430, v7, v10
	v_add_nc_u32_e32 v10, 0x220, v15
	v_mad_u32_u24 v177, 0x430, v7, v9
	s_mul_hi_u32 s2, s8, s12
	v_mad_u32_u24 v178, 0x430, v7, v8
	s_mul_i32 s4, s9, s12
	v_mad_u64_u32 v[7:8], null, s16, v10, 0
	s_add_i32 s1, s2, s1
	v_add_nc_u32_e32 v12, 0x530, v15
	s_add_i32 s5, s1, s4
	s_mul_i32 s4, s8, s12
	v_add_nc_u32_e32 v17, 0x210, v15
	s_lshl_b64 s[4:5], s[4:5], 4
	v_mov_b32_e32 v6, v8
	v_sub_co_u32 v171, vcc_lo, v40, s4
	v_subrev_co_ci_u32_e64 v172, null, s5, v41, vcc_lo
	v_mad_u64_u32 v[10:11], null, s17, v10, v[6:7]
	v_sub_co_u32 v7, vcc_lo, v7, v38
	v_mad_u64_u32 v[8:9], null, s16, v12, 0
	v_add_nc_u32_e32 v18, 0x500, v15
	v_add_nc_u32_e32 v174, 0x4300, v15
	v_sub_co_ci_u32_e64 v14, null, v10, v39, vcc_lo
	v_mad_u64_u32 v[10:11], null, s16, v17, 0
	v_add_co_u32 v195, vcc_lo, v42, v7
	v_add_co_ci_u32_e64 v196, null, v43, v14, vcc_lo
	v_lshlrev_b32_e32 v170, 2, v1
	v_add_nc_u32_e32 v173, 0x4300, v169
	v_mad_u64_u32 v[12:13], null, s17, v12, v[9:10]
	v_sub_co_u32 v9, vcc_lo, v8, v38
	v_mov_b32_e32 v7, v11
	v_mad_u64_u32 v[13:14], null, s16, v18, 0
	v_add_nc_u32_e32 v175, 0x4700, v169
	v_sub_co_ci_u32_e64 v11, null, v12, v39, vcc_lo
	v_add_nc_u32_e32 v12, 0x200, v15
	v_add_co_u32 v197, vcc_lo, v42, v9
	v_mad_u64_u32 v[7:8], null, s17, v17, v[7:8]
	v_add_co_ci_u32_e64 v198, null, v43, v11, vcc_lo
	v_sub_co_u32 v11, vcc_lo, v10, v38
	v_mad_u64_u32 v[9:10], null, s16, v12, 0
	v_mov_b32_e32 v8, v14
	v_sub_co_ci_u32_e64 v14, null, v7, v39, vcc_lo
	v_add_nc_u32_e32 v17, 0x510, v15
	v_add_co_u32 v199, vcc_lo, v42, v11
	v_mad_u64_u32 v[7:8], null, s17, v18, v[8:9]
	v_add_co_ci_u32_e64 v200, null, v43, v14, vcc_lo
	v_sub_co_u32 v13, vcc_lo, v13, v38
	v_mov_b32_e32 v8, v10
	v_mad_u64_u32 v[10:11], null, s16, v17, 0
	v_sub_co_ci_u32_e64 v14, null, v7, v39, vcc_lo
	v_add_co_u32 v201, vcc_lo, v42, v13
	v_mad_u64_u32 v[7:8], null, s17, v12, v[8:9]
	v_add_co_ci_u32_e64 v202, null, v43, v14, vcc_lo
	v_add_nc_u32_e32 v14, 0x230, v15
	v_mov_b32_e32 v8, v11
	v_sub_co_u32 v9, vcc_lo, v9, v38
	v_sub_co_ci_u32_e64 v13, null, v7, v39, vcc_lo
	v_mad_u64_u32 v[11:12], null, s16, v14, 0
	v_mad_u64_u32 v[7:8], null, s17, v17, v[8:9]
	v_add_nc_u32_e32 v17, 0x320, v15
	v_add_co_u32 v203, vcc_lo, v42, v9
	v_add_co_ci_u32_e64 v204, null, v43, v13, vcc_lo
	v_mov_b32_e32 v8, v12
	v_mad_u64_u32 v[12:13], null, s16, v17, 0
	v_sub_co_u32 v9, vcc_lo, v10, v38
	v_sub_co_ci_u32_e64 v10, null, v7, v39, vcc_lo
	v_mad_u32_u24 v176, 0x10c0, v1, v169
	v_mad_u64_u32 v[7:8], null, s17, v14, v[8:9]
	v_mov_b32_e32 v8, v13
	v_add_nc_u32_e32 v13, 0x520, v15
	v_add_co_u32 v205, vcc_lo, v42, v9
	v_add_co_ci_u32_e64 v206, null, v43, v10, vcc_lo
	v_mad_u64_u32 v[9:10], null, s16, v13, 0
	v_sub_co_u32 v11, vcc_lo, v11, v38
	v_sub_co_ci_u32_e64 v14, null, v7, v39, vcc_lo
	v_cmp_gt_u32_e64 s1, 64, v44
	v_add_co_u32 v207, vcc_lo, v42, v11
	v_mad_u64_u32 v[7:8], null, s17, v17, v[8:9]
	v_add_nc_u32_e32 v17, 0x430, v15
	v_add_co_ci_u32_e64 v208, null, v43, v14, vcc_lo
	v_sub_co_u32 v12, vcc_lo, v12, v38
	v_mov_b32_e32 v8, v10
	v_mad_u64_u32 v[10:11], null, s16, v17, 0
	v_sub_co_ci_u32_e64 v14, null, v7, v39, vcc_lo
	v_add_co_u32 v209, vcc_lo, v42, v12
	v_mad_u64_u32 v[7:8], null, s17, v13, v[8:9]
	v_add_co_ci_u32_e64 v210, null, v43, v14, vcc_lo
	v_add_nc_u32_e32 v14, 0x310, v15
	v_mov_b32_e32 v8, v11
	v_sub_co_u32 v9, vcc_lo, v9, v38
	v_sub_co_ci_u32_e64 v13, null, v7, v39, vcc_lo
	v_mad_u64_u32 v[11:12], null, s16, v14, 0
	v_mad_u64_u32 v[7:8], null, s17, v17, v[8:9]
	v_add_nc_u32_e32 v17, 0x400, v15
	v_add_co_u32 v211, vcc_lo, v42, v9
	v_add_co_ci_u32_e64 v212, null, v43, v13, vcc_lo
	v_mov_b32_e32 v8, v12
	v_mad_u64_u32 v[12:13], null, s16, v17, 0
	v_sub_co_u32 v9, vcc_lo, v10, v38
	v_sub_co_ci_u32_e64 v10, null, v7, v39, vcc_lo
	v_or_b32_e32 v180, 1, v170
	v_mad_u64_u32 v[7:8], null, s17, v14, v[8:9]
	v_mov_b32_e32 v8, v13
	v_add_nc_u32_e32 v13, 0x300, v15
	v_add_co_u32 v213, vcc_lo, v42, v9
	v_add_co_ci_u32_e64 v214, null, v43, v10, vcc_lo
	v_mad_u64_u32 v[9:10], null, s16, v13, 0
	v_sub_co_u32 v11, vcc_lo, v11, v38
	v_sub_co_ci_u32_e64 v14, null, v7, v39, vcc_lo
	v_or_b32_e32 v181, 2, v170
	v_add_co_u32 v215, vcc_lo, v42, v11
	v_mad_u64_u32 v[7:8], null, s17, v17, v[8:9]
	v_add_nc_u32_e32 v17, 0x410, v15
	v_mov_b32_e32 v8, v10
	v_add_co_ci_u32_e64 v216, null, v43, v14, vcc_lo
	v_sub_co_u32 v12, vcc_lo, v12, v38
	v_mad_u64_u32 v[10:11], null, s16, v17, 0
	v_sub_co_ci_u32_e64 v14, null, v7, v39, vcc_lo
	v_mad_u64_u32 v[7:8], null, s17, v13, v[8:9]
	v_add_co_u32 v217, vcc_lo, v42, v12
	v_add_co_ci_u32_e64 v218, null, v43, v14, vcc_lo
	v_mov_b32_e32 v8, v11
	v_sub_co_u32 v11, vcc_lo, v9, v38
	v_sub_co_ci_u32_e64 v12, null, v7, v39, vcc_lo
	v_add_nc_u32_e32 v14, 0x420, v15
	v_add_nc_u32_e32 v13, 0x330, v15
	v_add_co_u32 v219, vcc_lo, v42, v11
	v_mad_u64_u32 v[7:8], null, s17, v17, v[8:9]
	v_add_co_ci_u32_e64 v220, null, v43, v12, vcc_lo
	v_mad_u64_u32 v[11:12], null, s16, v14, 0
	v_mad_u64_u32 v[8:9], null, s16, v13, 0
	v_sub_co_u32 v15, vcc_lo, v10, v38
	v_sub_co_ci_u32_e64 v17, null, v7, v39, vcc_lo
	v_mov_b32_e32 v7, v12
	v_add_co_u32 v221, vcc_lo, v42, v15
	v_mad_u64_u32 v[9:10], null, s17, v13, v[9:10]
	v_mad_u64_u32 v[12:13], null, s17, v14, v[7:8]
	v_add_co_ci_u32_e64 v222, null, v43, v17, vcc_lo
	v_sub_co_u32 v7, vcc_lo, v8, v38
	v_sub_co_ci_u32_e64 v8, null, v9, v39, vcc_lo
	v_sub_co_u32 v9, vcc_lo, v11, v38
	v_sub_co_ci_u32_e64 v10, null, v12, v39, vcc_lo
	v_add_co_u32 v223, vcc_lo, v42, v7
	v_add_co_ci_u32_e64 v224, null, v43, v8, vcc_lo
	v_add_co_u32 v225, vcc_lo, v42, v9
	v_or_b32_e32 v182, 3, v170
	v_add_nc_u32_e32 v183, 16, v170
	v_add_nc_u32_e32 v184, 17, v170
	;; [unrolled: 1-line block ×12, first 2 shown]
	v_mov_b32_e32 v6, 0
	v_add_co_ci_u32_e64 v226, null, v43, v10, vcc_lo
	v_add_nc_u32_e32 v227, v177, v16
	s_add_i32 s11, s19, -2
	s_add_i32 s12, s12, 64
	s_lshl_b64 s[4:5], s[16:17], 10
	s_cmp_eq_u32 s11, s6
	s_cselect_b32 s13, s22, 0
	s_and_saveexec_b32 s2, s0
	s_cbranch_execz .LBB48_148
	s_branch .LBB48_144
.LBB48_143:                             ;   in Loop: Header=BB48_148 Depth=1
	s_mov_b32 s6, s2
	s_cmp_eq_u32 s11, s6
	s_cselect_b32 s13, s22, 0
	s_and_saveexec_b32 s2, s0
	s_cbranch_execz .LBB48_148
.LBB48_144:
	v_cmp_le_i32_e32 vcc_lo, s13, v0
	s_cmp_lg_u32 s13, 0
	s_cselect_b32 s14, -1, 0
	s_and_b32 s14, s14, vcc_lo
	s_and_saveexec_b32 s15, s14
	s_xor_b32 s14, exec_lo, s15
	s_cbranch_execz .LBB48_146
; %bb.145:
	v_mov_b32_e32 v7, v6
	v_mov_b32_e32 v8, v6
	;; [unrolled: 1-line block ×3, first 2 shown]
	ds_write_b128 v173, v[6:9]
.LBB48_146:
	s_andn2_saveexec_b32 s14, s14
	s_cbranch_execz .LBB48_148
; %bb.147:
	s_ashr_i32 s14, s12, 31
	s_mul_hi_u32 s15, s8, s12
	s_mul_i32 s14, s8, s14
	s_mul_i32 s16, s9, s12
	s_add_i32 s15, s15, s14
	s_mul_i32 s14, s8, s12
	s_add_i32 s15, s15, s16
	s_lshl_b64 s[14:15], s[14:15], 4
	v_add_co_u32 v7, vcc_lo, v171, s14
	v_add_co_ci_u32_e64 v8, null, s15, v172, vcc_lo
	flat_load_dwordx4 v[7:10], v[7:8]
	s_waitcnt vmcnt(0) lgkmcnt(0)
	ds_write2_b64 v173, v[7:8], v[9:10] offset1:1
.LBB48_148:                             ; =>This Inner Loop Header: Depth=1
	s_or_b32 exec_lo, exec_lo, s2
	s_cmp_eq_u32 s13, 0
	v_add_co_u32 v19, vcc_lo, v203, v169
	s_cselect_b32 s14, -1, 0
	s_cmp_lg_u32 s13, 0
	v_add_co_ci_u32_e64 v20, null, 0, v204, vcc_lo
	s_cselect_b32 s2, -1, 0
	s_waitcnt lgkmcnt(0)
	s_and_b32 vcc_lo, exec_lo, s2
	s_barrier
	buffer_gl0_inv
	s_cbranch_vccz .LBB48_156
; %bb.149:                              ;   in Loop: Header=BB48_148 Depth=1
	v_mov_b32_e32 v7, 0
	v_mov_b32_e32 v11, 0
	;; [unrolled: 1-line block ×6, first 2 shown]
	s_mov_b32 s15, exec_lo
	v_cmpx_gt_i32_e64 s13, v170
	s_cbranch_execz .LBB48_151
; %bb.150:                              ;   in Loop: Header=BB48_148 Depth=1
	flat_load_dwordx4 v[11:14], v[19:20]
.LBB48_151:                             ;   in Loop: Header=BB48_148 Depth=1
	s_or_b32 exec_lo, exec_lo, s15
	v_mov_b32_e32 v9, 0
	v_mov_b32_e32 v10, 0
	s_mov_b32 s15, exec_lo
	v_cmpx_gt_i32_e64 s13, v180
	s_cbranch_execz .LBB48_153
; %bb.152:                              ;   in Loop: Header=BB48_148 Depth=1
	v_add_co_u32 v7, vcc_lo, v199, v169
	v_add_co_ci_u32_e64 v8, null, 0, v200, vcc_lo
	flat_load_dwordx4 v[7:10], v[7:8]
.LBB48_153:                             ;   in Loop: Header=BB48_148 Depth=1
	s_or_b32 exec_lo, exec_lo, s15
	v_mov_b32_e32 v15, 0
	v_mov_b32_e32 v17, 0
	;; [unrolled: 1-line block ×4, first 2 shown]
	s_mov_b32 s15, exec_lo
	v_cmpx_gt_i32_e64 s13, v181
	s_cbranch_execz .LBB48_155
; %bb.154:                              ;   in Loop: Header=BB48_148 Depth=1
	v_add_co_u32 v15, vcc_lo, v195, v169
	v_add_co_ci_u32_e64 v16, null, 0, v196, vcc_lo
	flat_load_dwordx4 v[15:18], v[15:16]
.LBB48_155:                             ;   in Loop: Header=BB48_148 Depth=1
	s_or_b32 exec_lo, exec_lo, s15
	v_cmp_gt_i32_e64 s15, s13, v182
	s_branch .LBB48_158
.LBB48_156:                             ;   in Loop: Header=BB48_148 Depth=1
	s_mov_b32 s15, 0
                                        ; implicit-def: $vgpr17_vgpr18
                                        ; implicit-def: $vgpr9_vgpr10
                                        ; implicit-def: $vgpr13_vgpr14
	s_cbranch_execz .LBB48_158
; %bb.157:                              ;   in Loop: Header=BB48_148 Depth=1
	s_waitcnt vmcnt(0) lgkmcnt(0)
	v_add_co_u32 v7, vcc_lo, v199, v169
	v_add_co_ci_u32_e64 v8, null, 0, v200, vcc_lo
	v_add_co_u32 v15, vcc_lo, v195, v169
	v_add_co_ci_u32_e64 v16, null, 0, v196, vcc_lo
	flat_load_dwordx4 v[11:14], v[19:20]
	flat_load_dwordx4 v[7:10], v[7:8]
	;; [unrolled: 1-line block ×3, first 2 shown]
	s_or_b32 s15, s15, exec_lo
.LBB48_158:                             ;   in Loop: Header=BB48_148 Depth=1
	v_mov_b32_e32 v19, 0
	v_mov_b32_e32 v21, 0
	;; [unrolled: 1-line block ×4, first 2 shown]
	s_and_saveexec_b32 s16, s15
	s_cbranch_execz .LBB48_160
; %bb.159:                              ;   in Loop: Header=BB48_148 Depth=1
	v_add_co_u32 v19, vcc_lo, v207, v169
	v_add_co_ci_u32_e64 v20, null, 0, v208, vcc_lo
	flat_load_dwordx4 v[19:22], v[19:20]
.LBB48_160:                             ;   in Loop: Header=BB48_148 Depth=1
	s_or_b32 exec_lo, exec_lo, s16
	ds_read_b128 v[23:26], v175
	v_cndmask_b32_e64 v119, 0, 1, s2
	s_waitcnt vmcnt(0) lgkmcnt(0)
	v_mul_f64 v[27:28], v[13:14], v[25:26]
	v_mul_f64 v[29:30], v[13:14], v[23:24]
	;; [unrolled: 1-line block ×8, first 2 shown]
	v_fma_f64 v[39:40], v[11:12], v[23:24], v[27:28]
	v_fma_f64 v[41:42], v[11:12], v[25:26], -v[29:30]
	v_fma_f64 v[43:44], v[7:8], v[23:24], v[31:32]
	v_fma_f64 v[45:46], v[7:8], v[25:26], -v[33:34]
	;; [unrolled: 2-line block ×4, first 2 shown]
	ds_read_b128 v[35:38], v174
	ds_read_b128 v[31:34], v174 offset:16
	ds_read_b128 v[27:30], v174 offset:32
	;; [unrolled: 1-line block ×3, first 2 shown]
	ds_write_b128 v176, v[39:42]
	ds_write_b128 v176, v[43:46] offset:1072
	ds_write_b128 v176, v[47:50] offset:2144
	;; [unrolled: 1-line block ×3, first 2 shown]
	s_waitcnt lgkmcnt(0)
	s_barrier
	buffer_gl0_inv
	ds_read_b128 v[99:102], v177
	ds_read_b128 v[95:98], v177 offset:16
	ds_read_b128 v[91:94], v177 offset:32
	;; [unrolled: 1-line block ×3, first 2 shown]
	v_add_co_u32 v51, vcc_lo, v219, v169
	v_add_co_ci_u32_e64 v52, null, 0, v220, vcc_lo
	s_andn2_b32 vcc_lo, exec_lo, s2
	s_waitcnt lgkmcnt(0)
	s_barrier
	buffer_gl0_inv
	s_cbranch_vccnz .LBB48_168
; %bb.161:                              ;   in Loop: Header=BB48_148 Depth=1
	v_mov_b32_e32 v39, 0
	v_mov_b32_e32 v43, 0
	;; [unrolled: 1-line block ×6, first 2 shown]
	s_mov_b32 s2, exec_lo
	v_cmpx_gt_i32_e64 s13, v183
	s_cbranch_execz .LBB48_163
; %bb.162:                              ;   in Loop: Header=BB48_148 Depth=1
	flat_load_dwordx4 v[43:46], v[51:52]
.LBB48_163:                             ;   in Loop: Header=BB48_148 Depth=1
	s_or_b32 exec_lo, exec_lo, s2
	v_mov_b32_e32 v41, 0
	v_mov_b32_e32 v42, 0
	s_mov_b32 s2, exec_lo
	v_cmpx_gt_i32_e64 s13, v184
	s_cbranch_execz .LBB48_165
; %bb.164:                              ;   in Loop: Header=BB48_148 Depth=1
	v_add_co_u32 v39, vcc_lo, v215, v169
	v_add_co_ci_u32_e64 v40, null, 0, v216, vcc_lo
	flat_load_dwordx4 v[39:42], v[39:40]
.LBB48_165:                             ;   in Loop: Header=BB48_148 Depth=1
	s_or_b32 exec_lo, exec_lo, s2
	v_mov_b32_e32 v47, 0
	v_mov_b32_e32 v49, 0
	;; [unrolled: 1-line block ×4, first 2 shown]
	s_mov_b32 s2, exec_lo
	v_cmpx_gt_i32_e64 s13, v185
	s_cbranch_execz .LBB48_167
; %bb.166:                              ;   in Loop: Header=BB48_148 Depth=1
	v_add_co_u32 v47, vcc_lo, v209, v169
	v_add_co_ci_u32_e64 v48, null, 0, v210, vcc_lo
	flat_load_dwordx4 v[47:50], v[47:48]
.LBB48_167:                             ;   in Loop: Header=BB48_148 Depth=1
	s_or_b32 exec_lo, exec_lo, s2
	v_cmp_gt_i32_e64 s2, s13, v186
	s_branch .LBB48_170
.LBB48_168:                             ;   in Loop: Header=BB48_148 Depth=1
	s_mov_b32 s2, 0
                                        ; implicit-def: $vgpr49_vgpr50
                                        ; implicit-def: $vgpr41_vgpr42
                                        ; implicit-def: $vgpr45_vgpr46
	s_cbranch_execz .LBB48_170
; %bb.169:                              ;   in Loop: Header=BB48_148 Depth=1
	s_waitcnt vmcnt(0) lgkmcnt(0)
	v_add_co_u32 v39, vcc_lo, v215, v169
	v_add_co_ci_u32_e64 v40, null, 0, v216, vcc_lo
	v_add_co_u32 v47, vcc_lo, v209, v169
	v_add_co_ci_u32_e64 v48, null, 0, v210, vcc_lo
	flat_load_dwordx4 v[43:46], v[51:52]
	flat_load_dwordx4 v[39:42], v[39:40]
	flat_load_dwordx4 v[47:50], v[47:48]
	s_or_b32 s2, s2, exec_lo
.LBB48_170:                             ;   in Loop: Header=BB48_148 Depth=1
	v_mov_b32_e32 v51, 0
	v_mov_b32_e32 v53, 0
	;; [unrolled: 1-line block ×4, first 2 shown]
	s_and_saveexec_b32 s15, s2
	s_cbranch_execz .LBB48_172
; %bb.171:                              ;   in Loop: Header=BB48_148 Depth=1
	v_add_co_u32 v51, vcc_lo, v223, v169
	v_add_co_ci_u32_e64 v52, null, 0, v224, vcc_lo
	flat_load_dwordx4 v[51:54], v[51:52]
.LBB48_172:                             ;   in Loop: Header=BB48_148 Depth=1
	s_or_b32 exec_lo, exec_lo, s15
	ds_read_b128 v[55:58], v175
	v_cmp_ne_u32_e32 vcc_lo, 1, v119
	s_and_b32 vcc_lo, exec_lo, vcc_lo
	s_waitcnt vmcnt(0) lgkmcnt(0)
	v_mul_f64 v[59:60], v[45:46], v[57:58]
	v_mul_f64 v[61:62], v[45:46], v[55:56]
	;; [unrolled: 1-line block ×8, first 2 shown]
	v_fma_f64 v[71:72], v[43:44], v[55:56], v[59:60]
	v_fma_f64 v[73:74], v[43:44], v[57:58], -v[61:62]
	v_fma_f64 v[75:76], v[39:40], v[55:56], v[63:64]
	v_fma_f64 v[77:78], v[39:40], v[57:58], -v[65:66]
	;; [unrolled: 2-line block ×4, first 2 shown]
	ds_read_b128 v[67:70], v174 offset:256
	ds_read_b128 v[63:66], v174 offset:272
	;; [unrolled: 1-line block ×4, first 2 shown]
	ds_write_b128 v176, v[71:74]
	ds_write_b128 v176, v[75:78] offset:1072
	ds_write_b128 v176, v[79:82] offset:2144
	;; [unrolled: 1-line block ×3, first 2 shown]
	s_waitcnt lgkmcnt(0)
	s_barrier
	buffer_gl0_inv
	ds_read_b128 v[147:150], v177
	ds_read_b128 v[143:146], v177 offset:16
	ds_read_b128 v[139:142], v177 offset:32
	;; [unrolled: 1-line block ×3, first 2 shown]
	v_add_co_u32 v87, s2, v217, v169
	v_add_co_ci_u32_e64 v88, null, 0, v218, s2
	s_waitcnt lgkmcnt(0)
	s_barrier
	buffer_gl0_inv
	s_cbranch_vccnz .LBB48_180
; %bb.173:                              ;   in Loop: Header=BB48_148 Depth=1
	v_mov_b32_e32 v71, 0
	v_mov_b32_e32 v75, 0
	;; [unrolled: 1-line block ×6, first 2 shown]
	s_mov_b32 s2, exec_lo
	v_cmpx_gt_i32_e64 s13, v187
	s_cbranch_execz .LBB48_175
; %bb.174:                              ;   in Loop: Header=BB48_148 Depth=1
	flat_load_dwordx4 v[75:78], v[87:88]
.LBB48_175:                             ;   in Loop: Header=BB48_148 Depth=1
	s_or_b32 exec_lo, exec_lo, s2
	v_mov_b32_e32 v73, 0
	v_mov_b32_e32 v74, 0
	s_mov_b32 s2, exec_lo
	v_cmpx_gt_i32_e64 s13, v188
	s_cbranch_execz .LBB48_177
; %bb.176:                              ;   in Loop: Header=BB48_148 Depth=1
	v_add_co_u32 v71, vcc_lo, v221, v169
	v_add_co_ci_u32_e64 v72, null, 0, v222, vcc_lo
	flat_load_dwordx4 v[71:74], v[71:72]
.LBB48_177:                             ;   in Loop: Header=BB48_148 Depth=1
	s_or_b32 exec_lo, exec_lo, s2
	v_mov_b32_e32 v79, 0
	v_mov_b32_e32 v81, 0
	;; [unrolled: 1-line block ×4, first 2 shown]
	s_mov_b32 s2, exec_lo
	v_cmpx_gt_i32_e64 s13, v189
	s_cbranch_execz .LBB48_179
; %bb.178:                              ;   in Loop: Header=BB48_148 Depth=1
	v_add_co_u32 v79, vcc_lo, v225, v169
	v_add_co_ci_u32_e64 v80, null, 0, v226, vcc_lo
	flat_load_dwordx4 v[79:82], v[79:80]
.LBB48_179:                             ;   in Loop: Header=BB48_148 Depth=1
	s_or_b32 exec_lo, exec_lo, s2
	v_cmp_gt_i32_e64 s2, s13, v190
	s_branch .LBB48_182
.LBB48_180:                             ;   in Loop: Header=BB48_148 Depth=1
	s_mov_b32 s2, 0
                                        ; implicit-def: $vgpr81_vgpr82
                                        ; implicit-def: $vgpr73_vgpr74
                                        ; implicit-def: $vgpr77_vgpr78
	s_cbranch_execz .LBB48_182
; %bb.181:                              ;   in Loop: Header=BB48_148 Depth=1
	s_waitcnt vmcnt(0) lgkmcnt(0)
	v_add_co_u32 v71, vcc_lo, v221, v169
	v_add_co_ci_u32_e64 v72, null, 0, v222, vcc_lo
	v_add_co_u32 v79, vcc_lo, v225, v169
	v_add_co_ci_u32_e64 v80, null, 0, v226, vcc_lo
	flat_load_dwordx4 v[75:78], v[87:88]
	flat_load_dwordx4 v[71:74], v[71:72]
	;; [unrolled: 1-line block ×3, first 2 shown]
	s_or_b32 s2, s2, exec_lo
.LBB48_182:                             ;   in Loop: Header=BB48_148 Depth=1
	v_mov_b32_e32 v87, 0
	v_mov_b32_e32 v89, 0
	;; [unrolled: 1-line block ×4, first 2 shown]
	s_and_saveexec_b32 s15, s2
	s_cbranch_execz .LBB48_184
; %bb.183:                              ;   in Loop: Header=BB48_148 Depth=1
	v_add_co_u32 v87, vcc_lo, v213, v169
	v_add_co_ci_u32_e64 v88, null, 0, v214, vcc_lo
	flat_load_dwordx4 v[87:90], v[87:88]
.LBB48_184:                             ;   in Loop: Header=BB48_148 Depth=1
	s_or_b32 exec_lo, exec_lo, s15
	ds_read_b128 v[103:106], v175
	v_cmp_ne_u32_e32 vcc_lo, 1, v119
	s_and_b32 vcc_lo, exec_lo, vcc_lo
	s_waitcnt vmcnt(0) lgkmcnt(0)
	v_mul_f64 v[107:108], v[77:78], v[105:106]
	v_mul_f64 v[109:110], v[77:78], v[103:104]
	;; [unrolled: 1-line block ×8, first 2 shown]
	v_fma_f64 v[120:121], v[75:76], v[103:104], v[107:108]
	v_fma_f64 v[122:123], v[75:76], v[105:106], -v[109:110]
	v_fma_f64 v[124:125], v[71:72], v[103:104], v[111:112]
	v_fma_f64 v[126:127], v[71:72], v[105:106], -v[113:114]
	;; [unrolled: 2-line block ×4, first 2 shown]
	ds_read_b128 v[115:118], v174 offset:512
	ds_read_b128 v[111:114], v174 offset:528
	;; [unrolled: 1-line block ×4, first 2 shown]
	ds_write_b128 v176, v[120:123]
	ds_write_b128 v176, v[124:127] offset:1072
	ds_write_b128 v176, v[128:131] offset:2144
	;; [unrolled: 1-line block ×3, first 2 shown]
	s_waitcnt lgkmcnt(0)
	s_barrier
	buffer_gl0_inv
	ds_read_b128 v[163:166], v177
	ds_read_b128 v[159:162], v177 offset:16
	ds_read_b128 v[155:158], v177 offset:32
	;; [unrolled: 1-line block ×3, first 2 shown]
	v_add_co_u32 v131, s2, v201, v169
	v_add_co_ci_u32_e64 v132, null, 0, v202, s2
	s_waitcnt lgkmcnt(0)
	s_barrier
	buffer_gl0_inv
	s_cbranch_vccnz .LBB48_192
; %bb.185:                              ;   in Loop: Header=BB48_148 Depth=1
	v_mov_b32_e32 v119, 0
	v_mov_b32_e32 v123, 0
	;; [unrolled: 1-line block ×6, first 2 shown]
	s_mov_b32 s2, exec_lo
	v_cmpx_gt_i32_e64 s13, v191
	s_cbranch_execz .LBB48_187
; %bb.186:                              ;   in Loop: Header=BB48_148 Depth=1
	flat_load_dwordx4 v[123:126], v[131:132]
.LBB48_187:                             ;   in Loop: Header=BB48_148 Depth=1
	s_or_b32 exec_lo, exec_lo, s2
	v_mov_b32_e32 v121, 0
	v_mov_b32_e32 v122, 0
	s_mov_b32 s2, exec_lo
	v_cmpx_gt_i32_e64 s13, v192
	s_cbranch_execz .LBB48_189
; %bb.188:                              ;   in Loop: Header=BB48_148 Depth=1
	v_add_co_u32 v119, vcc_lo, v205, v169
	v_add_co_ci_u32_e64 v120, null, 0, v206, vcc_lo
	flat_load_dwordx4 v[119:122], v[119:120]
.LBB48_189:                             ;   in Loop: Header=BB48_148 Depth=1
	s_or_b32 exec_lo, exec_lo, s2
	v_mov_b32_e32 v127, 0
	v_mov_b32_e32 v129, 0
	;; [unrolled: 1-line block ×4, first 2 shown]
	s_mov_b32 s2, exec_lo
	v_cmpx_gt_i32_e64 s13, v193
	s_cbranch_execz .LBB48_191
; %bb.190:                              ;   in Loop: Header=BB48_148 Depth=1
	v_add_co_u32 v127, vcc_lo, v211, v169
	v_add_co_ci_u32_e64 v128, null, 0, v212, vcc_lo
	flat_load_dwordx4 v[127:130], v[127:128]
.LBB48_191:                             ;   in Loop: Header=BB48_148 Depth=1
	s_or_b32 exec_lo, exec_lo, s2
	v_cmp_gt_i32_e64 s2, s13, v194
	s_branch .LBB48_194
.LBB48_192:                             ;   in Loop: Header=BB48_148 Depth=1
	s_mov_b32 s2, 0
                                        ; implicit-def: $vgpr129_vgpr130
                                        ; implicit-def: $vgpr121_vgpr122
                                        ; implicit-def: $vgpr125_vgpr126
	s_cbranch_execz .LBB48_194
; %bb.193:                              ;   in Loop: Header=BB48_148 Depth=1
	s_waitcnt vmcnt(0) lgkmcnt(0)
	v_add_co_u32 v119, vcc_lo, v205, v169
	v_add_co_ci_u32_e64 v120, null, 0, v206, vcc_lo
	v_add_co_u32 v127, vcc_lo, v211, v169
	v_add_co_ci_u32_e64 v128, null, 0, v212, vcc_lo
	flat_load_dwordx4 v[123:126], v[131:132]
	flat_load_dwordx4 v[119:122], v[119:120]
	;; [unrolled: 1-line block ×3, first 2 shown]
	s_or_b32 s2, s2, exec_lo
.LBB48_194:                             ;   in Loop: Header=BB48_148 Depth=1
	v_mov_b32_e32 v131, 0
	v_mov_b32_e32 v133, 0
	;; [unrolled: 1-line block ×4, first 2 shown]
	s_and_saveexec_b32 s15, s2
	s_cbranch_execz .LBB48_196
; %bb.195:                              ;   in Loop: Header=BB48_148 Depth=1
	v_add_co_u32 v131, vcc_lo, v197, v169
	v_add_co_ci_u32_e64 v132, null, 0, v198, vcc_lo
	flat_load_dwordx4 v[131:134], v[131:132]
.LBB48_196:                             ;   in Loop: Header=BB48_148 Depth=1
	s_or_b32 exec_lo, exec_lo, s15
	ds_read_b128 v[228:231], v175
	v_add_f64 v[163:164], v[163:164], 0
	v_add_f64 v[165:166], v[165:166], 0
	;; [unrolled: 1-line block ×6, first 2 shown]
	v_cmp_gt_i32_e32 vcc_lo, s13, v0
	s_or_b32 s2, s14, vcc_lo
	s_and_b32 s13, s1, s2
	s_waitcnt vmcnt(0) lgkmcnt(0)
	v_mul_f64 v[232:233], v[125:126], v[230:231]
	v_mul_f64 v[234:235], v[125:126], v[228:229]
	v_mul_f64 v[236:237], v[121:122], v[230:231]
	v_mul_f64 v[238:239], v[121:122], v[228:229]
	v_mul_f64 v[240:241], v[129:130], v[230:231]
	v_mul_f64 v[242:243], v[129:130], v[228:229]
	v_mul_f64 v[244:245], v[133:134], v[230:231]
	v_mul_f64 v[246:247], v[133:134], v[228:229]
	v_add_f64 v[159:160], v[163:164], v[159:160]
	v_add_f64 v[161:162], v[165:166], v[161:162]
	;; [unrolled: 1-line block ×6, first 2 shown]
	v_fma_f64 v[232:233], v[123:124], v[228:229], v[232:233]
	v_fma_f64 v[234:235], v[123:124], v[230:231], -v[234:235]
	v_fma_f64 v[236:237], v[119:120], v[228:229], v[236:237]
	v_fma_f64 v[238:239], v[119:120], v[230:231], -v[238:239]
	;; [unrolled: 2-line block ×4, first 2 shown]
	v_add_f64 v[147:148], v[159:160], v[155:156]
	v_add_f64 v[149:150], v[161:162], v[157:158]
	v_add_f64 v[155:156], v[143:144], v[139:140]
	v_add_f64 v[157:158], v[145:146], v[141:142]
	v_add_f64 v[159:160], v[95:96], v[91:92]
	v_add_f64 v[161:162], v[97:98], v[93:94]
	ds_write_b128 v176, v[232:235]
	ds_write_b128 v176, v[236:239] offset:1072
	ds_write_b128 v176, v[240:243] offset:2144
	ds_read_b128 v[139:142], v174 offset:768
	ds_read_b128 v[99:102], v174 offset:784
	ds_write_b128 v176, v[228:231] offset:3216
	v_add_f64 v[143:144], v[147:148], v[151:152]
	v_add_f64 v[145:146], v[149:150], v[153:154]
	ds_read_b128 v[95:98], v174 offset:800
	ds_read_b128 v[91:94], v174 offset:816
	s_waitcnt lgkmcnt(0)
	s_barrier
	buffer_gl0_inv
	ds_read_b128 v[147:150], v177
	ds_read_b128 v[151:154], v177 offset:16
	v_add_f64 v[135:136], v[155:156], v[135:136]
	v_add_f64 v[137:138], v[157:158], v[137:138]
	;; [unrolled: 1-line block ×4, first 2 shown]
	s_waitcnt lgkmcnt(1)
	v_add_f64 v[147:148], v[147:148], 0
	v_add_f64 v[149:150], v[149:150], 0
	s_waitcnt lgkmcnt(0)
	v_add_f64 v[155:156], v[147:148], v[151:152]
	v_add_f64 v[157:158], v[149:150], v[153:154]
	ds_read_b128 v[147:150], v177 offset:32
	ds_read_b128 v[151:154], v177 offset:48
	s_waitcnt lgkmcnt(0)
	s_barrier
	buffer_gl0_inv
	v_add_f64 v[147:148], v[155:156], v[147:148]
	v_add_f64 v[149:150], v[157:158], v[149:150]
	;; [unrolled: 1-line block ×4, first 2 shown]
	ds_write_b128 v227, v[83:86]
	ds_write_b128 v227, v[135:138] offset:256
	ds_write_b128 v227, v[143:146] offset:512
	;; [unrolled: 1-line block ×3, first 2 shown]
	s_waitcnt lgkmcnt(0)
	s_barrier
	buffer_gl0_inv
	s_and_saveexec_b32 s2, s13
	s_cbranch_execz .LBB48_198
; %bb.197:                              ;   in Loop: Header=BB48_148 Depth=1
	ds_read_b128 v[83:86], v178
	ds_read_b128 v[135:138], v178 offset:16
	s_waitcnt lgkmcnt(0)
	v_add_f64 v[143:144], v[135:136], v[83:84]
	v_add_f64 v[145:146], v[137:138], v[85:86]
	ds_read_b128 v[83:86], v178 offset:32
	ds_read_b128 v[135:138], v178 offset:48
	s_waitcnt lgkmcnt(1)
	v_add_f64 v[83:84], v[143:144], v[83:84]
	v_add_f64 v[85:86], v[145:146], v[85:86]
	s_waitcnt lgkmcnt(0)
	v_add_f64 v[143:144], v[83:84], v[135:136]
	v_add_f64 v[145:146], v[85:86], v[137:138]
	ds_read_b128 v[83:86], v178 offset:64
	ds_read_b128 v[135:138], v178 offset:80
	s_waitcnt lgkmcnt(1)
	v_add_f64 v[83:84], v[143:144], v[83:84]
	v_add_f64 v[85:86], v[145:146], v[85:86]
	;; [unrolled: 8-line block ×6, first 2 shown]
	s_waitcnt lgkmcnt(0)
	v_add_f64 v[143:144], v[83:84], v[135:136]
	v_add_f64 v[145:146], v[85:86], v[137:138]
	ds_read_b128 v[83:86], v178 offset:224
	ds_read_b128 v[135:138], v179
	s_waitcnt lgkmcnt(1)
	v_add_f64 v[83:84], v[143:144], v[83:84]
	v_add_f64 v[85:86], v[145:146], v[85:86]
	v_add_nc_u32_e32 v143, s12, v0
	v_ashrrev_i32_e32 v144, 31, v143
	s_waitcnt lgkmcnt(0)
	v_add_f64 v[83:84], v[83:84], v[135:136]
	v_add_f64 v[85:86], v[85:86], v[137:138]
	v_lshlrev_b64 v[135:136], 4, v[143:144]
	v_add_co_u32 v135, vcc_lo, s3, v135
	v_add_co_ci_u32_e64 v136, null, s7, v136, vcc_lo
	global_store_dwordx4 v[135:136], v[83:86], off
.LBB48_198:                             ;   in Loop: Header=BB48_148 Depth=1
	s_or_b32 exec_lo, exec_lo, s2
	v_mul_f64 v[83:84], v[13:14], v[37:38]
	v_mul_f64 v[37:38], v[11:12], v[37:38]
	;; [unrolled: 1-line block ×4, first 2 shown]
	v_add_co_u32 v195, vcc_lo, v195, s4
	v_add_co_ci_u32_e64 v196, null, s5, v196, vcc_lo
	v_add_co_u32 v197, vcc_lo, v197, s4
	v_add_co_ci_u32_e64 v198, null, s5, v198, vcc_lo
	;; [unrolled: 2-line block ×4, first 2 shown]
	v_add_co_u32 v203, vcc_lo, v203, s4
	v_fma_f64 v[11:12], v[11:12], v[35:36], -v[83:84]
	v_fma_f64 v[13:14], v[13:14], v[35:36], v[37:38]
	v_mul_f64 v[35:36], v[17:18], v[29:30]
	v_mul_f64 v[29:30], v[15:16], v[29:30]
	v_fma_f64 v[7:8], v[7:8], v[31:32], -v[85:86]
	v_fma_f64 v[9:10], v[9:10], v[31:32], v[33:34]
	v_add_co_ci_u32_e64 v204, null, s5, v204, vcc_lo
	v_add_co_u32 v205, vcc_lo, v205, s4
	v_add_co_ci_u32_e64 v206, null, s5, v206, vcc_lo
	v_add_co_u32 v207, vcc_lo, v207, s4
	v_add_co_ci_u32_e64 v208, null, s5, v208, vcc_lo
	v_add_co_u32 v209, vcc_lo, v209, s4
	v_add_co_ci_u32_e64 v210, null, s5, v210, vcc_lo
	v_add_co_u32 v211, vcc_lo, v211, s4
	v_add_f64 v[2:3], v[2:3], v[11:12]
	v_add_f64 v[4:5], v[4:5], v[13:14]
	v_mul_f64 v[11:12], v[21:22], v[25:26]
	v_mul_f64 v[13:14], v[19:20], v[25:26]
	v_fma_f64 v[15:16], v[15:16], v[27:28], -v[35:36]
	v_fma_f64 v[17:18], v[17:18], v[27:28], v[29:30]
	v_add_co_ci_u32_e64 v212, null, s5, v212, vcc_lo
	v_add_co_u32 v213, vcc_lo, v213, s4
	v_add_co_ci_u32_e64 v214, null, s5, v214, vcc_lo
	v_add_co_u32 v215, vcc_lo, v215, s4
	;; [unrolled: 2-line block ×4, first 2 shown]
	v_add_f64 v[2:3], v[2:3], v[7:8]
	v_add_f64 v[4:5], v[4:5], v[9:10]
	v_mul_f64 v[7:8], v[45:46], v[69:70]
	v_mul_f64 v[9:10], v[43:44], v[69:70]
	v_fma_f64 v[11:12], v[19:20], v[23:24], -v[11:12]
	v_fma_f64 v[13:14], v[21:22], v[23:24], v[13:14]
	v_add_co_ci_u32_e64 v220, null, s5, v220, vcc_lo
	v_add_co_u32 v221, vcc_lo, v221, s4
	v_add_co_ci_u32_e64 v222, null, s5, v222, vcc_lo
	v_add_co_u32 v223, vcc_lo, v223, s4
	;; [unrolled: 2-line block ×3, first 2 shown]
	v_add_co_ci_u32_e64 v226, null, s5, v226, vcc_lo
	s_add_i32 s2, s6, 1
	s_add_i32 s6, s6, 2
	v_add_f64 v[2:3], v[2:3], v[15:16]
	v_add_f64 v[4:5], v[4:5], v[17:18]
	v_mul_f64 v[15:16], v[41:42], v[65:66]
	v_mul_f64 v[17:18], v[39:40], v[65:66]
	v_fma_f64 v[7:8], v[43:44], v[67:68], -v[7:8]
	v_fma_f64 v[9:10], v[45:46], v[67:68], v[9:10]
	s_add_i32 s12, s12, 64
	s_cmp_ge_u32 s6, s19
	s_waitcnt_vscnt null, 0x0
	s_barrier
	buffer_gl0_inv
	v_add_f64 v[2:3], v[2:3], v[11:12]
	v_add_f64 v[4:5], v[4:5], v[13:14]
	v_mul_f64 v[11:12], v[49:50], v[61:62]
	v_mul_f64 v[13:14], v[47:48], v[61:62]
	v_fma_f64 v[15:16], v[39:40], v[63:64], -v[15:16]
	v_fma_f64 v[17:18], v[41:42], v[63:64], v[17:18]
	v_add_f64 v[2:3], v[2:3], v[7:8]
	v_add_f64 v[4:5], v[4:5], v[9:10]
	v_mul_f64 v[7:8], v[53:54], v[57:58]
	v_mul_f64 v[9:10], v[51:52], v[57:58]
	v_fma_f64 v[11:12], v[47:48], v[59:60], -v[11:12]
	v_fma_f64 v[13:14], v[49:50], v[59:60], v[13:14]
	;; [unrolled: 6-line block ×10, first 2 shown]
	v_add_f64 v[2:3], v[2:3], v[7:8]
	v_add_f64 v[4:5], v[4:5], v[9:10]
	v_fma_f64 v[7:8], v[131:132], v[91:92], -v[11:12]
	v_fma_f64 v[9:10], v[133:134], v[91:92], v[13:14]
	v_add_f64 v[2:3], v[2:3], v[15:16]
	v_add_f64 v[4:5], v[4:5], v[17:18]
	;; [unrolled: 1-line block ×4, first 2 shown]
	s_cbranch_scc0 .LBB48_143
.LBB48_199:
	v_cmp_gt_i32_e32 vcc_lo, s10, v0
	v_mad_u32_u24 v1, 0x430, v1, v169
	s_or_b32 s1, s23, vcc_lo
	ds_write_b128 v1, v[2:5]
	s_and_b32 s0, s0, s1
	s_waitcnt lgkmcnt(0)
	s_barrier
	buffer_gl0_inv
	s_and_saveexec_b32 s1, s0
	s_cbranch_execz .LBB48_201
; %bb.200:
	ds_read_b128 v[0:3], v169 offset:1072
	ds_read_b128 v[4:7], v169
	s_waitcnt lgkmcnt(0)
	v_add_f64 v[8:9], v[0:1], v[4:5]
	v_add_f64 v[10:11], v[2:3], v[6:7]
	ds_read_b128 v[0:3], v169 offset:2144
	ds_read_b128 v[4:7], v169 offset:3216
	s_waitcnt lgkmcnt(1)
	v_add_f64 v[0:1], v[8:9], v[0:1]
	v_add_f64 v[2:3], v[10:11], v[2:3]
	s_waitcnt lgkmcnt(0)
	v_add_f64 v[0:1], v[0:1], v[4:5]
	v_add_f64 v[2:3], v[2:3], v[6:7]
	v_lshlrev_b64 v[4:5], 4, v[167:168]
	v_add_co_u32 v4, vcc_lo, s3, v4
	v_add_co_ci_u32_e64 v5, null, s7, v5, vcc_lo
	global_store_dwordx4 v[4:5], v[0:3], off
.LBB48_201:
	s_endpgm
	.section	.rodata,"a",@progbits
	.p2align	6, 0x0
	.amdhsa_kernel _ZL26rocblas_hemvn_kernel_upperILb1ELi64ELi4ELi33ELi32ELi16ElPK19rocblas_complex_numIdEPKS3_PS1_EviT6_lT7_lT5_lS8_lS9_lS7_lT8_i
		.amdhsa_group_segment_fixed_size 19200
		.amdhsa_private_segment_fixed_size 0
		.amdhsa_kernarg_size 376
		.amdhsa_user_sgpr_count 6
		.amdhsa_user_sgpr_private_segment_buffer 1
		.amdhsa_user_sgpr_dispatch_ptr 0
		.amdhsa_user_sgpr_queue_ptr 0
		.amdhsa_user_sgpr_kernarg_segment_ptr 1
		.amdhsa_user_sgpr_dispatch_id 0
		.amdhsa_user_sgpr_flat_scratch_init 0
		.amdhsa_user_sgpr_private_segment_size 0
		.amdhsa_wavefront_size32 1
		.amdhsa_uses_dynamic_stack 0
		.amdhsa_system_sgpr_private_segment_wavefront_offset 0
		.amdhsa_system_sgpr_workgroup_id_x 1
		.amdhsa_system_sgpr_workgroup_id_y 0
		.amdhsa_system_sgpr_workgroup_id_z 1
		.amdhsa_system_sgpr_workgroup_info 0
		.amdhsa_system_vgpr_workitem_id 1
		.amdhsa_next_free_vgpr 248
		.amdhsa_next_free_sgpr 30
		.amdhsa_reserve_vcc 1
		.amdhsa_reserve_flat_scratch 0
		.amdhsa_float_round_mode_32 0
		.amdhsa_float_round_mode_16_64 0
		.amdhsa_float_denorm_mode_32 3
		.amdhsa_float_denorm_mode_16_64 3
		.amdhsa_dx10_clamp 1
		.amdhsa_ieee_mode 1
		.amdhsa_fp16_overflow 0
		.amdhsa_workgroup_processor_mode 1
		.amdhsa_memory_ordered 1
		.amdhsa_forward_progress 1
		.amdhsa_shared_vgpr_count 0
		.amdhsa_exception_fp_ieee_invalid_op 0
		.amdhsa_exception_fp_denorm_src 0
		.amdhsa_exception_fp_ieee_div_zero 0
		.amdhsa_exception_fp_ieee_overflow 0
		.amdhsa_exception_fp_ieee_underflow 0
		.amdhsa_exception_fp_ieee_inexact 0
		.amdhsa_exception_int_div_zero 0
	.end_amdhsa_kernel
	.section	.text._ZL26rocblas_hemvn_kernel_upperILb1ELi64ELi4ELi33ELi32ELi16ElPK19rocblas_complex_numIdEPKS3_PS1_EviT6_lT7_lT5_lS8_lS9_lS7_lT8_i,"axG",@progbits,_ZL26rocblas_hemvn_kernel_upperILb1ELi64ELi4ELi33ELi32ELi16ElPK19rocblas_complex_numIdEPKS3_PS1_EviT6_lT7_lT5_lS8_lS9_lS7_lT8_i,comdat
.Lfunc_end48:
	.size	_ZL26rocblas_hemvn_kernel_upperILb1ELi64ELi4ELi33ELi32ELi16ElPK19rocblas_complex_numIdEPKS3_PS1_EviT6_lT7_lT5_lS8_lS9_lS7_lT8_i, .Lfunc_end48-_ZL26rocblas_hemvn_kernel_upperILb1ELi64ELi4ELi33ELi32ELi16ElPK19rocblas_complex_numIdEPKS3_PS1_EviT6_lT7_lT5_lS8_lS9_lS7_lT8_i
                                        ; -- End function
	.set _ZL26rocblas_hemvn_kernel_upperILb1ELi64ELi4ELi33ELi32ELi16ElPK19rocblas_complex_numIdEPKS3_PS1_EviT6_lT7_lT5_lS8_lS9_lS7_lT8_i.num_vgpr, 248
	.set _ZL26rocblas_hemvn_kernel_upperILb1ELi64ELi4ELi33ELi32ELi16ElPK19rocblas_complex_numIdEPKS3_PS1_EviT6_lT7_lT5_lS8_lS9_lS7_lT8_i.num_agpr, 0
	.set _ZL26rocblas_hemvn_kernel_upperILb1ELi64ELi4ELi33ELi32ELi16ElPK19rocblas_complex_numIdEPKS3_PS1_EviT6_lT7_lT5_lS8_lS9_lS7_lT8_i.numbered_sgpr, 30
	.set _ZL26rocblas_hemvn_kernel_upperILb1ELi64ELi4ELi33ELi32ELi16ElPK19rocblas_complex_numIdEPKS3_PS1_EviT6_lT7_lT5_lS8_lS9_lS7_lT8_i.num_named_barrier, 0
	.set _ZL26rocblas_hemvn_kernel_upperILb1ELi64ELi4ELi33ELi32ELi16ElPK19rocblas_complex_numIdEPKS3_PS1_EviT6_lT7_lT5_lS8_lS9_lS7_lT8_i.private_seg_size, 0
	.set _ZL26rocblas_hemvn_kernel_upperILb1ELi64ELi4ELi33ELi32ELi16ElPK19rocblas_complex_numIdEPKS3_PS1_EviT6_lT7_lT5_lS8_lS9_lS7_lT8_i.uses_vcc, 1
	.set _ZL26rocblas_hemvn_kernel_upperILb1ELi64ELi4ELi33ELi32ELi16ElPK19rocblas_complex_numIdEPKS3_PS1_EviT6_lT7_lT5_lS8_lS9_lS7_lT8_i.uses_flat_scratch, 0
	.set _ZL26rocblas_hemvn_kernel_upperILb1ELi64ELi4ELi33ELi32ELi16ElPK19rocblas_complex_numIdEPKS3_PS1_EviT6_lT7_lT5_lS8_lS9_lS7_lT8_i.has_dyn_sized_stack, 0
	.set _ZL26rocblas_hemvn_kernel_upperILb1ELi64ELi4ELi33ELi32ELi16ElPK19rocblas_complex_numIdEPKS3_PS1_EviT6_lT7_lT5_lS8_lS9_lS7_lT8_i.has_recursion, 0
	.set _ZL26rocblas_hemvn_kernel_upperILb1ELi64ELi4ELi33ELi32ELi16ElPK19rocblas_complex_numIdEPKS3_PS1_EviT6_lT7_lT5_lS8_lS9_lS7_lT8_i.has_indirect_call, 0
	.section	.AMDGPU.csdata,"",@progbits
; Kernel info:
; codeLenInByte = 12492
; TotalNumSgprs: 32
; NumVgprs: 248
; ScratchSize: 0
; MemoryBound: 1
; FloatMode: 240
; IeeeMode: 1
; LDSByteSize: 19200 bytes/workgroup (compile time only)
; SGPRBlocks: 0
; VGPRBlocks: 30
; NumSGPRsForWavesPerEU: 32
; NumVGPRsForWavesPerEU: 248
; Occupancy: 4
; WaveLimiterHint : 1
; COMPUTE_PGM_RSRC2:SCRATCH_EN: 0
; COMPUTE_PGM_RSRC2:USER_SGPR: 6
; COMPUTE_PGM_RSRC2:TRAP_HANDLER: 0
; COMPUTE_PGM_RSRC2:TGID_X_EN: 1
; COMPUTE_PGM_RSRC2:TGID_Y_EN: 0
; COMPUTE_PGM_RSRC2:TGID_Z_EN: 1
; COMPUTE_PGM_RSRC2:TIDIG_COMP_CNT: 1
	.section	.text._ZL36rocblas_hemvn_kernel_upper_block_sumILi64ElPK19rocblas_complex_numIdEPKPS1_S1_EviT1_lS7_lT2_lT0_lPT3_i,"axG",@progbits,_ZL36rocblas_hemvn_kernel_upper_block_sumILi64ElPK19rocblas_complex_numIdEPKPS1_S1_EviT1_lS7_lT2_lT0_lPT3_i,comdat
	.globl	_ZL36rocblas_hemvn_kernel_upper_block_sumILi64ElPK19rocblas_complex_numIdEPKPS1_S1_EviT1_lS7_lT2_lT0_lPT3_i ; -- Begin function _ZL36rocblas_hemvn_kernel_upper_block_sumILi64ElPK19rocblas_complex_numIdEPKPS1_S1_EviT1_lS7_lT2_lT0_lPT3_i
	.p2align	8
	.type	_ZL36rocblas_hemvn_kernel_upper_block_sumILi64ElPK19rocblas_complex_numIdEPKPS1_S1_EviT1_lS7_lT2_lT0_lPT3_i,@function
_ZL36rocblas_hemvn_kernel_upper_block_sumILi64ElPK19rocblas_complex_numIdEPKPS1_S1_EviT1_lS7_lT2_lT0_lPT3_i: ; @_ZL36rocblas_hemvn_kernel_upper_block_sumILi64ElPK19rocblas_complex_numIdEPKPS1_S1_EviT1_lS7_lT2_lT0_lPT3_i
; %bb.0:
	s_load_dwordx8 s[20:27], s[4:5], 0x8
	s_mov_b32 s16, s7
	s_waitcnt lgkmcnt(0)
	s_mul_i32 s1, s23, s7
	s_mul_hi_u32 s2, s22, s7
	s_mul_i32 s0, s22, s7
	s_add_i32 s1, s2, s1
	s_lshl_b64 s[0:1], s[0:1], 4
	s_add_u32 s0, s20, s0
	s_addc_u32 s1, s21, s1
	s_load_dwordx4 s[12:15], s[0:1], 0x0
	s_mul_i32 s0, s27, s7
	s_mul_hi_u32 s1, s26, s7
	s_add_i32 s1, s1, s0
	s_mul_i32 s0, s26, s7
	s_lshl_b64 s[0:1], s[0:1], 4
	s_add_u32 s0, s24, s0
	s_addc_u32 s1, s25, s1
	s_load_dwordx4 s[8:11], s[0:1], 0x0
	s_mov_b32 s1, -1
	s_waitcnt lgkmcnt(0)
	v_cmp_neq_f64_e64 s2, s[12:13], 0
	v_cmp_neq_f64_e64 s3, s[14:15], 0
	s_or_b32 s0, s2, s3
	s_and_b32 vcc_lo, exec_lo, s0
	s_cbranch_vccnz .LBB49_2
; %bb.1:
	v_cmp_neq_f64_e64 s1, s[8:9], 1.0
	v_cmp_neq_f64_e64 s2, s[10:11], 0
	s_or_b32 s1, s1, s2
.LBB49_2:
	s_andn2_b32 vcc_lo, exec_lo, s1
	s_cbranch_vccnz .LBB49_22
; %bb.3:
	s_clause 0x1
	s_load_dwordx2 s[20:21], s[4:5], 0x28
	s_load_dword s18, s[4:5], 0x0
	s_mov_b32 s17, 0
	s_xor_b32 s19, s0, -1
	s_lshl_b64 s[22:23], s[16:17], 3
	s_load_dwordx4 s[0:3], s[4:5], 0x30
	v_lshl_or_b32 v4, s6, 6, v0
	s_waitcnt lgkmcnt(0)
	s_add_u32 s20, s20, s22
	s_addc_u32 s21, s21, s23
	s_load_dwordx2 s[20:21], s[20:21], 0x0
	s_lshl_b64 s[22:23], s[0:1], 4
	v_cmp_gt_i32_e64 s0, s18, v4
	s_waitcnt lgkmcnt(0)
	s_add_u32 s7, s20, s22
	s_addc_u32 s20, s21, s23
	s_andn2_b32 vcc_lo, exec_lo, s19
	s_cbranch_vccnz .LBB49_8
; %bb.4:
	s_mov_b32 s1, 0
                                        ; implicit-def: $vgpr2_vgpr3
                                        ; implicit-def: $vgpr5_vgpr6
	s_and_saveexec_b32 s19, s0
	s_cbranch_execz .LBB49_9
; %bb.5:
	v_cmp_neq_f64_e64 s0, s[8:9], 0
	v_cmp_neq_f64_e64 s17, s[10:11], 0
	v_ashrrev_i32_e32 v0, 31, v4
	v_mul_lo_u32 v7, s3, v4
	v_mad_u64_u32 v[5:6], null, s2, v4, 0
	v_mov_b32_e32 v2, 0
	v_mul_lo_u32 v8, s2, v0
	v_mov_b32_e32 v0, 0
	v_mov_b32_e32 v3, 0
	;; [unrolled: 1-line block ×3, first 2 shown]
	v_add3_u32 v6, v6, v8, v7
	s_or_b32 s0, s0, s17
	s_andn2_b32 vcc_lo, exec_lo, s0
	s_cbranch_vccnz .LBB49_7
; %bb.6:
	v_lshlrev_b64 v[0:1], 4, v[5:6]
	v_add_co_u32 v0, vcc_lo, s7, v0
	v_add_co_ci_u32_e64 v1, null, s20, v1, vcc_lo
	flat_load_dwordx4 v[7:10], v[0:1]
	s_waitcnt vmcnt(0) lgkmcnt(0)
	v_mul_f64 v[0:1], s[10:11], v[9:10]
	v_mul_f64 v[2:3], s[8:9], v[9:10]
	v_fma_f64 v[0:1], s[8:9], v[7:8], -v[0:1]
	v_fma_f64 v[2:3], s[10:11], v[7:8], v[2:3]
.LBB49_7:
	s_mov_b32 s17, exec_lo
	s_or_b32 exec_lo, exec_lo, s19
	s_and_b32 vcc_lo, exec_lo, s1
	s_cbranch_vccnz .LBB49_10
	s_branch .LBB49_20
.LBB49_8:
                                        ; implicit-def: $vgpr2_vgpr3
                                        ; implicit-def: $vgpr5_vgpr6
	s_cbranch_execnz .LBB49_10
	s_branch .LBB49_20
.LBB49_9:
	s_or_b32 exec_lo, exec_lo, s19
	s_and_b32 vcc_lo, exec_lo, s1
	s_cbranch_vccz .LBB49_20
.LBB49_10:
	s_mov_b32 s21, exec_lo
                                        ; implicit-def: $vgpr2_vgpr3
                                        ; implicit-def: $vgpr5_vgpr6
	v_cmpx_gt_i32_e64 s18, v4
	s_cbranch_execz .LBB49_19
; %bb.11:
	v_mov_b32_e32 v0, 0
	v_mov_b32_e32 v2, 0
	;; [unrolled: 1-line block ×4, first 2 shown]
	v_ashrrev_i32_e32 v5, 31, v4
	s_cmp_lt_i32 s6, 0
	s_cbranch_scc1 .LBB49_14
; %bb.12:
	s_clause 0x1
	s_load_dword s22, s[4:5], 0x58
	s_load_dwordx2 s[0:1], s[4:5], 0x48
	s_ashr_i32 s19, s18, 31
	s_mul_hi_u32 s5, s18, s16
	s_mul_i32 s23, s19, s16
	s_add_i32 s4, s6, 1
	s_add_i32 s5, s5, s23
	s_mul_i32 s6, s18, s16
	v_lshlrev_b64 v[2:3], 4, v[4:5]
	v_mov_b32_e32 v0, 0
	v_mov_b32_e32 v1, 0
	s_waitcnt lgkmcnt(0)
	s_mul_i32 s5, s5, s22
	s_mul_hi_u32 s16, s6, s22
	s_mul_i32 s22, s6, s22
	s_add_i32 s23, s16, s5
	s_lshl_b64 s[22:23], s[22:23], 4
	s_add_u32 s0, s0, s22
	s_addc_u32 s1, s1, s23
	v_add_co_u32 v6, vcc_lo, s0, v2
	v_add_co_ci_u32_e64 v7, null, s1, v3, vcc_lo
	v_mov_b32_e32 v2, 0
	v_add_co_u32 v6, vcc_lo, v6, 8
	v_mov_b32_e32 v3, 0
	v_add_co_ci_u32_e64 v7, null, 0, v7, vcc_lo
	s_lshl_b64 s[0:1], s[18:19], 4
.LBB49_13:                              ; =>This Inner Loop Header: Depth=1
	global_load_dwordx4 v[8:11], v[6:7], off offset:-8
	v_add_co_u32 v6, vcc_lo, v6, s0
	v_add_co_ci_u32_e64 v7, null, s1, v7, vcc_lo
	s_add_i32 s4, s4, -1
	s_cmp_eq_u32 s4, 0
	s_waitcnt vmcnt(0)
	v_add_f64 v[2:3], v[2:3], v[8:9]
	v_add_f64 v[0:1], v[0:1], v[10:11]
	s_cbranch_scc0 .LBB49_13
.LBB49_14:
	v_mul_f64 v[6:7], s[14:15], v[0:1]
	v_mul_f64 v[8:9], s[12:13], v[0:1]
	v_cmp_neq_f64_e64 s0, s[8:9], 0
	v_cmp_neq_f64_e64 s1, s[10:11], 0
	v_fma_f64 v[0:1], s[12:13], v[2:3], -v[6:7]
	v_fma_f64 v[2:3], s[14:15], v[2:3], v[8:9]
	v_mul_lo_u32 v7, s3, v4
	v_mul_lo_u32 v8, s2, v5
	s_or_b32 s0, s0, s1
	s_andn2_b32 vcc_lo, exec_lo, s0
	s_cbranch_vccz .LBB49_16
; %bb.15:
	v_mad_u64_u32 v[5:6], null, s2, v4, 0
	v_add3_u32 v6, v6, v8, v7
	s_cbranch_execz .LBB49_17
	s_branch .LBB49_18
.LBB49_16:
                                        ; implicit-def: $vgpr5_vgpr6
.LBB49_17:
	v_mad_u64_u32 v[5:6], null, s2, v4, 0
	v_add3_u32 v6, v6, v8, v7
	v_lshlrev_b64 v[7:8], 4, v[5:6]
	v_add_co_u32 v7, vcc_lo, s7, v7
	v_add_co_ci_u32_e64 v8, null, s20, v8, vcc_lo
	flat_load_dwordx4 v[7:10], v[7:8]
	s_waitcnt vmcnt(0) lgkmcnt(0)
	v_mul_f64 v[11:12], s[10:11], v[9:10]
	v_mul_f64 v[9:10], s[8:9], v[9:10]
	v_fma_f64 v[11:12], s[8:9], v[7:8], -v[11:12]
	v_fma_f64 v[7:8], s[10:11], v[7:8], v[9:10]
	v_add_f64 v[0:1], v[0:1], v[11:12]
	v_add_f64 v[2:3], v[2:3], v[7:8]
.LBB49_18:
	s_or_b32 s17, s17, exec_lo
.LBB49_19:
	s_or_b32 exec_lo, exec_lo, s21
.LBB49_20:
	s_and_saveexec_b32 s0, s17
	s_cbranch_execz .LBB49_22
; %bb.21:
	v_lshlrev_b64 v[4:5], 4, v[5:6]
	v_add_co_u32 v4, vcc_lo, s7, v4
	v_add_co_ci_u32_e64 v5, null, s20, v5, vcc_lo
	flat_store_dwordx4 v[4:5], v[0:3]
.LBB49_22:
	s_endpgm
	.section	.rodata,"a",@progbits
	.p2align	6, 0x0
	.amdhsa_kernel _ZL36rocblas_hemvn_kernel_upper_block_sumILi64ElPK19rocblas_complex_numIdEPKPS1_S1_EviT1_lS7_lT2_lT0_lPT3_i
		.amdhsa_group_segment_fixed_size 0
		.amdhsa_private_segment_fixed_size 0
		.amdhsa_kernarg_size 344
		.amdhsa_user_sgpr_count 6
		.amdhsa_user_sgpr_private_segment_buffer 1
		.amdhsa_user_sgpr_dispatch_ptr 0
		.amdhsa_user_sgpr_queue_ptr 0
		.amdhsa_user_sgpr_kernarg_segment_ptr 1
		.amdhsa_user_sgpr_dispatch_id 0
		.amdhsa_user_sgpr_flat_scratch_init 0
		.amdhsa_user_sgpr_private_segment_size 0
		.amdhsa_wavefront_size32 1
		.amdhsa_uses_dynamic_stack 0
		.amdhsa_system_sgpr_private_segment_wavefront_offset 0
		.amdhsa_system_sgpr_workgroup_id_x 1
		.amdhsa_system_sgpr_workgroup_id_y 0
		.amdhsa_system_sgpr_workgroup_id_z 1
		.amdhsa_system_sgpr_workgroup_info 0
		.amdhsa_system_vgpr_workitem_id 0
		.amdhsa_next_free_vgpr 13
		.amdhsa_next_free_sgpr 28
		.amdhsa_reserve_vcc 1
		.amdhsa_reserve_flat_scratch 0
		.amdhsa_float_round_mode_32 0
		.amdhsa_float_round_mode_16_64 0
		.amdhsa_float_denorm_mode_32 3
		.amdhsa_float_denorm_mode_16_64 3
		.amdhsa_dx10_clamp 1
		.amdhsa_ieee_mode 1
		.amdhsa_fp16_overflow 0
		.amdhsa_workgroup_processor_mode 1
		.amdhsa_memory_ordered 1
		.amdhsa_forward_progress 1
		.amdhsa_shared_vgpr_count 0
		.amdhsa_exception_fp_ieee_invalid_op 0
		.amdhsa_exception_fp_denorm_src 0
		.amdhsa_exception_fp_ieee_div_zero 0
		.amdhsa_exception_fp_ieee_overflow 0
		.amdhsa_exception_fp_ieee_underflow 0
		.amdhsa_exception_fp_ieee_inexact 0
		.amdhsa_exception_int_div_zero 0
	.end_amdhsa_kernel
	.section	.text._ZL36rocblas_hemvn_kernel_upper_block_sumILi64ElPK19rocblas_complex_numIdEPKPS1_S1_EviT1_lS7_lT2_lT0_lPT3_i,"axG",@progbits,_ZL36rocblas_hemvn_kernel_upper_block_sumILi64ElPK19rocblas_complex_numIdEPKPS1_S1_EviT1_lS7_lT2_lT0_lPT3_i,comdat
.Lfunc_end49:
	.size	_ZL36rocblas_hemvn_kernel_upper_block_sumILi64ElPK19rocblas_complex_numIdEPKPS1_S1_EviT1_lS7_lT2_lT0_lPT3_i, .Lfunc_end49-_ZL36rocblas_hemvn_kernel_upper_block_sumILi64ElPK19rocblas_complex_numIdEPKPS1_S1_EviT1_lS7_lT2_lT0_lPT3_i
                                        ; -- End function
	.set _ZL36rocblas_hemvn_kernel_upper_block_sumILi64ElPK19rocblas_complex_numIdEPKPS1_S1_EviT1_lS7_lT2_lT0_lPT3_i.num_vgpr, 13
	.set _ZL36rocblas_hemvn_kernel_upper_block_sumILi64ElPK19rocblas_complex_numIdEPKPS1_S1_EviT1_lS7_lT2_lT0_lPT3_i.num_agpr, 0
	.set _ZL36rocblas_hemvn_kernel_upper_block_sumILi64ElPK19rocblas_complex_numIdEPKPS1_S1_EviT1_lS7_lT2_lT0_lPT3_i.numbered_sgpr, 28
	.set _ZL36rocblas_hemvn_kernel_upper_block_sumILi64ElPK19rocblas_complex_numIdEPKPS1_S1_EviT1_lS7_lT2_lT0_lPT3_i.num_named_barrier, 0
	.set _ZL36rocblas_hemvn_kernel_upper_block_sumILi64ElPK19rocblas_complex_numIdEPKPS1_S1_EviT1_lS7_lT2_lT0_lPT3_i.private_seg_size, 0
	.set _ZL36rocblas_hemvn_kernel_upper_block_sumILi64ElPK19rocblas_complex_numIdEPKPS1_S1_EviT1_lS7_lT2_lT0_lPT3_i.uses_vcc, 1
	.set _ZL36rocblas_hemvn_kernel_upper_block_sumILi64ElPK19rocblas_complex_numIdEPKPS1_S1_EviT1_lS7_lT2_lT0_lPT3_i.uses_flat_scratch, 0
	.set _ZL36rocblas_hemvn_kernel_upper_block_sumILi64ElPK19rocblas_complex_numIdEPKPS1_S1_EviT1_lS7_lT2_lT0_lPT3_i.has_dyn_sized_stack, 0
	.set _ZL36rocblas_hemvn_kernel_upper_block_sumILi64ElPK19rocblas_complex_numIdEPKPS1_S1_EviT1_lS7_lT2_lT0_lPT3_i.has_recursion, 0
	.set _ZL36rocblas_hemvn_kernel_upper_block_sumILi64ElPK19rocblas_complex_numIdEPKPS1_S1_EviT1_lS7_lT2_lT0_lPT3_i.has_indirect_call, 0
	.section	.AMDGPU.csdata,"",@progbits
; Kernel info:
; codeLenInByte = 940
; TotalNumSgprs: 30
; NumVgprs: 13
; ScratchSize: 0
; MemoryBound: 0
; FloatMode: 240
; IeeeMode: 1
; LDSByteSize: 0 bytes/workgroup (compile time only)
; SGPRBlocks: 0
; VGPRBlocks: 1
; NumSGPRsForWavesPerEU: 30
; NumVGPRsForWavesPerEU: 13
; Occupancy: 16
; WaveLimiterHint : 1
; COMPUTE_PGM_RSRC2:SCRATCH_EN: 0
; COMPUTE_PGM_RSRC2:USER_SGPR: 6
; COMPUTE_PGM_RSRC2:TRAP_HANDLER: 0
; COMPUTE_PGM_RSRC2:TGID_X_EN: 1
; COMPUTE_PGM_RSRC2:TGID_Y_EN: 0
; COMPUTE_PGM_RSRC2:TGID_Z_EN: 1
; COMPUTE_PGM_RSRC2:TIDIG_COMP_CNT: 0
	.section	.text._ZL26rocblas_hemvn_kernel_upperILb1ELi64ELi4ELi33ELi32ELi16EiPK19rocblas_complex_numIdEPKS3_PS1_EviT6_lT7_lT5_lS8_lS9_lS7_lT8_i,"axG",@progbits,_ZL26rocblas_hemvn_kernel_upperILb1ELi64ELi4ELi33ELi32ELi16EiPK19rocblas_complex_numIdEPKS3_PS1_EviT6_lT7_lT5_lS8_lS9_lS7_lT8_i,comdat
	.globl	_ZL26rocblas_hemvn_kernel_upperILb1ELi64ELi4ELi33ELi32ELi16EiPK19rocblas_complex_numIdEPKS3_PS1_EviT6_lT7_lT5_lS8_lS9_lS7_lT8_i ; -- Begin function _ZL26rocblas_hemvn_kernel_upperILb1ELi64ELi4ELi33ELi32ELi16EiPK19rocblas_complex_numIdEPKS3_PS1_EviT6_lT7_lT5_lS8_lS9_lS7_lT8_i
	.p2align	8
	.type	_ZL26rocblas_hemvn_kernel_upperILb1ELi64ELi4ELi33ELi32ELi16EiPK19rocblas_complex_numIdEPKS3_PS1_EviT6_lT7_lT5_lS8_lS9_lS7_lT8_i,@function
_ZL26rocblas_hemvn_kernel_upperILb1ELi64ELi4ELi33ELi32ELi16EiPK19rocblas_complex_numIdEPKS3_PS1_EviT6_lT7_lT5_lS8_lS9_lS7_lT8_i: ; @_ZL26rocblas_hemvn_kernel_upperILb1ELi64ELi4ELi33ELi32ELi16EiPK19rocblas_complex_numIdEPKS3_PS1_EviT6_lT7_lT5_lS8_lS9_lS7_lT8_i
; %bb.0:
	s_load_dwordx2 s[0:1], s[4:5], 0x84
	s_add_u32 s20, s4, 0x78
	s_addc_u32 s21, s5, 0
	s_waitcnt lgkmcnt(0)
	s_lshr_b32 s2, s0, 16
	s_and_b32 s0, s0, 0xffff
	s_and_b32 s1, s1, 0xffff
	s_mul_i32 s0, s2, s0
	s_mul_i32 s0, s0, s1
	s_cmpk_lg_i32 s0, 0x100
	s_cbranch_scc1 .LBB50_201
; %bb.1:
	s_load_dwordx8 s[8:15], s[4:5], 0x8
	s_mov_b32 s16, s7
	s_mov_b32 s17, 0
	s_waitcnt lgkmcnt(0)
	s_mul_i32 s1, s11, s7
	s_mul_hi_u32 s2, s10, s7
	s_mul_i32 s0, s10, s7
	s_add_i32 s1, s2, s1
	s_lshl_b64 s[0:1], s[0:1], 4
	s_add_u32 s0, s8, s0
	s_addc_u32 s1, s9, s1
	s_load_dwordx4 s[0:3], s[0:1], 0x0
	s_waitcnt lgkmcnt(0)
	v_cmp_neq_f64_e64 s7, s[0:1], 0
	v_cmp_neq_f64_e64 s8, s[2:3], 0
	s_clause 0x1
	s_load_dwordx2 s[10:11], s[4:5], 0x68
	s_load_dwordx4 s[0:3], s[4:5], 0x58
	s_or_b32 s7, s7, s8
	s_and_b32 vcc_lo, exec_lo, s7
	s_mov_b32 s7, -1
	s_cbranch_vccnz .LBB50_3
; %bb.2:
	s_waitcnt lgkmcnt(0)
	s_mul_i32 s3, s3, s16
	s_mul_hi_u32 s7, s2, s16
	s_mul_i32 s2, s2, s16
	s_add_i32 s3, s7, s3
	s_mov_b32 s7, 0
	s_lshl_b64 s[2:3], s[2:3], 4
	s_add_u32 s0, s0, s2
	s_addc_u32 s1, s1, s3
	s_load_dwordx4 s[0:3], s[0:1], 0x0
	s_waitcnt lgkmcnt(0)
	v_cmp_eq_f64_e64 s0, s[0:1], 1.0
	v_cmp_eq_f64_e64 s1, s[2:3], 0
	s_and_b32 s0, s0, s1
	s_andn2_b32 vcc_lo, exec_lo, s0
.LBB50_3:
	s_andn2_b32 vcc_lo, exec_lo, s7
	s_cbranch_vccnz .LBB50_201
; %bb.4:
	s_waitcnt lgkmcnt(0)
	s_clause 0x1
	s_load_dwordx4 s[0:3], s[4:5], 0x38
	s_load_dword s27, s[4:5], 0x48
	s_lshl_b64 s[8:9], s[16:17], 3
	s_add_u32 s12, s12, s8
	s_addc_u32 s13, s13, s9
	s_waitcnt lgkmcnt(0)
	s_add_u32 s0, s0, s8
	s_addc_u32 s1, s1, s9
	s_lshl_b64 s[2:3], s[2:3], 4
	s_load_dwordx2 s[0:1], s[0:1], 0x0
	s_load_dword s17, s[4:5], 0x0
	s_load_dword s24, s[20:21], 0x0
	s_waitcnt lgkmcnt(0)
	s_add_u32 s0, s0, s2
	s_addc_u32 s1, s1, s3
	s_lshl_b32 s18, s6, 6
	s_load_dwordx2 s[2:3], s[12:13], 0x0
	v_add_nc_u32_e32 v167, s18, v0
	s_ashr_i32 s28, s17, 31
	s_add_i32 s8, s24, -1
	s_lshr_b32 s7, s28, 26
	v_mul_lo_u32 v2, s27, v167
	s_add_i32 s7, s17, s7
	s_andn2_b32 s7, s7, 63
	s_sub_i32 s25, s17, s7
	s_cmp_eq_u32 s6, s8
	s_mov_b32 s7, -1
	v_ashrrev_i32_e32 v3, 31, v2
	s_cselect_b32 s8, s25, 0
	v_lshlrev_b64 v[2:3], 4, v[2:3]
	v_add_co_u32 v38, vcc_lo, s0, v2
	v_add_co_ci_u32_e64 v39, null, s1, v3, vcc_lo
	v_cmp_eq_u32_e64 s0, 0, v1
	s_and_saveexec_b32 s1, s0
	s_cbranch_execz .LBB50_9
; %bb.5:
	v_cmp_le_i32_e32 vcc_lo, s8, v0
	s_cmp_lg_u32 s8, 0
	v_lshl_add_u32 v2, v0, 4, 0x4700
	s_cselect_b32 s9, -1, 0
	s_and_b32 s9, s9, vcc_lo
	s_and_saveexec_b32 s12, s9
	s_xor_b32 s9, exec_lo, s12
	s_cbranch_execz .LBB50_7
; %bb.6:
	v_mov_b32_e32 v3, 0
	v_mov_b32_e32 v4, v3
	v_mov_b32_e32 v5, v3
	v_mov_b32_e32 v6, v3
	ds_write_b128 v2, v[3:6]
                                        ; implicit-def: $vgpr2
.LBB50_7:
	s_andn2_saveexec_b32 s9, s9
	s_cbranch_execz .LBB50_9
; %bb.8:
	flat_load_dwordx4 v[3:6], v[38:39]
	s_waitcnt vmcnt(0) lgkmcnt(0)
	ds_write2_b64 v2, v[3:4], v[5:6] offset1:1
.LBB50_9:
	s_or_b32 exec_lo, exec_lo, s1
	s_load_dword s12, s[4:5], 0x28
	v_lshl_add_u32 v44, v1, 6, v0
	v_and_b32_e32 v10, 31, v0
	s_lshl_b64 s[4:5], s[14:15], 4
                                        ; implicit-def: $vgpr6_vgpr7
	s_waitcnt lgkmcnt(0)
	s_add_u32 s1, s2, s4
	v_lshrrev_b32_e32 v13, 5, v44
	s_addc_u32 s4, s3, s5
	s_ashr_i32 s19, s18, 31
	v_lshlrev_b32_e32 v14, 4, v10
	s_lshl_b64 s[2:3], s[18:19], 4
	s_add_u32 s5, s1, s2
	s_addc_u32 s4, s4, s3
	v_cmp_gt_i32_e64 s1, s8, v10
	v_mad_u64_u32 v[2:3], null, s12, v13, v[10:11]
	s_mul_i32 s2, s12, s18
	s_ashr_i32 s3, s2, 31
	s_lshl_b64 s[2:3], s[2:3], 4
	s_cmp_eq_u32 s8, 0
	v_ashrrev_i32_e32 v3, 31, v2
	s_cselect_b32 s26, -1, 0
	s_cmp_lg_u32 s8, 0
	s_cselect_b32 s19, -1, 0
	v_lshlrev_b64 v[40:41], 4, v[2:3]
	v_add_co_u32 v2, vcc_lo, s5, v40
	v_add_co_ci_u32_e64 v3, null, s4, v41, vcc_lo
	s_and_b32 vcc_lo, exec_lo, s19
	v_add_co_u32 v2, s2, v2, s2
	v_add_co_ci_u32_e64 v3, null, s3, v3, s2
	s_cbranch_vccz .LBB50_27
; %bb.10:
	v_sub_co_u32 v4, vcc_lo, v2, v14
	s_ashr_i32 s9, s8, 31
	v_subrev_co_ci_u32_e64 v5, null, 0, v3, vcc_lo
	s_lshl_b64 s[2:3], s[8:9], 4
	v_mad_u32_u24 v7, 0x210, v13, v14
	v_add_co_u32 v4, vcc_lo, v4, s2
	v_add_co_ci_u32_e64 v5, null, s3, v5, vcc_lo
	s_mov_b32 s4, exec_lo
	v_add_co_u32 v4, vcc_lo, v4, -16
	v_add_co_ci_u32_e64 v5, null, -1, v5, vcc_lo
	v_cndmask_b32_e64 v4, v4, v2, s1
	v_cndmask_b32_e64 v5, v5, v3, s1
	v_cmpx_le_i32_e64 s8, v13
	s_xor_b32 s4, exec_lo, s4
	s_cbranch_execz .LBB50_12
; %bb.11:
	v_mov_b32_e32 v15, 0
	v_mov_b32_e32 v16, v15
	;; [unrolled: 1-line block ×4, first 2 shown]
	ds_write_b128 v7, v[15:18]
                                        ; implicit-def: $vgpr7
.LBB50_12:
	s_or_saveexec_b32 s4, s4
	v_mul_u32_u24_e32 v6, 0x210, v13
	s_xor_b32 exec_lo, exec_lo, s4
	s_cbranch_execz .LBB50_14
; %bb.13:
	flat_load_dwordx4 v[15:18], v[4:5]
	s_waitcnt vmcnt(0) lgkmcnt(0)
	ds_write2_b64 v7, v[15:16], v[17:18] offset1:1
.LBB50_14:
	s_or_b32 exec_lo, exec_lo, s4
	v_add_nc_u32_e32 v7, 8, v13
	v_cmp_le_i32_e32 vcc_lo, s8, v7
	v_add_nc_u32_e32 v7, v6, v14
	s_and_saveexec_b32 s4, vcc_lo
	s_xor_b32 s4, exec_lo, s4
	s_cbranch_execz .LBB50_16
; %bb.15:
	v_mov_b32_e32 v15, 0
	v_mov_b32_e32 v16, v15
	;; [unrolled: 1-line block ×4, first 2 shown]
	ds_write_b128 v7, v[15:18] offset:4224
.LBB50_16:
	s_andn2_saveexec_b32 s4, s4
	s_cbranch_execz .LBB50_18
; %bb.17:
	s_lshl_b32 s14, s12, 3
	s_ashr_i32 s15, s14, 31
	s_lshl_b64 s[14:15], s[14:15], 4
	v_add_co_u32 v8, vcc_lo, v4, s14
	v_add_co_ci_u32_e64 v9, null, s15, v5, vcc_lo
	flat_load_dwordx4 v[15:18], v[8:9]
	v_add3_u32 v8, v6, v14, 0x1080
	s_waitcnt vmcnt(0) lgkmcnt(0)
	ds_write2_b64 v8, v[15:16], v[17:18] offset1:1
.LBB50_18:
	s_or_b32 exec_lo, exec_lo, s4
	v_add_nc_u32_e32 v8, 16, v13
	s_mov_b32 s4, exec_lo
	v_cmpx_le_i32_e64 s8, v8
	s_xor_b32 s4, exec_lo, s4
	s_cbranch_execz .LBB50_20
; %bb.19:
	v_mov_b32_e32 v15, 0
	v_mov_b32_e32 v16, v15
	;; [unrolled: 1-line block ×4, first 2 shown]
	ds_write_b128 v7, v[15:18] offset:8448
.LBB50_20:
	s_andn2_saveexec_b32 s4, s4
	s_cbranch_execz .LBB50_22
; %bb.21:
	s_lshl_b32 s14, s12, 4
	s_ashr_i32 s15, s14, 31
	s_lshl_b64 s[14:15], s[14:15], 4
	v_add_co_u32 v8, vcc_lo, v4, s14
	v_add_co_ci_u32_e64 v9, null, s15, v5, vcc_lo
	flat_load_dwordx4 v[15:18], v[8:9]
	v_add3_u32 v8, v6, v14, 0x2100
	s_waitcnt vmcnt(0) lgkmcnt(0)
	ds_write2_b64 v8, v[15:16], v[17:18] offset1:1
.LBB50_22:
	s_or_b32 exec_lo, exec_lo, s4
	v_add_nc_u32_e32 v8, 24, v13
	s_mov_b32 s4, exec_lo
	v_cmpx_le_i32_e64 s8, v8
	s_xor_b32 s4, exec_lo, s4
	s_cbranch_execz .LBB50_24
; %bb.23:
	v_mov_b32_e32 v15, 0
                                        ; implicit-def: $vgpr6
	v_mov_b32_e32 v16, v15
	v_mov_b32_e32 v17, v15
	;; [unrolled: 1-line block ×3, first 2 shown]
	ds_write_b128 v7, v[15:18] offset:12672
.LBB50_24:
	s_andn2_saveexec_b32 s4, s4
	s_cbranch_execz .LBB50_26
; %bb.25:
	s_mul_i32 s14, s12, 24
	v_add3_u32 v6, v6, v14, 0x3180
	s_ashr_i32 s15, s14, 31
	s_lshl_b64 s[14:15], s[14:15], 4
	v_add_co_u32 v7, vcc_lo, v4, s14
	v_add_co_ci_u32_e64 v8, null, s15, v5, vcc_lo
	flat_load_dwordx4 v[15:18], v[7:8]
	s_waitcnt vmcnt(0) lgkmcnt(0)
	ds_write2_b64 v6, v[15:16], v[17:18] offset1:1
.LBB50_26:
	s_or_b32 exec_lo, exec_lo, s4
	v_add_co_u32 v4, vcc_lo, v4, v14
	v_add_co_ci_u32_e64 v5, null, 0, v5, vcc_lo
	s_mov_b32 s7, 0
	v_sub_co_u32 v4, vcc_lo, v4, s2
	v_subrev_co_ci_u32_e64 v5, null, s3, v5, vcc_lo
	v_add_co_u32 v4, vcc_lo, v4, 16
	v_add_co_ci_u32_e64 v5, null, 0, v5, vcc_lo
	v_cndmask_b32_e64 v6, v4, v2, s1
	v_cndmask_b32_e64 v7, v5, v3, s1
.LBB50_27:
	v_mul_u32_u24_e32 v15, 0x210, v13
	s_and_b32 vcc_lo, exec_lo, s7
	s_cbranch_vccz .LBB50_29
; %bb.28:
	flat_load_dwordx4 v[4:7], v[2:3]
	s_lshl_b32 s2, s12, 3
	v_lshl_add_u32 v11, v10, 4, v15
	s_ashr_i32 s3, s2, 31
	s_ashr_i32 s13, s12, 31
	s_lshl_b64 s[2:3], s[2:3], 4
	v_add_co_u32 v8, vcc_lo, v2, s2
	v_add_co_ci_u32_e64 v9, null, s3, v3, vcc_lo
	s_lshl_b64 s[2:3], s[12:13], 7
	v_add_nc_u32_e32 v12, 0x1080, v11
	s_waitcnt vmcnt(0) lgkmcnt(0)
	ds_write2_b64 v11, v[4:5], v[6:7] offset1:1
	flat_load_dwordx4 v[4:7], v[8:9]
	v_add_co_u32 v8, vcc_lo, v8, s2
	v_add_co_ci_u32_e64 v9, null, s3, v9, vcc_lo
	s_waitcnt vmcnt(0) lgkmcnt(0)
	ds_write2_b64 v12, v[4:5], v[6:7] offset1:1
	flat_load_dwordx4 v[4:7], v[8:9]
	v_add_co_u32 v8, vcc_lo, v8, s2
	v_add_nc_u32_e32 v12, 0x2100, v11
	v_add_co_ci_u32_e64 v9, null, s3, v9, vcc_lo
	s_waitcnt vmcnt(0) lgkmcnt(0)
	ds_write2_b64 v12, v[4:5], v[6:7] offset1:1
	flat_load_dwordx4 v[16:19], v[8:9]
	v_mov_b32_e32 v7, v3
	v_add_nc_u32_e32 v4, 0x3180, v11
	v_mov_b32_e32 v6, v2
	s_waitcnt vmcnt(0) lgkmcnt(0)
	ds_write2_b64 v4, v[16:17], v[18:19] offset1:1
.LBB50_29:
	v_lshlrev_b32_e32 v18, 2, v13
	v_mul_u32_u24_e32 v16, 0x210, v10
	s_mov_b32 s1, 0
	s_waitcnt lgkmcnt(0)
	s_barrier
	v_cmp_le_u32_e64 s2, v18, v10
	buffer_gl0_inv
                                        ; implicit-def: $vgpr8
	s_and_saveexec_b32 s3, s2
	s_xor_b32 s3, exec_lo, s3
	s_cbranch_execz .LBB50_33
; %bb.30:
	s_mov_b32 s4, exec_lo
                                        ; implicit-def: $vgpr8
	v_cmpx_eq_u32_e64 v18, v10
	s_xor_b32 s4, exec_lo, s4
; %bb.31:
	s_mov_b32 s1, exec_lo
	v_add_nc_u32_e32 v8, v14, v16
; %bb.32:
	s_or_b32 exec_lo, exec_lo, s4
	s_and_b32 s1, s1, exec_lo
.LBB50_33:
	s_or_saveexec_b32 s3, s3
	v_lshl_or_b32 v2, v10, 9, v14
	v_mov_b32_e32 v4, 0
	v_mov_b32_e32 v5, 0
	v_mad_u32_u24 v9, 0x840, v13, v14
	v_lshl_add_u32 v11, v18, 4, v2
	s_xor_b32 exec_lo, exec_lo, s3
	s_cbranch_execz .LBB50_35
; %bb.34:
	ds_read_b128 v[2:5], v9
	v_mov_b32_e32 v8, v11
	s_or_b32 s1, s1, exec_lo
	s_waitcnt lgkmcnt(0)
	v_xor_b32_e32 v5, 0x80000000, v5
	ds_write_b64 v11, v[2:3]
.LBB50_35:
	s_or_b32 exec_lo, exec_lo, s3
	s_and_saveexec_b32 s3, s1
; %bb.36:
	ds_write_b64 v8, v[4:5] offset:8
; %bb.37:
	s_or_b32 exec_lo, exec_lo, s3
	v_or_b32_e32 v19, 1, v18
	v_cmp_ge_u32_e64 s3, v18, v10
	s_mov_b32 s1, 0
                                        ; implicit-def: $vgpr4_vgpr5
                                        ; implicit-def: $vgpr12
	v_mad_u32_u24 v8, 0x210, v19, v14
	s_and_saveexec_b32 s4, s3
	s_xor_b32 s4, exec_lo, s4
	s_cbranch_execz .LBB50_77
; %bb.38:
	ds_read_b128 v[2:5], v8
	s_mov_b32 s1, exec_lo
	v_add_nc_u32_e32 v12, 16, v11
	s_waitcnt lgkmcnt(0)
	v_xor_b32_e32 v5, 0x80000000, v5
	ds_write_b64 v11, v[2:3] offset:16
	s_andn2_saveexec_b32 s4, s4
	s_cbranch_execnz .LBB50_78
.LBB50_39:
	s_or_b32 exec_lo, exec_lo, s4
	s_and_saveexec_b32 s4, s1
.LBB50_40:
	ds_write_b64 v12, v[4:5] offset:8
.LBB50_41:
	s_or_b32 exec_lo, exec_lo, s4
	v_or_b32_e32 v20, 2, v18
	s_mov_b32 s1, 0
                                        ; implicit-def: $vgpr12
	v_cmp_le_u32_e64 s4, v20, v10
	s_and_saveexec_b32 s5, s4
	s_xor_b32 s5, exec_lo, s5
	s_cbranch_execz .LBB50_45
; %bb.42:
	s_mov_b32 s7, exec_lo
                                        ; implicit-def: $vgpr12
	v_cmpx_eq_u32_e64 v20, v10
; %bb.43:
	v_add_nc_u32_e32 v12, v14, v16
	s_mov_b32 s1, exec_lo
; %bb.44:
	s_or_b32 exec_lo, exec_lo, s7
	s_and_b32 s1, s1, exec_lo
.LBB50_45:
	s_or_saveexec_b32 s5, s5
	v_mov_b32_e32 v4, 0
	v_mov_b32_e32 v5, 0
	s_xor_b32 exec_lo, exec_lo, s5
	s_cbranch_execz .LBB50_47
; %bb.46:
	v_mad_u32_u24 v2, 0x210, v20, v14
	v_add_nc_u32_e32 v12, 32, v11
	s_or_b32 s1, s1, exec_lo
	ds_read_b128 v[2:5], v2
	s_waitcnt lgkmcnt(0)
	v_xor_b32_e32 v5, 0x80000000, v5
	ds_write_b64 v11, v[2:3] offset:32
.LBB50_47:
	s_or_b32 exec_lo, exec_lo, s5
	s_and_saveexec_b32 s5, s1
; %bb.48:
	ds_write_b64 v12, v[4:5] offset:8
; %bb.49:
	s_or_b32 exec_lo, exec_lo, s5
	v_or_b32_e32 v21, 3, v18
	s_mov_b32 s1, 0
                                        ; implicit-def: $vgpr12
	v_cmp_le_u32_e64 s5, v21, v10
	s_and_saveexec_b32 s7, s5
	s_xor_b32 s7, exec_lo, s7
	s_cbranch_execz .LBB50_53
; %bb.50:
	s_mov_b32 s9, exec_lo
                                        ; implicit-def: $vgpr12
	v_cmpx_eq_u32_e64 v21, v10
; %bb.51:
	v_add_nc_u32_e32 v12, v14, v16
	s_mov_b32 s1, exec_lo
; %bb.52:
	s_or_b32 exec_lo, exec_lo, s9
	s_and_b32 s1, s1, exec_lo
                                        ; implicit-def: $vgpr11
.LBB50_53:
	s_or_saveexec_b32 s7, s7
	v_mov_b32_e32 v4, 0
	v_mov_b32_e32 v5, 0
	s_xor_b32 exec_lo, exec_lo, s7
	s_cbranch_execz .LBB50_55
; %bb.54:
	v_mad_u32_u24 v2, 0x210, v21, v14
	v_add_nc_u32_e32 v12, 48, v11
	s_or_b32 s1, s1, exec_lo
	ds_read_b128 v[2:5], v2
	s_waitcnt lgkmcnt(0)
	v_xor_b32_e32 v5, 0x80000000, v5
	ds_write_b64 v11, v[2:3] offset:48
.LBB50_55:
	s_or_b32 exec_lo, exec_lo, s7
	s_and_saveexec_b32 s7, s1
; %bb.56:
	ds_write_b64 v12, v[4:5] offset:8
; %bb.57:
	s_or_b32 exec_lo, exec_lo, s7
	v_lshlrev_b32_e32 v22, 4, v18
	s_waitcnt lgkmcnt(0)
	s_barrier
	buffer_gl0_inv
	ds_read_b128 v[2:5], v9
	ds_read_b128 v[23:26], v22 offset:18176
	ds_read_b128 v[27:30], v8
	ds_read_b128 v[31:34], v8 offset:1056
	ds_read_b128 v[45:48], v22 offset:18192
	;; [unrolled: 1-line block ×4, first 2 shown]
	v_cmp_gt_u32_e64 s1, 32, v44
	s_waitcnt lgkmcnt(5)
	v_mul_f64 v[11:12], v[25:26], v[4:5]
	v_mul_f64 v[4:5], v[23:24], v[4:5]
	s_waitcnt lgkmcnt(2)
	v_mul_f64 v[8:9], v[47:48], v[29:30]
	v_mul_f64 v[29:30], v[45:46], v[29:30]
	s_waitcnt lgkmcnt(0)
	v_mul_f64 v[35:36], v[53:54], v[51:52]
	v_fma_f64 v[11:12], v[23:24], v[2:3], -v[11:12]
	v_fma_f64 v[23:24], v[25:26], v[2:3], v[4:5]
	v_mul_f64 v[25:26], v[55:56], v[51:52]
	v_fma_f64 v[8:9], v[45:46], v[27:28], -v[8:9]
	v_fma_f64 v[27:28], v[47:48], v[27:28], v[29:30]
	ds_read_b128 v[2:5], v22 offset:18224
	v_fma_f64 v[35:36], v[55:56], v[49:50], v[35:36]
	s_waitcnt lgkmcnt(0)
	s_barrier
	buffer_gl0_inv
	v_add_f64 v[11:12], v[11:12], 0
	v_add_f64 v[23:24], v[23:24], 0
	v_fma_f64 v[25:26], v[53:54], v[49:50], -v[25:26]
	v_mul_f64 v[29:30], v[4:5], v[33:34]
	v_mul_f64 v[33:34], v[2:3], v[33:34]
	v_add_f64 v[8:9], v[11:12], v[8:9]
	v_add_f64 v[11:12], v[23:24], v[27:28]
	v_fma_f64 v[2:3], v[2:3], v[31:32], -v[29:30]
	v_fma_f64 v[4:5], v[4:5], v[31:32], v[33:34]
	v_add_f64 v[8:9], v[8:9], v[25:26]
	v_add_f64 v[11:12], v[11:12], v[35:36]
	;; [unrolled: 1-line block ×4, first 2 shown]
	v_mul_u32_u24_e32 v2, 33, v10
	v_mov_b32_e32 v4, 0
	v_mov_b32_e32 v5, 0
	v_lshlrev_b32_e32 v45, 4, v2
	v_mov_b32_e32 v2, 0
	v_mov_b32_e32 v3, 0
	v_lshl_add_u32 v46, v13, 4, v45
	ds_write_b128 v46, v[23:26]
	s_waitcnt lgkmcnt(0)
	s_barrier
	buffer_gl0_inv
	s_and_saveexec_b32 s7, s1
	s_cbranch_execz .LBB50_59
; %bb.58:
	ds_read_b128 v[2:5], v45
	ds_read_b128 v[23:26], v45 offset:16
	s_waitcnt lgkmcnt(0)
	v_add_f64 v[8:9], v[23:24], v[2:3]
	v_add_f64 v[11:12], v[25:26], v[4:5]
	ds_read_b128 v[2:5], v45 offset:32
	ds_read_b128 v[23:26], v45 offset:48
	s_waitcnt lgkmcnt(1)
	v_add_f64 v[2:3], v[8:9], v[2:3]
	v_add_f64 v[4:5], v[11:12], v[4:5]
	s_waitcnt lgkmcnt(0)
	v_add_f64 v[8:9], v[2:3], v[23:24]
	v_add_f64 v[11:12], v[4:5], v[25:26]
	ds_read_b128 v[2:5], v45 offset:64
	ds_read_b128 v[23:26], v45 offset:80
	s_waitcnt lgkmcnt(1)
	v_add_f64 v[2:3], v[8:9], v[2:3]
	v_add_f64 v[4:5], v[11:12], v[4:5]
	;; [unrolled: 8-line block ×3, first 2 shown]
	s_waitcnt lgkmcnt(0)
	v_add_f64 v[2:3], v[2:3], v[23:24]
	v_add_f64 v[4:5], v[4:5], v[25:26]
.LBB50_59:
	s_or_b32 exec_lo, exec_lo, s7
	s_lshl_b32 s20, s12, 5
	v_mad_u32_u24 v17, 0x210, v13, v14
	s_ashr_i32 s21, s20, 31
	s_lshl_b64 s[14:15], s[20:21], 4
	s_barrier
	v_add_co_u32 v23, vcc_lo, v6, s14
	v_add_co_ci_u32_e64 v24, null, s15, v7, vcc_lo
	buffer_gl0_inv
	v_add_co_u32 v6, vcc_lo, 0x200, v23
	v_add_co_ci_u32_e64 v7, null, 0, v24, vcc_lo
	s_and_b32 vcc_lo, exec_lo, s19
	s_cbranch_vccz .LBB50_81
; %bb.60:
	v_sub_co_u32 v8, vcc_lo, v23, v14
	s_ashr_i32 s9, s8, 31
	v_subrev_co_ci_u32_e64 v9, null, 0, v24, vcc_lo
	s_lshl_b64 s[22:23], s[8:9], 4
	v_or_b32_e32 v11, 32, v10
	v_add_co_u32 v8, vcc_lo, v8, s22
	v_add_co_ci_u32_e64 v9, null, s23, v9, vcc_lo
	s_sub_i32 s9, s8, 32
	v_add_co_u32 v8, vcc_lo, v8, -16
	v_add_co_ci_u32_e64 v9, null, -1, v9, vcc_lo
	v_cmp_gt_i32_e32 vcc_lo, s8, v11
	v_cmp_le_i32_e64 s7, s9, v13
	v_cndmask_b32_e32 v9, v9, v7, vcc_lo
	v_cndmask_b32_e32 v8, v8, v6, vcc_lo
	s_and_saveexec_b32 s13, s7
	s_xor_b32 s7, exec_lo, s13
	s_cbranch_execz .LBB50_62
; %bb.61:
	v_mov_b32_e32 v25, 0
	v_mov_b32_e32 v26, v25
	;; [unrolled: 1-line block ×4, first 2 shown]
	ds_write_b128 v17, v[25:28]
.LBB50_62:
	s_andn2_saveexec_b32 s7, s7
	s_cbranch_execz .LBB50_64
; %bb.63:
	flat_load_dwordx4 v[25:28], v[8:9]
	s_waitcnt vmcnt(0) lgkmcnt(0)
	ds_write2_b64 v17, v[25:26], v[27:28] offset1:1
.LBB50_64:
	s_or_b32 exec_lo, exec_lo, s7
	v_add_nc_u32_e32 v11, 8, v13
	v_cmp_le_i32_e64 s7, s9, v11
	v_add_nc_u32_e32 v11, v15, v14
	s_and_saveexec_b32 s13, s7
	s_xor_b32 s7, exec_lo, s13
	s_cbranch_execz .LBB50_66
; %bb.65:
	v_mov_b32_e32 v25, 0
	v_mov_b32_e32 v26, v25
	;; [unrolled: 1-line block ×4, first 2 shown]
	ds_write_b128 v11, v[25:28] offset:4224
.LBB50_66:
	s_andn2_saveexec_b32 s13, s7
	s_cbranch_execz .LBB50_68
; %bb.67:
	s_lshl_b32 s30, s12, 3
	v_add3_u32 v12, v15, v14, 0x1080
	s_ashr_i32 s31, s30, 31
	s_lshl_b64 s[30:31], s[30:31], 4
	v_add_co_u32 v25, s7, v8, s30
	v_add_co_ci_u32_e64 v26, null, s31, v9, s7
	flat_load_dwordx4 v[25:28], v[25:26]
	s_waitcnt vmcnt(0) lgkmcnt(0)
	ds_write2_b64 v12, v[25:26], v[27:28] offset1:1
.LBB50_68:
	s_or_b32 exec_lo, exec_lo, s13
	v_add_nc_u32_e32 v12, 16, v13
	v_cmp_le_i32_e64 s7, s9, v12
	s_and_saveexec_b32 s13, s7
	s_xor_b32 s7, exec_lo, s13
	s_cbranch_execz .LBB50_70
; %bb.69:
	v_mov_b32_e32 v25, 0
	v_mov_b32_e32 v26, v25
	;; [unrolled: 1-line block ×4, first 2 shown]
	ds_write_b128 v11, v[25:28] offset:8448
.LBB50_70:
	s_andn2_saveexec_b32 s13, s7
	s_cbranch_execz .LBB50_72
; %bb.71:
	s_lshl_b32 s30, s12, 4
	v_add3_u32 v12, v15, v14, 0x2100
	s_ashr_i32 s31, s30, 31
	s_lshl_b64 s[30:31], s[30:31], 4
	v_add_co_u32 v25, s7, v8, s30
	v_add_co_ci_u32_e64 v26, null, s31, v9, s7
	flat_load_dwordx4 v[25:28], v[25:26]
	s_waitcnt vmcnt(0) lgkmcnt(0)
	ds_write2_b64 v12, v[25:26], v[27:28] offset1:1
.LBB50_72:
	s_or_b32 exec_lo, exec_lo, s13
	v_add_nc_u32_e32 v12, 24, v13
	v_cmp_le_i32_e64 s7, s9, v12
	s_and_saveexec_b32 s9, s7
	s_xor_b32 s7, exec_lo, s9
	s_cbranch_execz .LBB50_74
; %bb.73:
	v_mov_b32_e32 v25, 0
	v_mov_b32_e32 v26, v25
	;; [unrolled: 1-line block ×4, first 2 shown]
	ds_write_b128 v11, v[25:28] offset:12672
.LBB50_74:
	s_andn2_saveexec_b32 s9, s7
	s_cbranch_execz .LBB50_76
; %bb.75:
	s_mul_i32 s30, s12, 24
	s_ashr_i32 s31, s30, 31
	s_lshl_b64 s[30:31], s[30:31], 4
	v_add_co_u32 v11, s7, v8, s30
	v_add_co_ci_u32_e64 v12, null, s31, v9, s7
	flat_load_dwordx4 v[25:28], v[11:12]
	v_add3_u32 v11, v15, v14, 0x3180
	s_waitcnt vmcnt(0) lgkmcnt(0)
	ds_write2_b64 v11, v[25:26], v[27:28] offset1:1
.LBB50_76:
	s_or_b32 exec_lo, exec_lo, s9
	v_add_co_u32 v8, s7, v8, v14
	v_add_co_ci_u32_e64 v9, null, 0, v9, s7
	v_sub_co_u32 v8, s7, v8, s22
	v_subrev_co_ci_u32_e64 v9, null, s23, v9, s7
	v_add_co_u32 v8, s7, 0x210, v8
	v_add_co_ci_u32_e64 v9, null, 0, v9, s7
	v_cndmask_b32_e32 v11, v8, v6, vcc_lo
	v_cndmask_b32_e32 v12, v9, v7, vcc_lo
	s_branch .LBB50_83
.LBB50_77:
	s_andn2_saveexec_b32 s4, s4
	s_cbranch_execz .LBB50_39
.LBB50_78:
	s_mov_b32 s5, s1
	s_mov_b32 s7, exec_lo
                                        ; implicit-def: $vgpr12
	v_cmpx_eq_u32_e64 v19, v10
; %bb.79:
	v_add_nc_u32_e32 v12, v14, v16
	s_or_b32 s5, s1, exec_lo
; %bb.80:
	s_or_b32 exec_lo, exec_lo, s7
	v_mov_b32_e32 v4, 0
	v_mov_b32_e32 v5, 0
	s_andn2_b32 s1, s1, exec_lo
	s_and_b32 s5, s5, exec_lo
	s_or_b32 s1, s1, s5
	s_or_b32 exec_lo, exec_lo, s4
	s_and_saveexec_b32 s4, s1
	s_cbranch_execnz .LBB50_40
	s_branch .LBB50_41
.LBB50_81:
                                        ; implicit-def: $vgpr11_vgpr12
	s_cbranch_execz .LBB50_83
; %bb.82:
	flat_load_dwordx4 v[25:28], v[6:7]
	s_lshl_b32 s22, s12, 3
	s_ashr_i32 s13, s12, 31
	s_ashr_i32 s23, s22, 31
	v_add_nc_u32_e32 v11, 0x1080, v17
	s_lshl_b64 s[22:23], s[22:23], 4
	v_add_co_u32 v8, vcc_lo, v23, s22
	v_add_co_ci_u32_e64 v9, null, s23, v24, vcc_lo
	s_lshl_b64 s[22:23], s[12:13], 7
	s_waitcnt vmcnt(0) lgkmcnt(0)
	ds_write2_b64 v17, v[25:26], v[27:28] offset1:1
	flat_load_dwordx4 v[23:26], v[8:9] offset:512
	v_add_co_u32 v8, vcc_lo, v8, s22
	v_add_co_ci_u32_e64 v9, null, s23, v9, vcc_lo
	s_waitcnt vmcnt(0) lgkmcnt(0)
	ds_write2_b64 v11, v[23:24], v[25:26] offset1:1
	flat_load_dwordx4 v[23:26], v[8:9] offset:512
	v_add_co_u32 v8, vcc_lo, v8, s22
	v_add_nc_u32_e32 v11, 0x2100, v17
	v_add_co_ci_u32_e64 v9, null, s23, v9, vcc_lo
	s_waitcnt vmcnt(0) lgkmcnt(0)
	ds_write2_b64 v11, v[23:24], v[25:26] offset1:1
	flat_load_dwordx4 v[23:26], v[8:9] offset:512
	v_mov_b32_e32 v12, v7
	v_add_nc_u32_e32 v8, 0x3180, v17
	v_mov_b32_e32 v11, v6
	s_waitcnt vmcnt(0) lgkmcnt(0)
	ds_write2_b64 v8, v[23:24], v[25:26] offset1:1
.LBB50_83:
	v_mul_u32_u24_e32 v6, 0x840, v13
	s_mov_b32 s7, 0
	s_waitcnt lgkmcnt(0)
	s_barrier
	buffer_gl0_inv
                                        ; implicit-def: $vgpr23
	s_and_saveexec_b32 s9, s2
	s_xor_b32 s2, exec_lo, s9
	s_cbranch_execz .LBB50_87
; %bb.84:
	s_mov_b32 s9, exec_lo
                                        ; implicit-def: $vgpr23
	v_cmpx_eq_u32_e64 v18, v10
	s_xor_b32 s9, exec_lo, s9
; %bb.85:
	v_add_nc_u32_e32 v23, v14, v16
	s_mov_b32 s7, exec_lo
; %bb.86:
	s_or_b32 exec_lo, exec_lo, s9
	s_and_b32 s7, s7, exec_lo
.LBB50_87:
	s_or_saveexec_b32 s2, s2
	v_mov_b32_e32 v8, 0
	v_mov_b32_e32 v9, 0
	v_add_nc_u32_e32 v34, v14, v6
	v_lshl_add_u32 v18, v18, 4, v45
	s_xor_b32 exec_lo, exec_lo, s2
	s_cbranch_execz .LBB50_89
; %bb.88:
	ds_read_b128 v[6:9], v34
	v_mov_b32_e32 v23, v18
	s_or_b32 s7, s7, exec_lo
	s_waitcnt lgkmcnt(0)
	v_xor_b32_e32 v9, 0x80000000, v9
	ds_write_b64 v18, v[6:7]
.LBB50_89:
	s_or_b32 exec_lo, exec_lo, s2
	v_mul_u32_u24_e32 v6, 0x210, v19
	s_and_saveexec_b32 s2, s7
; %bb.90:
	ds_write_b64 v23, v[8:9] offset:8
; %bb.91:
	s_or_b32 exec_lo, exec_lo, s2
	v_add_nc_u32_e32 v47, v14, v6
	s_mov_b32 s2, 0
                                        ; implicit-def: $vgpr8_vgpr9
                                        ; implicit-def: $vgpr23
	s_and_saveexec_b32 s7, s3
	s_xor_b32 s3, exec_lo, s7
	s_cbranch_execz .LBB50_131
; %bb.92:
	ds_read_b128 v[6:9], v47
	s_mov_b32 s2, exec_lo
	v_add_nc_u32_e32 v23, 16, v18
                                        ; implicit-def: $vgpr19
	s_waitcnt lgkmcnt(0)
	v_xor_b32_e32 v9, 0x80000000, v9
	ds_write_b64 v18, v[6:7] offset:16
	s_andn2_saveexec_b32 s3, s3
	s_cbranch_execnz .LBB50_132
.LBB50_93:
	s_or_b32 exec_lo, exec_lo, s3
	s_and_saveexec_b32 s3, s2
.LBB50_94:
	ds_write_b64 v23, v[8:9] offset:8
.LBB50_95:
	s_or_b32 exec_lo, exec_lo, s3
	s_mov_b32 s2, 0
                                        ; implicit-def: $vgpr19
	s_and_saveexec_b32 s3, s4
	s_xor_b32 s3, exec_lo, s3
	s_cbranch_execz .LBB50_99
; %bb.96:
	s_mov_b32 s4, exec_lo
                                        ; implicit-def: $vgpr19
	v_cmpx_eq_u32_e64 v20, v10
; %bb.97:
	v_add_nc_u32_e32 v19, v14, v16
	s_mov_b32 s2, exec_lo
; %bb.98:
	s_or_b32 exec_lo, exec_lo, s4
	s_and_b32 s2, s2, exec_lo
.LBB50_99:
	s_or_saveexec_b32 s3, s3
	v_mov_b32_e32 v8, 0
	v_mov_b32_e32 v9, 0
	s_xor_b32 exec_lo, exec_lo, s3
	s_cbranch_execz .LBB50_101
; %bb.100:
	ds_read_b128 v[6:9], v47 offset:528
	v_add_nc_u32_e32 v19, 32, v18
	s_or_b32 s2, s2, exec_lo
	s_waitcnt lgkmcnt(0)
	v_xor_b32_e32 v9, 0x80000000, v9
	ds_write_b64 v18, v[6:7] offset:32
.LBB50_101:
	s_or_b32 exec_lo, exec_lo, s3
	s_and_saveexec_b32 s3, s2
; %bb.102:
	ds_write_b64 v19, v[8:9] offset:8
; %bb.103:
	s_or_b32 exec_lo, exec_lo, s3
	s_mov_b32 s2, 0
                                        ; implicit-def: $vgpr19
	s_and_saveexec_b32 s3, s5
	s_xor_b32 s3, exec_lo, s3
	s_cbranch_execz .LBB50_107
; %bb.104:
	s_mov_b32 s4, exec_lo
                                        ; implicit-def: $vgpr19
	v_cmpx_eq_u32_e64 v21, v10
; %bb.105:
	v_add_nc_u32_e32 v19, v14, v16
	s_mov_b32 s2, exec_lo
; %bb.106:
	s_or_b32 exec_lo, exec_lo, s4
	s_and_b32 s2, s2, exec_lo
                                        ; implicit-def: $vgpr18
.LBB50_107:
	s_or_saveexec_b32 s3, s3
	v_mov_b32_e32 v8, 0
	v_mov_b32_e32 v9, 0
	s_xor_b32 exec_lo, exec_lo, s3
	s_cbranch_execz .LBB50_109
; %bb.108:
	ds_read_b128 v[6:9], v47 offset:1056
	v_add_nc_u32_e32 v19, 48, v18
	s_or_b32 s2, s2, exec_lo
	s_waitcnt lgkmcnt(0)
	v_xor_b32_e32 v9, 0x80000000, v9
	ds_write_b64 v18, v[6:7] offset:48
.LBB50_109:
	s_or_b32 exec_lo, exec_lo, s3
	v_add_nc_u32_e32 v16, 0x4700, v22
	s_and_saveexec_b32 s3, s2
; %bb.110:
	ds_write_b64 v19, v[8:9] offset:8
; %bb.111:
	s_or_b32 exec_lo, exec_lo, s3
	s_waitcnt lgkmcnt(0)
	s_barrier
	buffer_gl0_inv
	ds_read_b128 v[6:9], v34
	ds_read_b128 v[18:21], v16 offset:512
	ds_read_b128 v[22:25], v16 offset:528
	ds_read_b128 v[26:29], v47
	ds_read_b128 v[30:33], v47 offset:1056
	ds_read_b128 v[48:51], v16 offset:544
	;; [unrolled: 1-line block ×3, first 2 shown]
	v_cmp_eq_u32_e64 s2, 1, v13
	s_waitcnt lgkmcnt(5)
	v_mul_f64 v[35:36], v[20:21], v[8:9]
	v_mul_f64 v[8:9], v[18:19], v[8:9]
	s_waitcnt lgkmcnt(3)
	v_mul_f64 v[42:43], v[24:25], v[28:29]
	v_mul_f64 v[28:29], v[22:23], v[28:29]
	v_fma_f64 v[18:19], v[18:19], v[6:7], -v[35:36]
	v_fma_f64 v[20:21], v[20:21], v[6:7], v[8:9]
	s_waitcnt lgkmcnt(0)
	v_mul_f64 v[35:36], v[50:51], v[54:55]
	v_mul_f64 v[54:55], v[48:49], v[54:55]
	v_fma_f64 v[22:23], v[22:23], v[26:27], -v[42:43]
	v_fma_f64 v[24:25], v[24:25], v[26:27], v[28:29]
	ds_read_b128 v[6:9], v16 offset:560
	s_waitcnt lgkmcnt(0)
	s_barrier
	buffer_gl0_inv
	v_add_f64 v[18:19], v[18:19], 0
	v_add_f64 v[20:21], v[20:21], 0
	v_mul_f64 v[26:27], v[8:9], v[32:33]
	v_mul_f64 v[28:29], v[6:7], v[32:33]
	v_fma_f64 v[32:33], v[48:49], v[52:53], -v[35:36]
	v_fma_f64 v[35:36], v[50:51], v[52:53], v[54:55]
	v_add_f64 v[18:19], v[18:19], v[22:23]
	v_add_f64 v[20:21], v[20:21], v[24:25]
	v_fma_f64 v[6:7], v[6:7], v[30:31], -v[26:27]
	v_fma_f64 v[8:9], v[8:9], v[30:31], v[28:29]
	v_add_f64 v[18:19], v[18:19], v[32:33]
	v_add_f64 v[20:21], v[20:21], v[35:36]
	;; [unrolled: 1-line block ×4, first 2 shown]
	ds_write_b128 v46, v[6:9]
	s_waitcnt lgkmcnt(0)
	s_barrier
	buffer_gl0_inv
	s_and_saveexec_b32 s3, s2
	s_cbranch_execz .LBB50_113
; %bb.112:
	ds_read_b128 v[2:5], v45
	ds_read_b128 v[6:9], v45 offset:16
	s_waitcnt lgkmcnt(0)
	v_add_f64 v[18:19], v[6:7], v[2:3]
	v_add_f64 v[20:21], v[8:9], v[4:5]
	ds_read_b128 v[2:5], v45 offset:32
	ds_read_b128 v[6:9], v45 offset:48
	s_waitcnt lgkmcnt(1)
	v_add_f64 v[2:3], v[18:19], v[2:3]
	v_add_f64 v[4:5], v[20:21], v[4:5]
	s_waitcnt lgkmcnt(0)
	v_add_f64 v[18:19], v[2:3], v[6:7]
	v_add_f64 v[20:21], v[4:5], v[8:9]
	ds_read_b128 v[2:5], v45 offset:64
	ds_read_b128 v[6:9], v45 offset:80
	s_waitcnt lgkmcnt(1)
	v_add_f64 v[2:3], v[18:19], v[2:3]
	v_add_f64 v[4:5], v[20:21], v[4:5]
	;; [unrolled: 8-line block ×3, first 2 shown]
	s_waitcnt lgkmcnt(0)
	v_add_f64 v[2:3], v[2:3], v[6:7]
	v_add_f64 v[4:5], v[4:5], v[8:9]
.LBB50_113:
	s_or_b32 exec_lo, exec_lo, s3
	v_add_co_u32 v6, vcc_lo, 0xfffffe00, v11
	v_add_co_ci_u32_e64 v7, null, -1, v12, vcc_lo
	s_and_b32 vcc_lo, exec_lo, s19
	s_barrier
	buffer_gl0_inv
	s_cbranch_vccz .LBB50_135
; %bb.114:
	v_sub_co_u32 v8, vcc_lo, v6, v14
	s_ashr_i32 s9, s8, 31
	v_subrev_co_ci_u32_e64 v9, null, 0, v7, vcc_lo
	s_lshl_b64 s[4:5], s[8:9], 4
	s_sub_i32 s7, s8, 32
	v_add_co_u32 v8, vcc_lo, v8, s4
	v_add_co_ci_u32_e64 v9, null, s5, v9, vcc_lo
	v_cmp_le_i32_e64 s3, s7, v13
	v_add_co_u32 v8, vcc_lo, v8, -16
	v_add_co_ci_u32_e64 v9, null, -1, v9, vcc_lo
	v_cmp_gt_i32_e32 vcc_lo, s8, v10
	v_cndmask_b32_e32 v9, v9, v7, vcc_lo
	v_cndmask_b32_e32 v8, v8, v6, vcc_lo
	s_and_saveexec_b32 s9, s3
	s_xor_b32 s3, exec_lo, s9
	s_cbranch_execz .LBB50_116
; %bb.115:
	v_mov_b32_e32 v18, 0
	v_mov_b32_e32 v19, v18
	v_mov_b32_e32 v20, v18
	v_mov_b32_e32 v21, v18
	ds_write_b128 v17, v[18:21]
.LBB50_116:
	s_andn2_saveexec_b32 s3, s3
	s_cbranch_execz .LBB50_118
; %bb.117:
	flat_load_dwordx4 v[18:21], v[8:9]
	s_waitcnt vmcnt(0) lgkmcnt(0)
	ds_write2_b64 v17, v[18:19], v[20:21] offset1:1
.LBB50_118:
	s_or_b32 exec_lo, exec_lo, s3
	v_add_nc_u32_e32 v10, 8, v13
	v_add_nc_u32_e32 v18, v15, v14
	v_cmp_le_i32_e64 s3, s7, v10
	s_and_saveexec_b32 s9, s3
	s_xor_b32 s3, exec_lo, s9
	s_cbranch_execz .LBB50_120
; %bb.119:
	v_mov_b32_e32 v19, 0
	v_mov_b32_e32 v20, v19
	;; [unrolled: 1-line block ×4, first 2 shown]
	ds_write_b128 v18, v[19:22] offset:4224
.LBB50_120:
	s_andn2_saveexec_b32 s9, s3
	s_cbranch_execz .LBB50_122
; %bb.121:
	s_lshl_b32 s22, s12, 3
	s_ashr_i32 s23, s22, 31
	s_lshl_b64 s[22:23], s[22:23], 4
	v_add_co_u32 v11, s3, v8, s22
	v_add_co_ci_u32_e64 v12, null, s23, v9, s3
	flat_load_dwordx4 v[19:22], v[11:12]
	v_add3_u32 v11, v15, v14, 0x1080
	s_waitcnt vmcnt(0) lgkmcnt(0)
	ds_write2_b64 v11, v[19:20], v[21:22] offset1:1
.LBB50_122:
	s_or_b32 exec_lo, exec_lo, s9
	v_add_nc_u32_e32 v12, 16, v13
	v_cmp_le_i32_e64 s3, s7, v12
	s_and_saveexec_b32 s9, s3
	s_xor_b32 s3, exec_lo, s9
	s_cbranch_execz .LBB50_124
; %bb.123:
	v_mov_b32_e32 v19, 0
	v_mov_b32_e32 v20, v19
	;; [unrolled: 1-line block ×4, first 2 shown]
	ds_write_b128 v18, v[19:22] offset:8448
.LBB50_124:
	s_andn2_saveexec_b32 s9, s3
	s_cbranch_execz .LBB50_126
; %bb.125:
	s_lshl_b32 s22, s12, 4
	v_add3_u32 v11, v15, v14, 0x2100
	s_ashr_i32 s23, s22, 31
	s_lshl_b64 s[22:23], s[22:23], 4
	v_add_co_u32 v19, s3, v8, s22
	v_add_co_ci_u32_e64 v20, null, s23, v9, s3
	flat_load_dwordx4 v[19:22], v[19:20]
	s_waitcnt vmcnt(0) lgkmcnt(0)
	ds_write2_b64 v11, v[19:20], v[21:22] offset1:1
.LBB50_126:
	s_or_b32 exec_lo, exec_lo, s9
	v_add_nc_u32_e32 v11, 24, v13
	v_cmp_le_i32_e64 s3, s7, v11
	s_and_saveexec_b32 s7, s3
	s_xor_b32 s3, exec_lo, s7
	s_cbranch_execz .LBB50_128
; %bb.127:
	v_mov_b32_e32 v19, 0
                                        ; implicit-def: $vgpr15
	v_mov_b32_e32 v20, v19
	v_mov_b32_e32 v21, v19
	;; [unrolled: 1-line block ×3, first 2 shown]
	ds_write_b128 v18, v[19:22] offset:12672
.LBB50_128:
	s_andn2_saveexec_b32 s7, s3
	s_cbranch_execz .LBB50_130
; %bb.129:
	s_mul_i32 s22, s12, 24
	v_add3_u32 v15, v15, v14, 0x3180
	s_ashr_i32 s23, s22, 31
	s_lshl_b64 s[22:23], s[22:23], 4
	v_add_co_u32 v18, s3, v8, s22
	v_add_co_ci_u32_e64 v19, null, s23, v9, s3
	flat_load_dwordx4 v[18:21], v[18:19]
	s_waitcnt vmcnt(0) lgkmcnt(0)
	ds_write2_b64 v15, v[18:19], v[20:21] offset1:1
.LBB50_130:
	s_or_b32 exec_lo, exec_lo, s7
	v_add_co_u32 v8, s3, v8, v14
	v_add_co_ci_u32_e64 v9, null, 0, v9, s3
	v_sub_co_u32 v8, s3, v8, s4
	v_subrev_co_ci_u32_e64 v9, null, s5, v9, s3
	v_add_co_u32 v8, s3, v8, 16
	v_add_co_ci_u32_e64 v9, null, 0, v9, s3
	v_cndmask_b32_e32 v42, v8, v6, vcc_lo
	v_cndmask_b32_e32 v43, v9, v7, vcc_lo
	s_branch .LBB50_137
.LBB50_131:
	s_andn2_saveexec_b32 s3, s3
	s_cbranch_execz .LBB50_93
.LBB50_132:
	s_mov_b32 s7, s2
	s_mov_b32 s9, exec_lo
                                        ; implicit-def: $vgpr23
	v_cmpx_eq_u32_e64 v19, v10
; %bb.133:
	v_add_nc_u32_e32 v23, v14, v16
	s_or_b32 s7, s2, exec_lo
; %bb.134:
	s_or_b32 exec_lo, exec_lo, s9
	v_mov_b32_e32 v8, 0
	v_mov_b32_e32 v9, 0
	s_andn2_b32 s2, s2, exec_lo
	s_and_b32 s7, s7, exec_lo
	s_or_b32 s2, s2, s7
	s_or_b32 exec_lo, exec_lo, s3
	s_and_saveexec_b32 s3, s2
	s_cbranch_execnz .LBB50_94
	s_branch .LBB50_95
.LBB50_135:
                                        ; implicit-def: $vgpr42_vgpr43
                                        ; implicit-def: $vgpr10
                                        ; implicit-def: $vgpr12
                                        ; implicit-def: $vgpr11
	s_cbranch_execz .LBB50_137
; %bb.136:
	flat_load_dwordx4 v[8:11], v[6:7]
	s_lshl_b32 s4, s12, 3
	s_ashr_i32 s13, s12, 31
	s_ashr_i32 s5, s4, 31
	v_add_nc_u32_e32 v12, 0x1080, v17
	s_lshl_b64 s[4:5], s[4:5], 4
	v_mov_b32_e32 v43, v7
	v_add_co_u32 v14, vcc_lo, v6, s4
	v_add_co_ci_u32_e64 v15, null, s5, v7, vcc_lo
	s_lshl_b64 s[4:5], s[12:13], 7
	v_mov_b32_e32 v42, v6
	s_waitcnt vmcnt(0) lgkmcnt(0)
	ds_write2_b64 v17, v[8:9], v[10:11] offset1:1
	flat_load_dwordx4 v[8:11], v[14:15]
	v_add_co_u32 v14, vcc_lo, v14, s4
	v_add_co_ci_u32_e64 v15, null, s5, v15, vcc_lo
	s_waitcnt vmcnt(0) lgkmcnt(0)
	ds_write2_b64 v12, v[8:9], v[10:11] offset1:1
	flat_load_dwordx4 v[8:11], v[14:15]
	v_add_co_u32 v14, vcc_lo, v14, s4
	v_add_nc_u32_e32 v12, 0x2100, v17
	v_add_co_ci_u32_e64 v15, null, s5, v15, vcc_lo
	s_waitcnt vmcnt(0) lgkmcnt(0)
	ds_write2_b64 v12, v[8:9], v[10:11] offset1:1
	flat_load_dwordx4 v[18:21], v[14:15]
	v_add_nc_u32_e32 v10, 8, v13
	v_add_nc_u32_e32 v12, 16, v13
	;; [unrolled: 1-line block ×4, first 2 shown]
	s_waitcnt vmcnt(0) lgkmcnt(0)
	ds_write2_b64 v8, v[18:19], v[20:21] offset1:1
.LBB50_137:
	v_lshlrev_b32_e32 v13, 4, v13
	s_waitcnt lgkmcnt(0)
	s_barrier
	buffer_gl0_inv
	v_lshlrev_b32_e32 v10, 4, v10
	v_add_nc_u32_e32 v6, v45, v13
	ds_read_b128 v[6:9], v6
	ds_read_b128 v[17:20], v13 offset:18176
	v_add_nc_u32_e32 v13, v45, v10
	ds_read_b128 v[21:24], v13
	ds_read_b128 v[25:28], v10 offset:18176
	v_lshlrev_b32_e32 v10, 4, v12
	v_add_nc_u32_e32 v12, v45, v10
	ds_read_b128 v[12:15], v12
	ds_read_b128 v[29:32], v10 offset:18176
	v_lshlrev_b32_e32 v10, 4, v11
	s_waitcnt lgkmcnt(4)
	v_mul_f64 v[35:36], v[8:9], v[19:20]
	v_mul_f64 v[8:9], v[8:9], v[17:18]
	s_waitcnt lgkmcnt(2)
	v_mul_f64 v[48:49], v[23:24], v[27:28]
	v_mul_f64 v[23:24], v[23:24], v[25:26]
	v_fma_f64 v[35:36], v[6:7], v[17:18], v[35:36]
	v_fma_f64 v[50:51], v[6:7], v[19:20], -v[8:9]
	v_add_nc_u32_e32 v6, v45, v10
	ds_read_b128 v[6:9], v6
	ds_read_b128 v[17:20], v10 offset:18176
	s_waitcnt lgkmcnt(2)
	v_mul_f64 v[10:11], v[14:15], v[31:32]
	v_mul_f64 v[14:15], v[14:15], v[29:30]
	v_fma_f64 v[25:26], v[21:22], v[25:26], v[48:49]
	v_fma_f64 v[21:22], v[21:22], v[27:28], -v[23:24]
	v_add_f64 v[23:24], v[35:36], 0
	v_add_f64 v[27:28], v[50:51], 0
	s_waitcnt lgkmcnt(0)
	v_mul_f64 v[35:36], v[8:9], v[19:20]
	v_mul_f64 v[8:9], v[8:9], v[17:18]
	v_fma_f64 v[10:11], v[12:13], v[29:30], v[10:11]
	v_fma_f64 v[12:13], v[12:13], v[31:32], -v[14:15]
	v_add_f64 v[14:15], v[23:24], v[25:26]
	v_add_f64 v[21:22], v[27:28], v[21:22]
	v_fma_f64 v[17:18], v[6:7], v[17:18], v[35:36]
	v_fma_f64 v[6:7], v[6:7], v[19:20], -v[8:9]
	v_add_f64 v[8:9], v[14:15], v[10:11]
	v_add_f64 v[10:11], v[21:22], v[12:13]
	ds_read_b128 v[30:33], v16 offset:512
	ds_read_b128 v[22:25], v16 offset:528
	v_add_f64 v[48:49], v[8:9], v[17:18]
	v_add_f64 v[50:51], v[10:11], v[6:7]
	ds_read_b128 v[10:13], v16 offset:544
	ds_read_b128 v[6:9], v16 offset:560
	ds_read_b128 v[26:29], v47
	ds_read_b128 v[18:21], v47 offset:528
	ds_read_b128 v[34:37], v34
	ds_read_b128 v[14:17], v47 offset:1056
	s_waitcnt lgkmcnt(0)
	s_barrier
	buffer_gl0_inv
	ds_write_b128 v46, v[48:51]
	s_waitcnt lgkmcnt(0)
	s_barrier
	buffer_gl0_inv
	s_and_saveexec_b32 s3, s2
	s_cbranch_execz .LBB50_139
; %bb.138:
	ds_read_b128 v[47:50], v45
	ds_read_b128 v[51:54], v45 offset:16
	s_waitcnt lgkmcnt(1)
	v_add_f64 v[2:3], v[2:3], v[47:48]
	v_add_f64 v[4:5], v[4:5], v[49:50]
	s_waitcnt lgkmcnt(0)
	v_add_f64 v[51:52], v[2:3], v[51:52]
	v_add_f64 v[53:54], v[4:5], v[53:54]
	ds_read_b128 v[2:5], v45 offset:32
	ds_read_b128 v[47:50], v45 offset:48
	s_waitcnt lgkmcnt(1)
	v_add_f64 v[2:3], v[51:52], v[2:3]
	v_add_f64 v[4:5], v[53:54], v[4:5]
	s_waitcnt lgkmcnt(0)
	v_add_f64 v[51:52], v[2:3], v[47:48]
	v_add_f64 v[53:54], v[4:5], v[49:50]
	ds_read_b128 v[2:5], v45 offset:64
	ds_read_b128 v[47:50], v45 offset:80
	s_waitcnt lgkmcnt(1)
	v_add_f64 v[2:3], v[51:52], v[2:3]
	v_add_f64 v[4:5], v[53:54], v[4:5]
	s_waitcnt lgkmcnt(0)
	v_add_f64 v[51:52], v[2:3], v[47:48]
	v_add_f64 v[53:54], v[4:5], v[49:50]
	ds_read_b128 v[2:5], v45 offset:96
	ds_read_b128 v[47:50], v45 offset:112
	s_waitcnt lgkmcnt(1)
	v_add_f64 v[2:3], v[51:52], v[2:3]
	v_add_f64 v[4:5], v[53:54], v[4:5]
	s_waitcnt lgkmcnt(0)
	v_add_f64 v[2:3], v[2:3], v[47:48]
	v_add_f64 v[4:5], v[4:5], v[49:50]
.LBB50_139:
	s_or_b32 exec_lo, exec_lo, s3
	v_mul_f64 v[47:48], v[32:33], v[36:37]
	v_mul_f64 v[36:37], v[30:31], v[36:37]
	;; [unrolled: 1-line block ×4, first 2 shown]
	s_barrier
	buffer_gl0_inv
	v_fma_f64 v[30:31], v[30:31], v[34:35], -v[47:48]
	v_fma_f64 v[32:33], v[32:33], v[34:35], v[36:37]
	v_mul_f64 v[34:35], v[12:13], v[20:21]
	v_mul_f64 v[20:21], v[10:11], v[20:21]
	v_fma_f64 v[22:23], v[22:23], v[26:27], -v[49:50]
	v_fma_f64 v[24:25], v[24:25], v[26:27], v[28:29]
	v_add_f64 v[26:27], v[30:31], 0
	v_add_f64 v[28:29], v[32:33], 0
	v_mul_f64 v[30:31], v[8:9], v[16:17]
	v_mul_f64 v[16:17], v[6:7], v[16:17]
	v_fma_f64 v[10:11], v[10:11], v[18:19], -v[34:35]
	v_fma_f64 v[12:13], v[12:13], v[18:19], v[20:21]
	v_add_f64 v[18:19], v[26:27], v[22:23]
	v_add_f64 v[20:21], v[28:29], v[24:25]
	v_fma_f64 v[6:7], v[6:7], v[14:15], -v[30:31]
	v_fma_f64 v[8:9], v[8:9], v[14:15], v[16:17]
	v_add_f64 v[10:11], v[18:19], v[10:11]
	v_add_f64 v[12:13], v[20:21], v[12:13]
	;; [unrolled: 1-line block ×4, first 2 shown]
	ds_write_b128 v46, v[6:9]
	s_waitcnt lgkmcnt(0)
	s_barrier
	buffer_gl0_inv
	s_and_saveexec_b32 s2, s1
	s_cbranch_execz .LBB50_141
; %bb.140:
	ds_read_b128 v[6:9], v45
	ds_read_b128 v[10:13], v45 offset:16
	s_waitcnt lgkmcnt(1)
	v_add_f64 v[2:3], v[2:3], v[6:7]
	v_add_f64 v[4:5], v[4:5], v[8:9]
	s_waitcnt lgkmcnt(0)
	v_add_f64 v[10:11], v[2:3], v[10:11]
	v_add_f64 v[12:13], v[4:5], v[12:13]
	ds_read_b128 v[2:5], v45 offset:32
	ds_read_b128 v[6:9], v45 offset:48
	s_waitcnt lgkmcnt(1)
	v_add_f64 v[2:3], v[10:11], v[2:3]
	v_add_f64 v[4:5], v[12:13], v[4:5]
	s_waitcnt lgkmcnt(0)
	v_add_f64 v[10:11], v[2:3], v[6:7]
	v_add_f64 v[12:13], v[4:5], v[8:9]
	ds_read_b128 v[2:5], v45 offset:64
	;; [unrolled: 8-line block ×3, first 2 shown]
	ds_read_b128 v[6:9], v45 offset:112
	s_waitcnt lgkmcnt(1)
	v_add_f64 v[2:3], v[10:11], v[2:3]
	v_add_f64 v[4:5], v[12:13], v[4:5]
	s_waitcnt lgkmcnt(0)
	v_add_f64 v[2:3], v[2:3], v[6:7]
	v_add_f64 v[4:5], v[4:5], v[8:9]
.LBB50_141:
	s_or_b32 exec_lo, exec_lo, s2
	s_mul_hi_u32 s1, s17, s16
	s_mul_i32 s28, s28, s16
	s_mul_i32 s2, s17, s16
	s_add_i32 s1, s1, s28
	s_mul_hi_u32 s3, s2, s24
	s_mul_i32 s1, s1, s24
	s_mul_i32 s2, s2, s24
	s_add_i32 s3, s3, s1
	s_mul_hi_i32 s5, s17, s6
	s_lshl_b64 s[2:3], s[2:3], 4
	s_mul_i32 s4, s17, s6
	s_add_u32 s1, s10, s2
	s_addc_u32 s9, s11, s3
	s_lshl_b64 s[2:3], s[4:5], 4
	v_lshlrev_b32_e32 v170, 4, v0
	s_add_u32 s7, s1, s2
	s_addc_u32 s9, s9, s3
	s_add_i32 s2, s6, 1
	s_cmp_ge_u32 s2, s24
	s_barrier
	buffer_gl0_inv
	s_cbranch_scc1 .LBB50_199
; %bb.142:
	v_lshlrev_b32_e32 v171, 2, v1
	v_lshrrev_b32_e32 v8, 4, v44
	s_mul_i32 s4, s27, s18
	v_and_b32_e32 v9, 15, v0
	v_and_b32_e32 v11, 48, v0
	v_mad_u64_u32 v[6:7], null, s12, v171, v[0:1]
	v_lshlrev_b32_e32 v10, 6, v8
	s_ashr_i32 s5, s4, 31
	v_mul_i32_i24_e32 v12, 0xffffffd0, v8
	s_lshl_b64 s[4:5], s[4:5], 4
	s_lshl_b32 s16, s12, 4
	v_mad_u32_u24 v178, 0x430, v9, v10
	v_ashrrev_i32_e32 v7, 31, v6
	v_lshlrev_b32_e32 v10, 4, v11
	v_or_b32_e32 v11, 0xf0, v170
	v_sub_co_u32 v172, vcc_lo, v38, s4
	v_subrev_co_ci_u32_e64 v173, null, s5, v39, vcc_lo
	v_add_co_u32 v8, vcc_lo, s20, v6
	v_mad_u32_u24 v179, 0x430, v9, v10
	v_mad_u32_u24 v180, 0x430, v9, v11
	v_add_co_ci_u32_e64 v9, null, s21, v7, vcc_lo
	s_ashr_i32 s13, s12, 31
	v_lshlrev_b64 v[6:7], 4, v[6:7]
	s_lshl_b32 s23, s27, 6
	v_lshlrev_b64 v[8:9], 4, v[8:9]
	s_lshl_b32 s18, s12, 1
	s_mul_i32 s28, s12, 3
	s_mul_i32 s27, s27, s2
	s_lshl_b64 s[20:21], s[12:13], 5
	s_add_i32 s22, s24, -2
	v_mad_i64_i32 v[10:11], null, s16, 48, v[8:9]
	s_ashr_i32 s17, s16, 31
	s_ashr_i32 s19, s18, 31
	;; [unrolled: 1-line block ×3, first 2 shown]
	s_lshl_b64 s[2:3], s[12:13], 4
	s_lshl_b32 s4, s27, 6
	v_sub_co_u32 v195, vcc_lo, 0, v40
	s_add_u32 s5, s20, s14
	v_sub_co_ci_u32_e64 v196, null, 0, v41, vcc_lo
	s_addc_u32 s27, s21, s15
	v_add_co_u32 v13, vcc_lo, s5, v6
	s_mul_i32 s30, s12, 0x300
	s_lshl_b64 s[12:13], s[28:29], 4
	s_lshl_b64 s[10:11], s[16:17], 6
	v_add_co_ci_u32_e64 v14, null, s27, v7, vcc_lo
	v_add_co_u32 v15, vcc_lo, v10, s12
	s_add_u32 s33, s2, s14
	v_add_co_ci_u32_e64 v16, null, s13, v11, vcc_lo
	s_addc_u32 s34, s3, s15
	v_add_co_u32 v17, vcc_lo, s33, v6
	s_lshl_b64 s[18:19], s[18:19], 4
	v_add_co_ci_u32_e64 v18, null, s34, v7, vcc_lo
	v_add_co_u32 v19, vcc_lo, v10, s18
	v_add_co_ci_u32_e64 v20, null, s19, v11, vcc_lo
	v_add_co_u32 v21, vcc_lo, s14, v6
	;; [unrolled: 2-line block ×3, first 2 shown]
	s_add_u32 s28, s14, s18
	v_add_co_ci_u32_e64 v198, null, v43, v11, vcc_lo
	s_addc_u32 s29, s15, s19
	v_add_co_u32 v23, vcc_lo, s28, v6
	v_add_co_ci_u32_e64 v24, null, s29, v7, vcc_lo
	v_add_co_u32 v10, vcc_lo, v10, s2
	s_add_u32 s35, s14, s12
	s_addc_u32 s36, s15, s13
	s_lshl_b64 s[28:29], s[16:17], 4
	v_add_co_ci_u32_e64 v11, null, s3, v11, vcc_lo
	v_add_co_u32 v25, vcc_lo, s35, v6
	s_add_u32 s35, s5, s28
	s_mul_hi_i32 s31, s16, 48
	v_add_co_ci_u32_e64 v26, null, s36, v7, vcc_lo
	s_addc_u32 s36, s27, s29
	v_add_co_u32 v27, vcc_lo, s35, v6
	s_add_u32 s20, s30, s20
	s_addc_u32 s21, s31, s21
	s_lshl_b64 s[16:17], s[16:17], 5
	v_add_co_ci_u32_e64 v28, null, s36, v7, vcc_lo
	v_add_co_u32 v8, vcc_lo, s20, v8
	s_add_u32 s20, s16, s14
	v_add_co_ci_u32_e64 v9, null, s21, v9, vcc_lo
	s_addc_u32 s21, s17, s15
	s_add_u32 s30, s20, s12
	s_addc_u32 s31, s21, s13
	v_add_co_u32 v29, vcc_lo, s30, v6
	s_add_u32 s30, s33, s28
	v_add_co_ci_u32_e64 v30, null, s31, v7, vcc_lo
	s_addc_u32 s31, s34, s29
	v_add_co_u32 v31, vcc_lo, s30, v6
	s_add_u32 s30, s20, s18
	v_add_co_ci_u32_e64 v32, null, s31, v7, vcc_lo
	;; [unrolled: 4-line block ×3, first 2 shown]
	s_addc_u32 s15, s15, s29
	v_add_co_u32 v35, vcc_lo, s14, v6
	v_add_co_ci_u32_e64 v36, null, s15, v7, vcc_lo
	v_add_co_u32 v37, vcc_lo, s20, v6
	s_add_u32 s18, s14, s18
	s_addc_u32 s19, s15, s19
	v_add_co_ci_u32_e64 v38, null, s21, v7, vcc_lo
	v_add_co_u32 v39, vcc_lo, s18, v6
	s_add_u32 s2, s20, s2
	v_add_co_ci_u32_e64 v40, null, s19, v7, vcc_lo
	s_addc_u32 s3, s21, s3
	v_add_co_u32 v41, vcc_lo, s2, v6
	s_add_u32 s2, s14, s12
	v_cmp_gt_u32_e64 s1, 64, v44
	v_add_co_ci_u32_e64 v44, null, s3, v7, vcc_lo
	s_addc_u32 s3, s15, s13
	v_add_co_u32 v45, vcc_lo, s2, v6
	s_add_u32 s2, s5, s16
	v_add_co_ci_u32_e64 v46, null, s3, v7, vcc_lo
	s_addc_u32 s3, s27, s17
	v_add_co_u32 v6, vcc_lo, s2, v6
	v_add_co_ci_u32_e64 v7, null, s3, v7, vcc_lo
	v_add_co_u32 v200, vcc_lo, v42, v13
	v_add_co_ci_u32_e64 v201, null, v43, v14, vcc_lo
	;; [unrolled: 2-line block ×19, first 2 shown]
	v_add_co_u32 v236, vcc_lo, v42, v6
	v_add_nc_u32_e32 v174, 0x4300, v170
	v_lshl_add_u32 v175, v1, 6, 0x4300
	v_add_nc_u32_e32 v176, 0x4700, v170
	v_mad_u32_u24 v177, 0x10c0, v1, v170
	v_or_b32_e32 v181, 1, v171
	v_or_b32_e32 v182, 2, v171
	;; [unrolled: 1-line block ×3, first 2 shown]
	v_add_nc_u32_e32 v184, 16, v171
	v_add_nc_u32_e32 v185, 17, v171
	;; [unrolled: 1-line block ×12, first 2 shown]
	v_add_co_ci_u32_e64 v237, null, v43, v7, vcc_lo
	v_add_nc_u32_e32 v168, 64, v167
	v_add_nc_u32_e32 v238, v178, v12
	v_mov_b32_e32 v6, 0
	s_cmp_eq_u32 s22, s6
	s_cselect_b32 s3, s25, 0
	s_and_saveexec_b32 s2, s0
	s_cbranch_execz .LBB50_148
	s_branch .LBB50_144
.LBB50_143:                             ;   in Loop: Header=BB50_148 Depth=1
	s_mov_b32 s6, s2
	s_cmp_eq_u32 s22, s6
	s_cselect_b32 s3, s25, 0
	s_and_saveexec_b32 s2, s0
	s_cbranch_execz .LBB50_148
.LBB50_144:
	v_cmp_le_i32_e32 vcc_lo, s3, v0
	s_cmp_lg_u32 s3, 0
	s_cselect_b32 s5, -1, 0
	s_and_b32 s5, s5, vcc_lo
	s_and_saveexec_b32 s12, s5
	s_xor_b32 s5, exec_lo, s12
	s_cbranch_execz .LBB50_146
; %bb.145:
	v_mov_b32_e32 v7, v6
	v_mov_b32_e32 v8, v6
	;; [unrolled: 1-line block ×3, first 2 shown]
	ds_write_b128 v174, v[6:9]
.LBB50_146:
	s_andn2_saveexec_b32 s5, s5
	s_cbranch_execz .LBB50_148
; %bb.147:
	s_ashr_i32 s5, s4, 31
	s_lshl_b64 s[12:13], s[4:5], 4
	v_add_co_u32 v7, vcc_lo, v172, s12
	v_add_co_ci_u32_e64 v8, null, s13, v173, vcc_lo
	flat_load_dwordx4 v[7:10], v[7:8]
	s_waitcnt vmcnt(0) lgkmcnt(0)
	ds_write2_b64 v174, v[7:8], v[9:10] offset1:1
.LBB50_148:                             ; =>This Inner Loop Header: Depth=1
	s_or_b32 exec_lo, exec_lo, s2
	s_cmp_eq_u32 s3, 0
	v_add_co_u32 v19, vcc_lo, v208, v195
	s_cselect_b32 s5, -1, 0
	s_cmp_lg_u32 s3, 0
	v_add_co_ci_u32_e64 v20, null, v209, v196, vcc_lo
	s_cselect_b32 s2, -1, 0
	s_waitcnt lgkmcnt(0)
	s_and_b32 vcc_lo, exec_lo, s2
	s_barrier
	buffer_gl0_inv
	s_cbranch_vccz .LBB50_156
; %bb.149:                              ;   in Loop: Header=BB50_148 Depth=1
	v_mov_b32_e32 v7, 0
	v_mov_b32_e32 v11, 0
	;; [unrolled: 1-line block ×6, first 2 shown]
	s_mov_b32 s12, exec_lo
	v_cmpx_gt_i32_e64 s3, v171
	s_cbranch_execz .LBB50_151
; %bb.150:                              ;   in Loop: Header=BB50_148 Depth=1
	flat_load_dwordx4 v[11:14], v[19:20]
.LBB50_151:                             ;   in Loop: Header=BB50_148 Depth=1
	s_or_b32 exec_lo, exec_lo, s12
	v_mov_b32_e32 v9, 0
	v_mov_b32_e32 v10, 0
	s_mov_b32 s12, exec_lo
	v_cmpx_gt_i32_e64 s3, v181
	s_cbranch_execz .LBB50_153
; %bb.152:                              ;   in Loop: Header=BB50_148 Depth=1
	v_add_co_u32 v7, vcc_lo, v204, v195
	v_add_co_ci_u32_e64 v8, null, v205, v196, vcc_lo
	flat_load_dwordx4 v[7:10], v[7:8]
.LBB50_153:                             ;   in Loop: Header=BB50_148 Depth=1
	s_or_b32 exec_lo, exec_lo, s12
	v_mov_b32_e32 v15, 0
	v_mov_b32_e32 v17, 0
	;; [unrolled: 1-line block ×4, first 2 shown]
	s_mov_b32 s12, exec_lo
	v_cmpx_gt_i32_e64 s3, v182
	s_cbranch_execz .LBB50_155
; %bb.154:                              ;   in Loop: Header=BB50_148 Depth=1
	v_add_co_u32 v15, vcc_lo, v210, v195
	v_add_co_ci_u32_e64 v16, null, v211, v196, vcc_lo
	flat_load_dwordx4 v[15:18], v[15:16]
.LBB50_155:                             ;   in Loop: Header=BB50_148 Depth=1
	s_or_b32 exec_lo, exec_lo, s12
	v_cmp_gt_i32_e64 s12, s3, v183
	s_branch .LBB50_158
.LBB50_156:                             ;   in Loop: Header=BB50_148 Depth=1
	s_mov_b32 s12, 0
                                        ; implicit-def: $vgpr17_vgpr18
                                        ; implicit-def: $vgpr9_vgpr10
                                        ; implicit-def: $vgpr13_vgpr14
	s_cbranch_execz .LBB50_158
; %bb.157:                              ;   in Loop: Header=BB50_148 Depth=1
	s_waitcnt vmcnt(0) lgkmcnt(0)
	v_add_co_u32 v7, vcc_lo, v204, v195
	v_add_co_ci_u32_e64 v8, null, v205, v196, vcc_lo
	v_add_co_u32 v15, vcc_lo, v200, v195
	v_add_co_ci_u32_e64 v16, null, v201, v196, vcc_lo
	flat_load_dwordx4 v[11:14], v[19:20]
	flat_load_dwordx4 v[7:10], v[7:8]
	;; [unrolled: 1-line block ×3, first 2 shown]
	s_or_b32 s12, s12, exec_lo
.LBB50_158:                             ;   in Loop: Header=BB50_148 Depth=1
	v_mov_b32_e32 v19, 0
	v_mov_b32_e32 v21, 0
	;; [unrolled: 1-line block ×4, first 2 shown]
	s_and_saveexec_b32 s13, s12
	s_cbranch_execz .LBB50_160
; %bb.159:                              ;   in Loop: Header=BB50_148 Depth=1
	v_add_co_u32 v19, vcc_lo, v214, v195
	v_add_co_ci_u32_e64 v20, null, v215, v196, vcc_lo
	flat_load_dwordx4 v[19:22], v[19:20]
.LBB50_160:                             ;   in Loop: Header=BB50_148 Depth=1
	s_or_b32 exec_lo, exec_lo, s13
	ds_read_b128 v[23:26], v176
	v_cndmask_b32_e64 v95, 0, 1, s2
	s_waitcnt vmcnt(0) lgkmcnt(0)
	v_mul_f64 v[27:28], v[13:14], v[25:26]
	v_mul_f64 v[29:30], v[13:14], v[23:24]
	;; [unrolled: 1-line block ×8, first 2 shown]
	v_fma_f64 v[39:40], v[11:12], v[23:24], v[27:28]
	v_fma_f64 v[41:42], v[11:12], v[25:26], -v[29:30]
	v_fma_f64 v[43:44], v[7:8], v[23:24], v[31:32]
	v_fma_f64 v[45:46], v[7:8], v[25:26], -v[33:34]
	;; [unrolled: 2-line block ×4, first 2 shown]
	ds_read_b128 v[35:38], v175
	ds_read_b128 v[31:34], v175 offset:16
	ds_read_b128 v[27:30], v175 offset:32
	;; [unrolled: 1-line block ×3, first 2 shown]
	ds_write_b128 v177, v[39:42]
	ds_write_b128 v177, v[43:46] offset:1072
	ds_write_b128 v177, v[47:50] offset:2144
	;; [unrolled: 1-line block ×3, first 2 shown]
	s_waitcnt lgkmcnt(0)
	s_barrier
	buffer_gl0_inv
	ds_read_b128 v[131:134], v178
	ds_read_b128 v[127:130], v178 offset:16
	ds_read_b128 v[123:126], v178 offset:32
	;; [unrolled: 1-line block ×3, first 2 shown]
	v_add_co_u32 v51, vcc_lo, v226, v195
	v_add_co_ci_u32_e64 v52, null, v227, v196, vcc_lo
	s_andn2_b32 vcc_lo, exec_lo, s2
	s_waitcnt lgkmcnt(0)
	s_barrier
	buffer_gl0_inv
	s_cbranch_vccnz .LBB50_168
; %bb.161:                              ;   in Loop: Header=BB50_148 Depth=1
	v_mov_b32_e32 v39, 0
	v_mov_b32_e32 v43, 0
	;; [unrolled: 1-line block ×6, first 2 shown]
	s_mov_b32 s2, exec_lo
	v_cmpx_gt_i32_e64 s3, v184
	s_cbranch_execz .LBB50_163
; %bb.162:                              ;   in Loop: Header=BB50_148 Depth=1
	flat_load_dwordx4 v[43:46], v[51:52]
.LBB50_163:                             ;   in Loop: Header=BB50_148 Depth=1
	s_or_b32 exec_lo, exec_lo, s2
	v_mov_b32_e32 v41, 0
	v_mov_b32_e32 v42, 0
	s_mov_b32 s2, exec_lo
	v_cmpx_gt_i32_e64 s3, v185
	s_cbranch_execz .LBB50_165
; %bb.164:                              ;   in Loop: Header=BB50_148 Depth=1
	v_add_co_u32 v39, vcc_lo, v222, v195
	v_add_co_ci_u32_e64 v40, null, v223, v196, vcc_lo
	flat_load_dwordx4 v[39:42], v[39:40]
.LBB50_165:                             ;   in Loop: Header=BB50_148 Depth=1
	s_or_b32 exec_lo, exec_lo, s2
	v_mov_b32_e32 v47, 0
	v_mov_b32_e32 v49, 0
	;; [unrolled: 1-line block ×4, first 2 shown]
	s_mov_b32 s2, exec_lo
	v_cmpx_gt_i32_e64 s3, v186
	s_cbranch_execz .LBB50_167
; %bb.166:                              ;   in Loop: Header=BB50_148 Depth=1
	v_add_co_u32 v47, vcc_lo, v230, v195
	v_add_co_ci_u32_e64 v48, null, v231, v196, vcc_lo
	flat_load_dwordx4 v[47:50], v[47:48]
.LBB50_167:                             ;   in Loop: Header=BB50_148 Depth=1
	s_or_b32 exec_lo, exec_lo, s2
	v_cmp_gt_i32_e64 s2, s3, v187
	s_branch .LBB50_170
.LBB50_168:                             ;   in Loop: Header=BB50_148 Depth=1
	s_mov_b32 s2, 0
                                        ; implicit-def: $vgpr49_vgpr50
                                        ; implicit-def: $vgpr41_vgpr42
                                        ; implicit-def: $vgpr45_vgpr46
	s_cbranch_execz .LBB50_170
; %bb.169:                              ;   in Loop: Header=BB50_148 Depth=1
	s_waitcnt vmcnt(0) lgkmcnt(0)
	v_add_co_u32 v39, vcc_lo, v222, v195
	v_add_co_ci_u32_e64 v40, null, v223, v196, vcc_lo
	v_add_co_u32 v47, vcc_lo, v216, v195
	v_add_co_ci_u32_e64 v48, null, v217, v196, vcc_lo
	flat_load_dwordx4 v[43:46], v[51:52]
	flat_load_dwordx4 v[39:42], v[39:40]
	;; [unrolled: 1-line block ×3, first 2 shown]
	s_or_b32 s2, s2, exec_lo
.LBB50_170:                             ;   in Loop: Header=BB50_148 Depth=1
	v_mov_b32_e32 v51, 0
	v_mov_b32_e32 v53, 0
	;; [unrolled: 1-line block ×4, first 2 shown]
	s_and_saveexec_b32 s12, s2
	s_cbranch_execz .LBB50_172
; %bb.171:                              ;   in Loop: Header=BB50_148 Depth=1
	v_add_co_u32 v51, vcc_lo, v234, v195
	v_add_co_ci_u32_e64 v52, null, v235, v196, vcc_lo
	flat_load_dwordx4 v[51:54], v[51:52]
.LBB50_172:                             ;   in Loop: Header=BB50_148 Depth=1
	s_or_b32 exec_lo, exec_lo, s12
	ds_read_b128 v[55:58], v176
	v_cmp_ne_u32_e32 vcc_lo, 1, v95
	s_and_b32 vcc_lo, exec_lo, vcc_lo
	s_waitcnt vmcnt(0) lgkmcnt(0)
	v_mul_f64 v[59:60], v[45:46], v[57:58]
	v_mul_f64 v[61:62], v[45:46], v[55:56]
	;; [unrolled: 1-line block ×8, first 2 shown]
	v_fma_f64 v[71:72], v[43:44], v[55:56], v[59:60]
	v_fma_f64 v[73:74], v[43:44], v[57:58], -v[61:62]
	v_fma_f64 v[75:76], v[39:40], v[55:56], v[63:64]
	v_fma_f64 v[77:78], v[39:40], v[57:58], -v[65:66]
	;; [unrolled: 2-line block ×4, first 2 shown]
	ds_read_b128 v[67:70], v175 offset:256
	ds_read_b128 v[63:66], v175 offset:272
	;; [unrolled: 1-line block ×4, first 2 shown]
	ds_write_b128 v177, v[71:74]
	ds_write_b128 v177, v[75:78] offset:1072
	ds_write_b128 v177, v[79:82] offset:2144
	;; [unrolled: 1-line block ×3, first 2 shown]
	s_waitcnt lgkmcnt(0)
	s_barrier
	buffer_gl0_inv
	ds_read_b128 v[147:150], v178
	ds_read_b128 v[143:146], v178 offset:16
	ds_read_b128 v[139:142], v178 offset:32
	;; [unrolled: 1-line block ×3, first 2 shown]
	v_add_co_u32 v83, s2, v228, v195
	v_add_co_ci_u32_e64 v84, null, v229, v196, s2
	s_waitcnt lgkmcnt(0)
	s_barrier
	buffer_gl0_inv
	s_cbranch_vccnz .LBB50_180
; %bb.173:                              ;   in Loop: Header=BB50_148 Depth=1
	v_mov_b32_e32 v71, 0
	v_mov_b32_e32 v75, 0
	v_mov_b32_e32 v77, 0
	v_mov_b32_e32 v72, 0
	v_mov_b32_e32 v76, 0
	v_mov_b32_e32 v78, 0
	s_mov_b32 s2, exec_lo
	v_cmpx_gt_i32_e64 s3, v188
	s_cbranch_execz .LBB50_175
; %bb.174:                              ;   in Loop: Header=BB50_148 Depth=1
	flat_load_dwordx4 v[75:78], v[83:84]
.LBB50_175:                             ;   in Loop: Header=BB50_148 Depth=1
	s_or_b32 exec_lo, exec_lo, s2
	v_mov_b32_e32 v73, 0
	v_mov_b32_e32 v74, 0
	s_mov_b32 s2, exec_lo
	v_cmpx_gt_i32_e64 s3, v189
	s_cbranch_execz .LBB50_177
; %bb.176:                              ;   in Loop: Header=BB50_148 Depth=1
	v_add_co_u32 v71, vcc_lo, v232, v195
	v_add_co_ci_u32_e64 v72, null, v233, v196, vcc_lo
	flat_load_dwordx4 v[71:74], v[71:72]
.LBB50_177:                             ;   in Loop: Header=BB50_148 Depth=1
	s_or_b32 exec_lo, exec_lo, s2
	v_mov_b32_e32 v79, 0
	v_mov_b32_e32 v81, 0
	;; [unrolled: 1-line block ×4, first 2 shown]
	s_mov_b32 s2, exec_lo
	v_cmpx_gt_i32_e64 s3, v190
	s_cbranch_execz .LBB50_179
; %bb.178:                              ;   in Loop: Header=BB50_148 Depth=1
	v_add_co_u32 v79, vcc_lo, v224, v195
	v_add_co_ci_u32_e64 v80, null, v225, v196, vcc_lo
	flat_load_dwordx4 v[79:82], v[79:80]
.LBB50_179:                             ;   in Loop: Header=BB50_148 Depth=1
	s_or_b32 exec_lo, exec_lo, s2
	v_cmp_gt_i32_e64 s2, s3, v191
	s_branch .LBB50_182
.LBB50_180:                             ;   in Loop: Header=BB50_148 Depth=1
	s_mov_b32 s2, 0
                                        ; implicit-def: $vgpr81_vgpr82
                                        ; implicit-def: $vgpr73_vgpr74
                                        ; implicit-def: $vgpr77_vgpr78
	s_cbranch_execz .LBB50_182
; %bb.181:                              ;   in Loop: Header=BB50_148 Depth=1
	s_waitcnt vmcnt(0) lgkmcnt(0)
	v_add_co_u32 v71, vcc_lo, v232, v195
	v_add_co_ci_u32_e64 v72, null, v233, v196, vcc_lo
	v_add_co_u32 v79, vcc_lo, v236, v195
	v_add_co_ci_u32_e64 v80, null, v237, v196, vcc_lo
	flat_load_dwordx4 v[75:78], v[83:84]
	flat_load_dwordx4 v[71:74], v[71:72]
	;; [unrolled: 1-line block ×3, first 2 shown]
	s_or_b32 s2, s2, exec_lo
.LBB50_182:                             ;   in Loop: Header=BB50_148 Depth=1
	v_mov_b32_e32 v83, 0
	v_mov_b32_e32 v85, 0
	;; [unrolled: 1-line block ×4, first 2 shown]
	s_and_saveexec_b32 s12, s2
	s_cbranch_execz .LBB50_184
; %bb.183:                              ;   in Loop: Header=BB50_148 Depth=1
	v_add_co_u32 v83, vcc_lo, v220, v195
	v_add_co_ci_u32_e64 v84, null, v221, v196, vcc_lo
	flat_load_dwordx4 v[83:86], v[83:84]
.LBB50_184:                             ;   in Loop: Header=BB50_148 Depth=1
	s_or_b32 exec_lo, exec_lo, s12
	ds_read_b128 v[87:90], v176
	v_cmp_ne_u32_e32 vcc_lo, 1, v95
	s_and_b32 vcc_lo, exec_lo, vcc_lo
	s_waitcnt vmcnt(0) lgkmcnt(0)
	v_mul_f64 v[91:92], v[77:78], v[89:90]
	v_mul_f64 v[93:94], v[77:78], v[87:88]
	;; [unrolled: 1-line block ×8, first 2 shown]
	v_fma_f64 v[107:108], v[75:76], v[87:88], v[91:92]
	v_fma_f64 v[109:110], v[75:76], v[89:90], -v[93:94]
	v_fma_f64 v[111:112], v[71:72], v[87:88], v[96:97]
	v_fma_f64 v[113:114], v[71:72], v[89:90], -v[98:99]
	;; [unrolled: 2-line block ×4, first 2 shown]
	ds_read_b128 v[103:106], v175 offset:512
	ds_read_b128 v[99:102], v175 offset:528
	;; [unrolled: 1-line block ×4, first 2 shown]
	ds_write_b128 v177, v[107:110]
	ds_write_b128 v177, v[111:114] offset:1072
	ds_write_b128 v177, v[115:118] offset:2144
	ds_write_b128 v177, v[151:154] offset:3216
	s_waitcnt lgkmcnt(0)
	s_barrier
	buffer_gl0_inv
	ds_read_b128 v[163:166], v178
	ds_read_b128 v[159:162], v178 offset:16
	ds_read_b128 v[155:158], v178 offset:32
	;; [unrolled: 1-line block ×3, first 2 shown]
	v_add_co_u32 v115, s2, v197, v195
	v_add_co_ci_u32_e64 v116, null, v198, v196, s2
	s_waitcnt lgkmcnt(0)
	s_barrier
	buffer_gl0_inv
	s_cbranch_vccnz .LBB50_192
; %bb.185:                              ;   in Loop: Header=BB50_148 Depth=1
	v_mov_b32_e32 v95, 0
	v_mov_b32_e32 v107, 0
	;; [unrolled: 1-line block ×6, first 2 shown]
	s_mov_b32 s2, exec_lo
	v_cmpx_gt_i32_e64 s3, v192
	s_cbranch_execz .LBB50_187
; %bb.186:                              ;   in Loop: Header=BB50_148 Depth=1
	flat_load_dwordx4 v[107:110], v[115:116]
.LBB50_187:                             ;   in Loop: Header=BB50_148 Depth=1
	s_or_b32 exec_lo, exec_lo, s2
	v_mov_b32_e32 v97, 0
	v_mov_b32_e32 v98, 0
	s_mov_b32 s2, exec_lo
	v_cmpx_gt_i32_e64 s3, v193
	s_cbranch_execz .LBB50_189
; %bb.188:                              ;   in Loop: Header=BB50_148 Depth=1
	v_add_co_u32 v95, vcc_lo, v212, v195
	v_add_co_ci_u32_e64 v96, null, v213, v196, vcc_lo
	flat_load_dwordx4 v[95:98], v[95:96]
.LBB50_189:                             ;   in Loop: Header=BB50_148 Depth=1
	s_or_b32 exec_lo, exec_lo, s2
	v_mov_b32_e32 v111, 0
	v_mov_b32_e32 v113, 0
	;; [unrolled: 1-line block ×4, first 2 shown]
	s_mov_b32 s2, exec_lo
	v_cmpx_gt_i32_e64 s3, v194
	s_cbranch_execz .LBB50_191
; %bb.190:                              ;   in Loop: Header=BB50_148 Depth=1
	v_add_co_u32 v111, vcc_lo, v206, v195
	v_add_co_ci_u32_e64 v112, null, v207, v196, vcc_lo
	flat_load_dwordx4 v[111:114], v[111:112]
.LBB50_191:                             ;   in Loop: Header=BB50_148 Depth=1
	s_or_b32 exec_lo, exec_lo, s2
	v_cmp_gt_i32_e64 s2, s3, v199
	s_branch .LBB50_194
.LBB50_192:                             ;   in Loop: Header=BB50_148 Depth=1
	s_mov_b32 s2, 0
                                        ; implicit-def: $vgpr113_vgpr114
                                        ; implicit-def: $vgpr97_vgpr98
                                        ; implicit-def: $vgpr109_vgpr110
	s_cbranch_execz .LBB50_194
; %bb.193:                              ;   in Loop: Header=BB50_148 Depth=1
	s_waitcnt vmcnt(0) lgkmcnt(0)
	v_add_co_u32 v95, vcc_lo, v212, v195
	v_add_co_ci_u32_e64 v96, null, v213, v196, vcc_lo
	v_add_co_u32 v111, vcc_lo, v218, v195
	v_add_co_ci_u32_e64 v112, null, v219, v196, vcc_lo
	flat_load_dwordx4 v[107:110], v[115:116]
	flat_load_dwordx4 v[95:98], v[95:96]
	;; [unrolled: 1-line block ×3, first 2 shown]
	s_or_b32 s2, s2, exec_lo
.LBB50_194:                             ;   in Loop: Header=BB50_148 Depth=1
	v_mov_b32_e32 v115, 0
	v_mov_b32_e32 v117, 0
	;; [unrolled: 1-line block ×4, first 2 shown]
	s_and_saveexec_b32 s12, s2
	s_cbranch_execz .LBB50_196
; %bb.195:                              ;   in Loop: Header=BB50_148 Depth=1
	v_add_co_u32 v115, vcc_lo, v202, v195
	v_add_co_ci_u32_e64 v116, null, v203, v196, vcc_lo
	flat_load_dwordx4 v[115:118], v[115:116]
.LBB50_196:                             ;   in Loop: Header=BB50_148 Depth=1
	s_or_b32 exec_lo, exec_lo, s12
	v_add_f64 v[147:148], v[147:148], 0
	v_add_f64 v[149:150], v[149:150], 0
	;; [unrolled: 1-line block ×6, first 2 shown]
	v_cmp_gt_i32_e32 vcc_lo, s3, v0
	s_or_b32 s2, s5, vcc_lo
	s_and_b32 s3, s1, s2
	v_add_f64 v[143:144], v[147:148], v[143:144]
	v_add_f64 v[145:146], v[149:150], v[145:146]
	;; [unrolled: 1-line block ×16, first 2 shown]
	ds_read_b128 v[143:146], v176
	ds_read_b128 v[131:134], v175 offset:768
	ds_read_b128 v[127:130], v175 offset:784
	;; [unrolled: 1-line block ×4, first 2 shown]
	v_add_f64 v[151:152], v[155:156], v[151:152]
	v_add_f64 v[153:154], v[157:158], v[153:154]
	s_waitcnt vmcnt(0) lgkmcnt(4)
	v_mul_f64 v[147:148], v[109:110], v[145:146]
	v_mul_f64 v[149:150], v[109:110], v[143:144]
	v_fma_f64 v[147:148], v[107:108], v[143:144], v[147:148]
	v_fma_f64 v[149:150], v[107:108], v[145:146], -v[149:150]
	ds_write_b128 v177, v[147:150]
	v_mul_f64 v[147:148], v[97:98], v[145:146]
	v_mul_f64 v[149:150], v[97:98], v[143:144]
	v_fma_f64 v[147:148], v[95:96], v[143:144], v[147:148]
	v_fma_f64 v[149:150], v[95:96], v[145:146], -v[149:150]
	ds_write_b128 v177, v[147:150] offset:1072
	v_mul_f64 v[147:148], v[113:114], v[145:146]
	v_mul_f64 v[149:150], v[113:114], v[143:144]
	v_fma_f64 v[147:148], v[111:112], v[143:144], v[147:148]
	v_fma_f64 v[149:150], v[111:112], v[145:146], -v[149:150]
	ds_write_b128 v177, v[147:150] offset:2144
	v_mul_f64 v[147:148], v[117:118], v[145:146]
	v_fma_f64 v[147:148], v[115:116], v[143:144], v[147:148]
	v_mul_f64 v[143:144], v[117:118], v[143:144]
	v_fma_f64 v[149:150], v[115:116], v[145:146], -v[143:144]
	ds_write_b128 v177, v[147:150] offset:3216
	s_waitcnt lgkmcnt(0)
	s_barrier
	buffer_gl0_inv
	ds_read_b128 v[143:146], v178
	ds_read_b128 v[147:150], v178 offset:16
	ds_read_b128 v[155:158], v178 offset:32
	;; [unrolled: 1-line block ×3, first 2 shown]
	s_waitcnt lgkmcnt(0)
	s_barrier
	buffer_gl0_inv
	v_add_f64 v[143:144], v[143:144], 0
	v_add_f64 v[145:146], v[145:146], 0
	;; [unrolled: 1-line block ×8, first 2 shown]
	ds_write_b128 v238, v[139:142]
	ds_write_b128 v238, v[135:138] offset:256
	ds_write_b128 v238, v[151:154] offset:512
	;; [unrolled: 1-line block ×3, first 2 shown]
	s_waitcnt lgkmcnt(0)
	s_barrier
	buffer_gl0_inv
	s_and_saveexec_b32 s2, s3
	s_cbranch_execz .LBB50_198
; %bb.197:                              ;   in Loop: Header=BB50_148 Depth=1
	ds_read_b128 v[135:138], v179
	ds_read_b128 v[139:142], v179 offset:16
	v_ashrrev_i32_e32 v169, 31, v168
	s_waitcnt lgkmcnt(0)
	v_add_f64 v[143:144], v[139:140], v[135:136]
	v_add_f64 v[145:146], v[141:142], v[137:138]
	ds_read_b128 v[135:138], v179 offset:32
	ds_read_b128 v[139:142], v179 offset:48
	s_waitcnt lgkmcnt(1)
	v_add_f64 v[135:136], v[143:144], v[135:136]
	v_add_f64 v[137:138], v[145:146], v[137:138]
	s_waitcnt lgkmcnt(0)
	v_add_f64 v[143:144], v[135:136], v[139:140]
	v_add_f64 v[145:146], v[137:138], v[141:142]
	ds_read_b128 v[135:138], v179 offset:64
	ds_read_b128 v[139:142], v179 offset:80
	s_waitcnt lgkmcnt(1)
	v_add_f64 v[135:136], v[143:144], v[135:136]
	v_add_f64 v[137:138], v[145:146], v[137:138]
	;; [unrolled: 8-line block ×6, first 2 shown]
	s_waitcnt lgkmcnt(0)
	v_add_f64 v[143:144], v[135:136], v[139:140]
	v_add_f64 v[145:146], v[137:138], v[141:142]
	ds_read_b128 v[135:138], v179 offset:224
	ds_read_b128 v[139:142], v180
	s_waitcnt lgkmcnt(1)
	v_add_f64 v[135:136], v[143:144], v[135:136]
	v_add_f64 v[137:138], v[145:146], v[137:138]
	s_waitcnt lgkmcnt(0)
	v_add_f64 v[135:136], v[135:136], v[139:140]
	v_add_f64 v[137:138], v[137:138], v[141:142]
	v_lshlrev_b64 v[139:140], 4, v[168:169]
	v_add_co_u32 v139, vcc_lo, s7, v139
	v_add_co_ci_u32_e64 v140, null, s9, v140, vcc_lo
	global_store_dwordx4 v[139:140], v[135:138], off
.LBB50_198:                             ;   in Loop: Header=BB50_148 Depth=1
	s_or_b32 exec_lo, exec_lo, s2
	v_mul_f64 v[135:136], v[13:14], v[37:38]
	v_mul_f64 v[37:38], v[11:12], v[37:38]
	v_mul_f64 v[137:138], v[9:10], v[33:34]
	v_mul_f64 v[33:34], v[7:8], v[33:34]
	v_add_co_u32 v200, vcc_lo, v200, s10
	v_add_co_ci_u32_e64 v201, null, s11, v201, vcc_lo
	v_add_co_u32 v202, vcc_lo, v202, s10
	v_add_co_ci_u32_e64 v203, null, s11, v203, vcc_lo
	;; [unrolled: 2-line block ×4, first 2 shown]
	v_add_co_u32 v208, vcc_lo, v208, s10
	v_fma_f64 v[11:12], v[11:12], v[35:36], -v[135:136]
	v_fma_f64 v[13:14], v[13:14], v[35:36], v[37:38]
	v_mul_f64 v[35:36], v[17:18], v[29:30]
	v_mul_f64 v[29:30], v[15:16], v[29:30]
	v_fma_f64 v[7:8], v[7:8], v[31:32], -v[137:138]
	v_fma_f64 v[9:10], v[9:10], v[31:32], v[33:34]
	v_add_co_ci_u32_e64 v209, null, s11, v209, vcc_lo
	v_add_co_u32 v197, vcc_lo, v197, s10
	v_add_co_ci_u32_e64 v198, null, s11, v198, vcc_lo
	v_add_co_u32 v210, vcc_lo, v210, s10
	;; [unrolled: 2-line block ×4, first 2 shown]
	v_add_f64 v[2:3], v[2:3], v[11:12]
	v_add_f64 v[4:5], v[4:5], v[13:14]
	v_mul_f64 v[11:12], v[21:22], v[25:26]
	v_mul_f64 v[13:14], v[19:20], v[25:26]
	v_fma_f64 v[15:16], v[15:16], v[27:28], -v[35:36]
	v_fma_f64 v[17:18], v[17:18], v[27:28], v[29:30]
	v_add_co_ci_u32_e64 v215, null, s11, v215, vcc_lo
	v_add_co_u32 v216, vcc_lo, v216, s10
	v_add_co_ci_u32_e64 v217, null, s11, v217, vcc_lo
	v_add_co_u32 v218, vcc_lo, v218, s10
	;; [unrolled: 2-line block ×4, first 2 shown]
	v_add_f64 v[2:3], v[2:3], v[7:8]
	v_add_f64 v[4:5], v[4:5], v[9:10]
	v_mul_f64 v[7:8], v[45:46], v[69:70]
	v_mul_f64 v[9:10], v[43:44], v[69:70]
	v_fma_f64 v[11:12], v[19:20], v[23:24], -v[11:12]
	v_fma_f64 v[13:14], v[21:22], v[23:24], v[13:14]
	v_mul_f64 v[19:20], v[117:118], v[121:122]
	v_mul_f64 v[21:22], v[115:116], v[121:122]
	v_add_co_ci_u32_e64 v223, null, s11, v223, vcc_lo
	v_add_co_u32 v224, vcc_lo, v224, s10
	v_add_co_ci_u32_e64 v225, null, s11, v225, vcc_lo
	v_add_co_u32 v226, vcc_lo, v226, s10
	;; [unrolled: 2-line block ×3, first 2 shown]
	v_add_co_ci_u32_e64 v229, null, s11, v229, vcc_lo
	v_add_f64 v[2:3], v[2:3], v[15:16]
	v_add_f64 v[4:5], v[4:5], v[17:18]
	v_mul_f64 v[15:16], v[41:42], v[65:66]
	v_mul_f64 v[17:18], v[39:40], v[65:66]
	v_fma_f64 v[7:8], v[43:44], v[67:68], -v[7:8]
	v_fma_f64 v[9:10], v[45:46], v[67:68], v[9:10]
	v_add_co_u32 v230, vcc_lo, v230, s10
	v_add_co_ci_u32_e64 v231, null, s11, v231, vcc_lo
	v_add_co_u32 v232, vcc_lo, v232, s10
	v_add_co_ci_u32_e64 v233, null, s11, v233, vcc_lo
	;; [unrolled: 2-line block ×3, first 2 shown]
	v_add_co_u32 v236, vcc_lo, v236, s10
	v_add_nc_u32_e32 v168, 64, v168
	v_add_co_ci_u32_e64 v237, null, s11, v237, vcc_lo
	v_add_f64 v[2:3], v[2:3], v[11:12]
	v_add_f64 v[4:5], v[4:5], v[13:14]
	v_mul_f64 v[11:12], v[49:50], v[61:62]
	v_mul_f64 v[13:14], v[47:48], v[61:62]
	v_fma_f64 v[15:16], v[39:40], v[63:64], -v[15:16]
	v_fma_f64 v[17:18], v[41:42], v[63:64], v[17:18]
	s_add_i32 s3, s6, 2
	s_add_i32 s2, s6, 1
	s_add_i32 s4, s4, s23
	s_cmp_ge_u32 s3, s24
	s_waitcnt_vscnt null, 0x0
	s_barrier
	buffer_gl0_inv
	v_add_f64 v[2:3], v[2:3], v[7:8]
	v_add_f64 v[4:5], v[4:5], v[9:10]
	v_mul_f64 v[7:8], v[53:54], v[57:58]
	v_mul_f64 v[9:10], v[51:52], v[57:58]
	v_fma_f64 v[11:12], v[47:48], v[59:60], -v[11:12]
	v_fma_f64 v[13:14], v[49:50], v[59:60], v[13:14]
	v_add_f64 v[2:3], v[2:3], v[15:16]
	v_add_f64 v[4:5], v[4:5], v[17:18]
	v_mul_f64 v[15:16], v[77:78], v[105:106]
	v_mul_f64 v[17:18], v[75:76], v[105:106]
	v_fma_f64 v[7:8], v[51:52], v[55:56], -v[7:8]
	v_fma_f64 v[9:10], v[53:54], v[55:56], v[9:10]
	;; [unrolled: 6-line block ×8, first 2 shown]
	v_add_f64 v[2:3], v[2:3], v[11:12]
	v_add_f64 v[4:5], v[4:5], v[13:14]
	v_fma_f64 v[11:12], v[111:112], v[123:124], -v[15:16]
	v_fma_f64 v[13:14], v[113:114], v[123:124], v[17:18]
	v_add_f64 v[2:3], v[2:3], v[7:8]
	v_add_f64 v[4:5], v[4:5], v[9:10]
	v_fma_f64 v[7:8], v[115:116], v[119:120], -v[19:20]
	v_fma_f64 v[9:10], v[117:118], v[119:120], v[21:22]
	v_add_f64 v[2:3], v[2:3], v[11:12]
	v_add_f64 v[4:5], v[4:5], v[13:14]
	;; [unrolled: 1-line block ×4, first 2 shown]
	s_cbranch_scc0 .LBB50_143
.LBB50_199:
	v_cmp_gt_i32_e32 vcc_lo, s8, v0
	v_mad_u32_u24 v1, 0x430, v1, v170
	s_or_b32 s1, s26, vcc_lo
	ds_write_b128 v1, v[2:5]
	s_and_b32 s0, s0, s1
	s_waitcnt lgkmcnt(0)
	s_barrier
	buffer_gl0_inv
	s_and_saveexec_b32 s1, s0
	s_cbranch_execz .LBB50_201
; %bb.200:
	ds_read_b128 v[0:3], v170 offset:1072
	ds_read_b128 v[4:7], v170
	v_ashrrev_i32_e32 v168, 31, v167
	s_waitcnt lgkmcnt(0)
	v_add_f64 v[8:9], v[0:1], v[4:5]
	v_add_f64 v[10:11], v[2:3], v[6:7]
	ds_read_b128 v[0:3], v170 offset:2144
	ds_read_b128 v[4:7], v170 offset:3216
	s_waitcnt lgkmcnt(1)
	v_add_f64 v[0:1], v[8:9], v[0:1]
	v_add_f64 v[2:3], v[10:11], v[2:3]
	s_waitcnt lgkmcnt(0)
	v_add_f64 v[0:1], v[0:1], v[4:5]
	v_add_f64 v[2:3], v[2:3], v[6:7]
	v_lshlrev_b64 v[4:5], 4, v[167:168]
	v_add_co_u32 v4, vcc_lo, s7, v4
	v_add_co_ci_u32_e64 v5, null, s9, v5, vcc_lo
	global_store_dwordx4 v[4:5], v[0:3], off
.LBB50_201:
	s_endpgm
	.section	.rodata,"a",@progbits
	.p2align	6, 0x0
	.amdhsa_kernel _ZL26rocblas_hemvn_kernel_upperILb1ELi64ELi4ELi33ELi32ELi16EiPK19rocblas_complex_numIdEPKS3_PS1_EviT6_lT7_lT5_lS8_lS9_lS7_lT8_i
		.amdhsa_group_segment_fixed_size 19200
		.amdhsa_private_segment_fixed_size 0
		.amdhsa_kernarg_size 376
		.amdhsa_user_sgpr_count 6
		.amdhsa_user_sgpr_private_segment_buffer 1
		.amdhsa_user_sgpr_dispatch_ptr 0
		.amdhsa_user_sgpr_queue_ptr 0
		.amdhsa_user_sgpr_kernarg_segment_ptr 1
		.amdhsa_user_sgpr_dispatch_id 0
		.amdhsa_user_sgpr_flat_scratch_init 0
		.amdhsa_user_sgpr_private_segment_size 0
		.amdhsa_wavefront_size32 1
		.amdhsa_uses_dynamic_stack 0
		.amdhsa_system_sgpr_private_segment_wavefront_offset 0
		.amdhsa_system_sgpr_workgroup_id_x 1
		.amdhsa_system_sgpr_workgroup_id_y 0
		.amdhsa_system_sgpr_workgroup_id_z 1
		.amdhsa_system_sgpr_workgroup_info 0
		.amdhsa_system_vgpr_workitem_id 1
		.amdhsa_next_free_vgpr 239
		.amdhsa_next_free_sgpr 37
		.amdhsa_reserve_vcc 1
		.amdhsa_reserve_flat_scratch 0
		.amdhsa_float_round_mode_32 0
		.amdhsa_float_round_mode_16_64 0
		.amdhsa_float_denorm_mode_32 3
		.amdhsa_float_denorm_mode_16_64 3
		.amdhsa_dx10_clamp 1
		.amdhsa_ieee_mode 1
		.amdhsa_fp16_overflow 0
		.amdhsa_workgroup_processor_mode 1
		.amdhsa_memory_ordered 1
		.amdhsa_forward_progress 1
		.amdhsa_shared_vgpr_count 0
		.amdhsa_exception_fp_ieee_invalid_op 0
		.amdhsa_exception_fp_denorm_src 0
		.amdhsa_exception_fp_ieee_div_zero 0
		.amdhsa_exception_fp_ieee_overflow 0
		.amdhsa_exception_fp_ieee_underflow 0
		.amdhsa_exception_fp_ieee_inexact 0
		.amdhsa_exception_int_div_zero 0
	.end_amdhsa_kernel
	.section	.text._ZL26rocblas_hemvn_kernel_upperILb1ELi64ELi4ELi33ELi32ELi16EiPK19rocblas_complex_numIdEPKS3_PS1_EviT6_lT7_lT5_lS8_lS9_lS7_lT8_i,"axG",@progbits,_ZL26rocblas_hemvn_kernel_upperILb1ELi64ELi4ELi33ELi32ELi16EiPK19rocblas_complex_numIdEPKS3_PS1_EviT6_lT7_lT5_lS8_lS9_lS7_lT8_i,comdat
.Lfunc_end50:
	.size	_ZL26rocblas_hemvn_kernel_upperILb1ELi64ELi4ELi33ELi32ELi16EiPK19rocblas_complex_numIdEPKS3_PS1_EviT6_lT7_lT5_lS8_lS9_lS7_lT8_i, .Lfunc_end50-_ZL26rocblas_hemvn_kernel_upperILb1ELi64ELi4ELi33ELi32ELi16EiPK19rocblas_complex_numIdEPKS3_PS1_EviT6_lT7_lT5_lS8_lS9_lS7_lT8_i
                                        ; -- End function
	.set _ZL26rocblas_hemvn_kernel_upperILb1ELi64ELi4ELi33ELi32ELi16EiPK19rocblas_complex_numIdEPKS3_PS1_EviT6_lT7_lT5_lS8_lS9_lS7_lT8_i.num_vgpr, 239
	.set _ZL26rocblas_hemvn_kernel_upperILb1ELi64ELi4ELi33ELi32ELi16EiPK19rocblas_complex_numIdEPKS3_PS1_EviT6_lT7_lT5_lS8_lS9_lS7_lT8_i.num_agpr, 0
	.set _ZL26rocblas_hemvn_kernel_upperILb1ELi64ELi4ELi33ELi32ELi16EiPK19rocblas_complex_numIdEPKS3_PS1_EviT6_lT7_lT5_lS8_lS9_lS7_lT8_i.numbered_sgpr, 37
	.set _ZL26rocblas_hemvn_kernel_upperILb1ELi64ELi4ELi33ELi32ELi16EiPK19rocblas_complex_numIdEPKS3_PS1_EviT6_lT7_lT5_lS8_lS9_lS7_lT8_i.num_named_barrier, 0
	.set _ZL26rocblas_hemvn_kernel_upperILb1ELi64ELi4ELi33ELi32ELi16EiPK19rocblas_complex_numIdEPKS3_PS1_EviT6_lT7_lT5_lS8_lS9_lS7_lT8_i.private_seg_size, 0
	.set _ZL26rocblas_hemvn_kernel_upperILb1ELi64ELi4ELi33ELi32ELi16EiPK19rocblas_complex_numIdEPKS3_PS1_EviT6_lT7_lT5_lS8_lS9_lS7_lT8_i.uses_vcc, 1
	.set _ZL26rocblas_hemvn_kernel_upperILb1ELi64ELi4ELi33ELi32ELi16EiPK19rocblas_complex_numIdEPKS3_PS1_EviT6_lT7_lT5_lS8_lS9_lS7_lT8_i.uses_flat_scratch, 0
	.set _ZL26rocblas_hemvn_kernel_upperILb1ELi64ELi4ELi33ELi32ELi16EiPK19rocblas_complex_numIdEPKS3_PS1_EviT6_lT7_lT5_lS8_lS9_lS7_lT8_i.has_dyn_sized_stack, 0
	.set _ZL26rocblas_hemvn_kernel_upperILb1ELi64ELi4ELi33ELi32ELi16EiPK19rocblas_complex_numIdEPKS3_PS1_EviT6_lT7_lT5_lS8_lS9_lS7_lT8_i.has_recursion, 0
	.set _ZL26rocblas_hemvn_kernel_upperILb1ELi64ELi4ELi33ELi32ELi16EiPK19rocblas_complex_numIdEPKS3_PS1_EviT6_lT7_lT5_lS8_lS9_lS7_lT8_i.has_indirect_call, 0
	.section	.AMDGPU.csdata,"",@progbits
; Kernel info:
; codeLenInByte = 12512
; TotalNumSgprs: 39
; NumVgprs: 239
; ScratchSize: 0
; MemoryBound: 1
; FloatMode: 240
; IeeeMode: 1
; LDSByteSize: 19200 bytes/workgroup (compile time only)
; SGPRBlocks: 0
; VGPRBlocks: 29
; NumSGPRsForWavesPerEU: 39
; NumVGPRsForWavesPerEU: 239
; Occupancy: 4
; WaveLimiterHint : 1
; COMPUTE_PGM_RSRC2:SCRATCH_EN: 0
; COMPUTE_PGM_RSRC2:USER_SGPR: 6
; COMPUTE_PGM_RSRC2:TRAP_HANDLER: 0
; COMPUTE_PGM_RSRC2:TGID_X_EN: 1
; COMPUTE_PGM_RSRC2:TGID_Y_EN: 0
; COMPUTE_PGM_RSRC2:TGID_Z_EN: 1
; COMPUTE_PGM_RSRC2:TIDIG_COMP_CNT: 1
	.section	.text._ZL36rocblas_hemvn_kernel_upper_block_sumILi64EiPK19rocblas_complex_numIdEPKPS1_S1_EviT1_lS7_lT2_lT0_lPT3_i,"axG",@progbits,_ZL36rocblas_hemvn_kernel_upper_block_sumILi64EiPK19rocblas_complex_numIdEPKPS1_S1_EviT1_lS7_lT2_lT0_lPT3_i,comdat
	.globl	_ZL36rocblas_hemvn_kernel_upper_block_sumILi64EiPK19rocblas_complex_numIdEPKPS1_S1_EviT1_lS7_lT2_lT0_lPT3_i ; -- Begin function _ZL36rocblas_hemvn_kernel_upper_block_sumILi64EiPK19rocblas_complex_numIdEPKPS1_S1_EviT1_lS7_lT2_lT0_lPT3_i
	.p2align	8
	.type	_ZL36rocblas_hemvn_kernel_upper_block_sumILi64EiPK19rocblas_complex_numIdEPKPS1_S1_EviT1_lS7_lT2_lT0_lPT3_i,@function
_ZL36rocblas_hemvn_kernel_upper_block_sumILi64EiPK19rocblas_complex_numIdEPKPS1_S1_EviT1_lS7_lT2_lT0_lPT3_i: ; @_ZL36rocblas_hemvn_kernel_upper_block_sumILi64EiPK19rocblas_complex_numIdEPKPS1_S1_EviT1_lS7_lT2_lT0_lPT3_i
; %bb.0:
	s_load_dwordx8 s[12:19], s[4:5], 0x8
	s_mov_b32 s2, s7
	s_waitcnt lgkmcnt(0)
	s_mul_i32 s1, s15, s7
	s_mul_hi_u32 s3, s14, s7
	s_mul_i32 s0, s14, s7
	s_add_i32 s1, s3, s1
	s_lshl_b64 s[0:1], s[0:1], 4
	s_add_u32 s0, s12, s0
	s_addc_u32 s1, s13, s1
	s_load_dwordx4 s[12:15], s[0:1], 0x0
	s_mul_i32 s0, s19, s7
	s_mul_hi_u32 s1, s18, s7
	s_add_i32 s1, s1, s0
	s_mul_i32 s0, s18, s2
	s_lshl_b64 s[0:1], s[0:1], 4
	s_add_u32 s0, s16, s0
	s_addc_u32 s1, s17, s1
	s_load_dwordx4 s[8:11], s[0:1], 0x0
	s_mov_b32 s1, -1
	s_waitcnt lgkmcnt(0)
	v_cmp_neq_f64_e64 s3, s[12:13], 0
	v_cmp_neq_f64_e64 s7, s[14:15], 0
	s_or_b32 s0, s3, s7
	s_and_b32 vcc_lo, exec_lo, s0
	s_cbranch_vccnz .LBB51_2
; %bb.1:
	v_cmp_neq_f64_e64 s1, s[8:9], 1.0
	v_cmp_neq_f64_e64 s3, s[10:11], 0
	s_or_b32 s1, s1, s3
.LBB51_2:
	s_andn2_b32 vcc_lo, exec_lo, s1
	s_cbranch_vccnz .LBB51_22
; %bb.3:
	s_load_dwordx4 s[20:23], s[4:5], 0x28
	s_mov_b32 s3, 0
	s_xor_b32 s17, s0, -1
	s_lshl_b64 s[0:1], s[2:3], 3
	s_clause 0x1
	s_load_dword s19, s[4:5], 0x38
	s_load_dword s16, s[4:5], 0x0
	v_lshl_or_b32 v4, s6, 6, v0
	s_waitcnt lgkmcnt(0)
	s_add_u32 s0, s20, s0
	s_addc_u32 s1, s21, s1
	s_lshl_b64 s[22:23], s[22:23], 4
	s_load_dwordx2 s[20:21], s[0:1], 0x0
	v_cmp_gt_i32_e64 s0, s16, v4
	s_waitcnt lgkmcnt(0)
	s_add_u32 s7, s20, s22
	s_addc_u32 s18, s21, s23
	s_andn2_b32 vcc_lo, exec_lo, s17
	s_cbranch_vccnz .LBB51_8
; %bb.4:
	s_mov_b32 s1, 0
                                        ; implicit-def: $vgpr2_vgpr3
                                        ; implicit-def: $vgpr5_vgpr6
	s_and_saveexec_b32 s17, s0
	s_cbranch_execz .LBB51_9
; %bb.5:
	v_cmp_neq_f64_e64 s0, s[8:9], 0
	v_cmp_neq_f64_e64 s3, s[10:11], 0
	v_mul_lo_u32 v5, s19, v4
	v_mov_b32_e32 v2, 0
	v_mov_b32_e32 v0, 0
	;; [unrolled: 1-line block ×4, first 2 shown]
	v_ashrrev_i32_e32 v6, 31, v5
	s_or_b32 s0, s0, s3
	s_andn2_b32 vcc_lo, exec_lo, s0
	s_cbranch_vccnz .LBB51_7
; %bb.6:
	v_lshlrev_b64 v[0:1], 4, v[5:6]
	v_add_co_u32 v0, vcc_lo, s7, v0
	v_add_co_ci_u32_e64 v1, null, s18, v1, vcc_lo
	flat_load_dwordx4 v[7:10], v[0:1]
	s_waitcnt vmcnt(0) lgkmcnt(0)
	v_mul_f64 v[0:1], s[10:11], v[9:10]
	v_mul_f64 v[2:3], s[8:9], v[9:10]
	v_fma_f64 v[0:1], s[8:9], v[7:8], -v[0:1]
	v_fma_f64 v[2:3], s[10:11], v[7:8], v[2:3]
.LBB51_7:
	s_mov_b32 s3, exec_lo
	s_or_b32 exec_lo, exec_lo, s17
	s_and_b32 vcc_lo, exec_lo, s1
	s_cbranch_vccnz .LBB51_10
	s_branch .LBB51_20
.LBB51_8:
                                        ; implicit-def: $vgpr2_vgpr3
                                        ; implicit-def: $vgpr5_vgpr6
	s_cbranch_execnz .LBB51_10
	s_branch .LBB51_20
.LBB51_9:
	s_or_b32 exec_lo, exec_lo, s17
	s_and_b32 vcc_lo, exec_lo, s1
	s_cbranch_vccz .LBB51_20
.LBB51_10:
	s_mov_b32 s20, exec_lo
                                        ; implicit-def: $vgpr2_vgpr3
                                        ; implicit-def: $vgpr5_vgpr6
	v_cmpx_gt_i32_e64 s16, v4
	s_cbranch_execz .LBB51_19
; %bb.11:
	v_mov_b32_e32 v0, 0
	v_mov_b32_e32 v2, 0
	;; [unrolled: 1-line block ×4, first 2 shown]
	s_cmp_lt_i32 s6, 0
	s_cbranch_scc1 .LBB51_14
; %bb.12:
	s_clause 0x1
	s_load_dword s21, s[4:5], 0x58
	s_load_dwordx2 s[0:1], s[4:5], 0x48
	s_ashr_i32 s17, s16, 31
	s_mul_hi_u32 s5, s16, s2
	s_mul_i32 s22, s17, s2
	v_mov_b32_e32 v5, 0
	s_add_i32 s5, s5, s22
	s_mul_i32 s2, s16, s2
	s_add_i32 s4, s6, 1
	v_mov_b32_e32 v0, 0
	v_lshlrev_b64 v[2:3], 4, v[4:5]
	v_mov_b32_e32 v1, 0
	s_waitcnt lgkmcnt(0)
	s_mul_i32 s5, s5, s21
	s_mul_hi_u32 s6, s2, s21
	s_mul_i32 s22, s2, s21
	s_add_i32 s23, s6, s5
	s_lshl_b64 s[22:23], s[22:23], 4
	s_add_u32 s0, s0, s22
	s_addc_u32 s1, s1, s23
	v_add_co_u32 v5, vcc_lo, s0, v2
	v_add_co_ci_u32_e64 v6, null, s1, v3, vcc_lo
	v_mov_b32_e32 v2, 0
	v_add_co_u32 v5, vcc_lo, v5, 8
	v_mov_b32_e32 v3, 0
	v_add_co_ci_u32_e64 v6, null, 0, v6, vcc_lo
	s_lshl_b64 s[0:1], s[16:17], 4
.LBB51_13:                              ; =>This Inner Loop Header: Depth=1
	global_load_dwordx4 v[7:10], v[5:6], off offset:-8
	v_add_co_u32 v5, vcc_lo, v5, s0
	v_add_co_ci_u32_e64 v6, null, s1, v6, vcc_lo
	s_add_i32 s4, s4, -1
	s_cmp_eq_u32 s4, 0
	s_waitcnt vmcnt(0)
	v_add_f64 v[2:3], v[2:3], v[7:8]
	v_add_f64 v[0:1], v[0:1], v[9:10]
	s_cbranch_scc0 .LBB51_13
.LBB51_14:
	v_mul_f64 v[5:6], s[14:15], v[0:1]
	v_mul_f64 v[7:8], s[12:13], v[0:1]
	v_cmp_neq_f64_e64 s0, s[8:9], 0
	v_cmp_neq_f64_e64 s1, s[10:11], 0
	v_fma_f64 v[0:1], s[12:13], v[2:3], -v[5:6]
	v_fma_f64 v[2:3], s[14:15], v[2:3], v[7:8]
	v_mul_lo_u32 v5, s19, v4
	s_or_b32 s0, s0, s1
	s_andn2_b32 vcc_lo, exec_lo, s0
	v_ashrrev_i32_e32 v6, 31, v5
	s_cbranch_vccz .LBB51_16
; %bb.15:
	s_cbranch_execz .LBB51_17
	s_branch .LBB51_18
.LBB51_16:
.LBB51_17:
	v_lshlrev_b64 v[7:8], 4, v[5:6]
	v_add_co_u32 v7, vcc_lo, s7, v7
	v_add_co_ci_u32_e64 v8, null, s18, v8, vcc_lo
	flat_load_dwordx4 v[7:10], v[7:8]
	s_waitcnt vmcnt(0) lgkmcnt(0)
	v_mul_f64 v[11:12], s[10:11], v[9:10]
	v_mul_f64 v[9:10], s[8:9], v[9:10]
	v_fma_f64 v[11:12], s[8:9], v[7:8], -v[11:12]
	v_fma_f64 v[7:8], s[10:11], v[7:8], v[9:10]
	v_add_f64 v[0:1], v[0:1], v[11:12]
	v_add_f64 v[2:3], v[2:3], v[7:8]
.LBB51_18:
	s_or_b32 s3, s3, exec_lo
.LBB51_19:
	s_or_b32 exec_lo, exec_lo, s20
.LBB51_20:
	s_and_saveexec_b32 s0, s3
	s_cbranch_execz .LBB51_22
; %bb.21:
	v_lshlrev_b64 v[4:5], 4, v[5:6]
	v_add_co_u32 v4, vcc_lo, s7, v4
	v_add_co_ci_u32_e64 v5, null, s18, v5, vcc_lo
	flat_store_dwordx4 v[4:5], v[0:3]
.LBB51_22:
	s_endpgm
	.section	.rodata,"a",@progbits
	.p2align	6, 0x0
	.amdhsa_kernel _ZL36rocblas_hemvn_kernel_upper_block_sumILi64EiPK19rocblas_complex_numIdEPKPS1_S1_EviT1_lS7_lT2_lT0_lPT3_i
		.amdhsa_group_segment_fixed_size 0
		.amdhsa_private_segment_fixed_size 0
		.amdhsa_kernarg_size 344
		.amdhsa_user_sgpr_count 6
		.amdhsa_user_sgpr_private_segment_buffer 1
		.amdhsa_user_sgpr_dispatch_ptr 0
		.amdhsa_user_sgpr_queue_ptr 0
		.amdhsa_user_sgpr_kernarg_segment_ptr 1
		.amdhsa_user_sgpr_dispatch_id 0
		.amdhsa_user_sgpr_flat_scratch_init 0
		.amdhsa_user_sgpr_private_segment_size 0
		.amdhsa_wavefront_size32 1
		.amdhsa_uses_dynamic_stack 0
		.amdhsa_system_sgpr_private_segment_wavefront_offset 0
		.amdhsa_system_sgpr_workgroup_id_x 1
		.amdhsa_system_sgpr_workgroup_id_y 0
		.amdhsa_system_sgpr_workgroup_id_z 1
		.amdhsa_system_sgpr_workgroup_info 0
		.amdhsa_system_vgpr_workitem_id 0
		.amdhsa_next_free_vgpr 13
		.amdhsa_next_free_sgpr 24
		.amdhsa_reserve_vcc 1
		.amdhsa_reserve_flat_scratch 0
		.amdhsa_float_round_mode_32 0
		.amdhsa_float_round_mode_16_64 0
		.amdhsa_float_denorm_mode_32 3
		.amdhsa_float_denorm_mode_16_64 3
		.amdhsa_dx10_clamp 1
		.amdhsa_ieee_mode 1
		.amdhsa_fp16_overflow 0
		.amdhsa_workgroup_processor_mode 1
		.amdhsa_memory_ordered 1
		.amdhsa_forward_progress 1
		.amdhsa_shared_vgpr_count 0
		.amdhsa_exception_fp_ieee_invalid_op 0
		.amdhsa_exception_fp_denorm_src 0
		.amdhsa_exception_fp_ieee_div_zero 0
		.amdhsa_exception_fp_ieee_overflow 0
		.amdhsa_exception_fp_ieee_underflow 0
		.amdhsa_exception_fp_ieee_inexact 0
		.amdhsa_exception_int_div_zero 0
	.end_amdhsa_kernel
	.section	.text._ZL36rocblas_hemvn_kernel_upper_block_sumILi64EiPK19rocblas_complex_numIdEPKPS1_S1_EviT1_lS7_lT2_lT0_lPT3_i,"axG",@progbits,_ZL36rocblas_hemvn_kernel_upper_block_sumILi64EiPK19rocblas_complex_numIdEPKPS1_S1_EviT1_lS7_lT2_lT0_lPT3_i,comdat
.Lfunc_end51:
	.size	_ZL36rocblas_hemvn_kernel_upper_block_sumILi64EiPK19rocblas_complex_numIdEPKPS1_S1_EviT1_lS7_lT2_lT0_lPT3_i, .Lfunc_end51-_ZL36rocblas_hemvn_kernel_upper_block_sumILi64EiPK19rocblas_complex_numIdEPKPS1_S1_EviT1_lS7_lT2_lT0_lPT3_i
                                        ; -- End function
	.set _ZL36rocblas_hemvn_kernel_upper_block_sumILi64EiPK19rocblas_complex_numIdEPKPS1_S1_EviT1_lS7_lT2_lT0_lPT3_i.num_vgpr, 13
	.set _ZL36rocblas_hemvn_kernel_upper_block_sumILi64EiPK19rocblas_complex_numIdEPKPS1_S1_EviT1_lS7_lT2_lT0_lPT3_i.num_agpr, 0
	.set _ZL36rocblas_hemvn_kernel_upper_block_sumILi64EiPK19rocblas_complex_numIdEPKPS1_S1_EviT1_lS7_lT2_lT0_lPT3_i.numbered_sgpr, 24
	.set _ZL36rocblas_hemvn_kernel_upper_block_sumILi64EiPK19rocblas_complex_numIdEPKPS1_S1_EviT1_lS7_lT2_lT0_lPT3_i.num_named_barrier, 0
	.set _ZL36rocblas_hemvn_kernel_upper_block_sumILi64EiPK19rocblas_complex_numIdEPKPS1_S1_EviT1_lS7_lT2_lT0_lPT3_i.private_seg_size, 0
	.set _ZL36rocblas_hemvn_kernel_upper_block_sumILi64EiPK19rocblas_complex_numIdEPKPS1_S1_EviT1_lS7_lT2_lT0_lPT3_i.uses_vcc, 1
	.set _ZL36rocblas_hemvn_kernel_upper_block_sumILi64EiPK19rocblas_complex_numIdEPKPS1_S1_EviT1_lS7_lT2_lT0_lPT3_i.uses_flat_scratch, 0
	.set _ZL36rocblas_hemvn_kernel_upper_block_sumILi64EiPK19rocblas_complex_numIdEPKPS1_S1_EviT1_lS7_lT2_lT0_lPT3_i.has_dyn_sized_stack, 0
	.set _ZL36rocblas_hemvn_kernel_upper_block_sumILi64EiPK19rocblas_complex_numIdEPKPS1_S1_EviT1_lS7_lT2_lT0_lPT3_i.has_recursion, 0
	.set _ZL36rocblas_hemvn_kernel_upper_block_sumILi64EiPK19rocblas_complex_numIdEPKPS1_S1_EviT1_lS7_lT2_lT0_lPT3_i.has_indirect_call, 0
	.section	.AMDGPU.csdata,"",@progbits
; Kernel info:
; codeLenInByte = 880
; TotalNumSgprs: 26
; NumVgprs: 13
; ScratchSize: 0
; MemoryBound: 0
; FloatMode: 240
; IeeeMode: 1
; LDSByteSize: 0 bytes/workgroup (compile time only)
; SGPRBlocks: 0
; VGPRBlocks: 1
; NumSGPRsForWavesPerEU: 26
; NumVGPRsForWavesPerEU: 13
; Occupancy: 16
; WaveLimiterHint : 1
; COMPUTE_PGM_RSRC2:SCRATCH_EN: 0
; COMPUTE_PGM_RSRC2:USER_SGPR: 6
; COMPUTE_PGM_RSRC2:TRAP_HANDLER: 0
; COMPUTE_PGM_RSRC2:TGID_X_EN: 1
; COMPUTE_PGM_RSRC2:TGID_Y_EN: 0
; COMPUTE_PGM_RSRC2:TGID_Z_EN: 1
; COMPUTE_PGM_RSRC2:TIDIG_COMP_CNT: 0
	.section	.text._ZL26rocblas_hemvn_kernel_upperILb1ELi64ELi4ELi33ELi32ELi16El19rocblas_complex_numIdEPKPKS1_PS1_EviT6_lT7_lT5_lS8_lS9_lS7_lT8_i,"axG",@progbits,_ZL26rocblas_hemvn_kernel_upperILb1ELi64ELi4ELi33ELi32ELi16El19rocblas_complex_numIdEPKPKS1_PS1_EviT6_lT7_lT5_lS8_lS9_lS7_lT8_i,comdat
	.globl	_ZL26rocblas_hemvn_kernel_upperILb1ELi64ELi4ELi33ELi32ELi16El19rocblas_complex_numIdEPKPKS1_PS1_EviT6_lT7_lT5_lS8_lS9_lS7_lT8_i ; -- Begin function _ZL26rocblas_hemvn_kernel_upperILb1ELi64ELi4ELi33ELi32ELi16El19rocblas_complex_numIdEPKPKS1_PS1_EviT6_lT7_lT5_lS8_lS9_lS7_lT8_i
	.p2align	8
	.type	_ZL26rocblas_hemvn_kernel_upperILb1ELi64ELi4ELi33ELi32ELi16El19rocblas_complex_numIdEPKPKS1_PS1_EviT6_lT7_lT5_lS8_lS9_lS7_lT8_i,@function
_ZL26rocblas_hemvn_kernel_upperILb1ELi64ELi4ELi33ELi32ELi16El19rocblas_complex_numIdEPKPKS1_PS1_EviT6_lT7_lT5_lS8_lS9_lS7_lT8_i: ; @_ZL26rocblas_hemvn_kernel_upperILb1ELi64ELi4ELi33ELi32ELi16El19rocblas_complex_numIdEPKPKS1_PS1_EviT6_lT7_lT5_lS8_lS9_lS7_lT8_i
; %bb.0:
	s_load_dwordx2 s[0:1], s[4:5], 0x94
	s_add_u32 s8, s4, 0x88
	s_addc_u32 s9, s5, 0
	s_waitcnt lgkmcnt(0)
	s_lshr_b32 s2, s0, 16
	s_and_b32 s0, s0, 0xffff
	s_and_b32 s1, s1, 0xffff
	s_mul_i32 s0, s2, s0
	s_mul_i32 s0, s0, s1
	s_cmpk_lg_i32 s0, 0x100
	s_cbranch_scc1 .LBB52_201
; %bb.1:
	s_load_dwordx4 s[0:3], s[4:5], 0x8
	s_mov_b32 s18, s7
	s_waitcnt lgkmcnt(0)
	v_cmp_neq_f64_e64 s0, s[0:1], 0
	v_cmp_neq_f64_e64 s1, s[2:3], 0
	s_or_b32 s0, s0, s1
	s_and_b32 vcc_lo, exec_lo, s0
	s_mov_b32 s0, -1
	s_cbranch_vccnz .LBB52_3
; %bb.2:
	s_load_dwordx4 s[0:3], s[4:5], 0x60
	s_waitcnt lgkmcnt(0)
	v_cmp_eq_f64_e64 s0, s[0:1], 1.0
	v_cmp_eq_f64_e64 s1, s[2:3], 0
	s_and_b32 s0, s0, s1
	s_andn2_b32 vcc_lo, exec_lo, s0
	s_mov_b32 s0, 0
.LBB52_3:
	s_andn2_b32 vcc_lo, exec_lo, s0
	s_cbranch_vccnz .LBB52_201
; %bb.4:
	s_clause 0x1
	s_load_dwordx4 s[0:3], s[4:5], 0x20
	s_load_dwordx4 s[12:15], s[4:5], 0x40
	s_mov_b32 s19, 0
	s_lshl_b64 s[10:11], s[18:19], 3
	s_waitcnt lgkmcnt(0)
	s_add_u32 s0, s0, s10
	s_addc_u32 s1, s1, s11
	s_add_u32 s10, s12, s10
	s_addc_u32 s11, s13, s11
	s_lshl_b64 s[14:15], s[14:15], 4
	s_load_dwordx2 s[12:13], s[10:11], 0x0
	s_clause 0x1
	s_load_dwordx2 s[10:11], s[4:5], 0x50
	s_load_dword s24, s[4:5], 0x0
	s_load_dword s19, s[8:9], 0x0
	s_load_dwordx2 s[16:17], s[4:5], 0x30
	s_load_dwordx2 s[8:9], s[0:1], 0x0
	s_waitcnt lgkmcnt(0)
	s_add_u32 s7, s12, s14
	s_addc_u32 s12, s13, s15
	s_lshl_b32 s14, s6, 6
	s_ashr_i32 s25, s24, 31
	v_add_nc_u32_e32 v167, s14, v0
	s_lshr_b32 s0, s25, 26
	s_add_i32 s1, s19, -1
	s_add_i32 s0, s24, s0
	v_ashrrev_i32_e32 v168, 31, v167
	v_mul_lo_u32 v4, s11, v167
	v_mad_u64_u32 v[2:3], null, s10, v167, 0
	s_andn2_b32 s0, s0, 63
	v_mul_lo_u32 v5, s10, v168
	s_sub_i32 s22, s24, s0
	v_cmp_eq_u32_e64 s0, 0, v1
	s_cmp_eq_u32 s6, s1
	v_add3_u32 v3, v3, v5, v4
	v_lshlrev_b64 v[2:3], 4, v[2:3]
	v_add_co_u32 v40, vcc_lo, s7, v2
	v_add_co_ci_u32_e64 v41, null, s12, v3, vcc_lo
	s_mov_b32 s7, -1
	s_cselect_b32 s12, s22, 0
	s_and_saveexec_b32 s1, s0
	s_cbranch_execz .LBB52_9
; %bb.5:
	v_cmp_le_i32_e32 vcc_lo, s12, v0
	s_cmp_lg_u32 s12, 0
	v_lshl_add_u32 v2, v0, 4, 0x4700
	s_cselect_b32 s13, -1, 0
	s_and_b32 s13, s13, vcc_lo
	s_and_saveexec_b32 s15, s13
	s_xor_b32 s13, exec_lo, s15
	s_cbranch_execz .LBB52_7
; %bb.6:
	v_mov_b32_e32 v3, 0
	v_mov_b32_e32 v4, v3
	;; [unrolled: 1-line block ×4, first 2 shown]
	ds_write_b128 v2, v[3:6]
                                        ; implicit-def: $vgpr2
.LBB52_7:
	s_andn2_saveexec_b32 s13, s13
	s_cbranch_execz .LBB52_9
; %bb.8:
	flat_load_dwordx4 v[3:6], v[40:41]
	s_waitcnt vmcnt(0) lgkmcnt(0)
	ds_write2_b64 v2, v[3:4], v[5:6] offset1:1
.LBB52_9:
	s_or_b32 exec_lo, exec_lo, s1
	v_lshl_add_u32 v44, v1, 6, v0
	v_and_b32_e32 v10, 31, v0
	v_mov_b32_e32 v11, 0
	s_lshl_b64 s[2:3], s[2:3], 4
	s_mul_hi_u32 s1, s16, s14
	v_lshrrev_b32_e32 v13, 5, v44
	s_add_u32 s20, s8, s2
	s_addc_u32 s3, s9, s3
	s_ashr_i32 s15, s14, 31
	s_mul_i32 s13, s17, s14
	v_mad_u64_u32 v[2:3], null, s16, v13, v[10:11]
	s_lshl_b64 s[8:9], s[14:15], 4
	s_mul_i32 s21, s16, s15
	s_add_u32 s8, s20, s8
	s_addc_u32 s9, s3, s9
	s_add_i32 s1, s1, s21
	s_mul_i32 s2, s16, s14
	v_mad_u64_u32 v[3:4], null, s17, v13, v[3:4]
	s_add_i32 s3, s1, s13
	v_cmp_gt_i32_e64 s1, s12, v10
	s_lshl_b64 s[2:3], s[2:3], 4
	s_cmp_eq_u32 s12, 0
	v_lshlrev_b32_e32 v15, 4, v10
	s_cselect_b32 s23, -1, 0
	v_lshlrev_b64 v[38:39], 4, v[2:3]
	s_cmp_lg_u32 s12, 0
	v_lshlrev_b32_e32 v14, 4, v10
	s_cselect_b32 s26, -1, 0
                                        ; implicit-def: $vgpr6_vgpr7
	v_add_co_u32 v2, vcc_lo, s8, v38
	v_add_co_ci_u32_e64 v3, null, s9, v39, vcc_lo
	s_and_b32 vcc_lo, exec_lo, s26
	v_add_co_u32 v2, s2, v2, s2
	v_add_co_ci_u32_e64 v3, null, s3, v3, s2
	s_cbranch_vccz .LBB52_27
; %bb.10:
	v_sub_co_u32 v4, vcc_lo, v2, v15
	s_ashr_i32 s13, s12, 31
	v_subrev_co_ci_u32_e64 v5, null, 0, v3, vcc_lo
	s_lshl_b64 s[2:3], s[12:13], 4
	v_mad_u32_u24 v7, 0x210, v13, v14
	v_add_co_u32 v4, vcc_lo, v4, s2
	v_add_co_ci_u32_e64 v5, null, s3, v5, vcc_lo
	s_mov_b32 s7, exec_lo
	v_add_co_u32 v4, vcc_lo, v4, -16
	v_add_co_ci_u32_e64 v5, null, -1, v5, vcc_lo
	v_cndmask_b32_e64 v4, v4, v2, s1
	v_cndmask_b32_e64 v5, v5, v3, s1
	v_cmpx_le_i32_e64 s12, v13
	s_xor_b32 s7, exec_lo, s7
	s_cbranch_execz .LBB52_12
; %bb.11:
	v_mov_b32_e32 v16, 0
	v_mov_b32_e32 v17, v16
	v_mov_b32_e32 v18, v16
	v_mov_b32_e32 v19, v16
	ds_write_b128 v7, v[16:19]
                                        ; implicit-def: $vgpr7
.LBB52_12:
	s_or_saveexec_b32 s7, s7
	v_mul_u32_u24_e32 v6, 0x210, v13
	s_xor_b32 exec_lo, exec_lo, s7
	s_cbranch_execz .LBB52_14
; %bb.13:
	flat_load_dwordx4 v[16:19], v[4:5]
	s_waitcnt vmcnt(0) lgkmcnt(0)
	ds_write2_b64 v7, v[16:17], v[18:19] offset1:1
.LBB52_14:
	s_or_b32 exec_lo, exec_lo, s7
	v_add_nc_u32_e32 v7, 8, v13
	v_cmp_le_i32_e32 vcc_lo, s12, v7
	v_add_nc_u32_e32 v7, v6, v14
	s_and_saveexec_b32 s7, vcc_lo
	s_xor_b32 s7, exec_lo, s7
	s_cbranch_execz .LBB52_16
; %bb.15:
	v_mov_b32_e32 v16, 0
	v_mov_b32_e32 v17, v16
	;; [unrolled: 1-line block ×4, first 2 shown]
	ds_write_b128 v7, v[16:19] offset:4224
.LBB52_16:
	s_andn2_saveexec_b32 s7, s7
	s_cbranch_execz .LBB52_18
; %bb.17:
	s_lshl_b64 s[8:9], s[16:17], 7
	v_add_co_u32 v8, vcc_lo, v4, s8
	v_add_co_ci_u32_e64 v9, null, s9, v5, vcc_lo
	flat_load_dwordx4 v[16:19], v[8:9]
	v_add3_u32 v8, v6, v14, 0x1080
	s_waitcnt vmcnt(0) lgkmcnt(0)
	ds_write2_b64 v8, v[16:17], v[18:19] offset1:1
.LBB52_18:
	s_or_b32 exec_lo, exec_lo, s7
	v_add_nc_u32_e32 v8, 16, v13
	s_mov_b32 s7, exec_lo
	v_cmpx_le_i32_e64 s12, v8
	s_xor_b32 s7, exec_lo, s7
	s_cbranch_execz .LBB52_20
; %bb.19:
	v_mov_b32_e32 v16, 0
	v_mov_b32_e32 v17, v16
	;; [unrolled: 1-line block ×4, first 2 shown]
	ds_write_b128 v7, v[16:19] offset:8448
.LBB52_20:
	s_andn2_saveexec_b32 s7, s7
	s_cbranch_execz .LBB52_22
; %bb.21:
	s_lshl_b64 s[8:9], s[16:17], 8
	v_add_co_u32 v8, vcc_lo, v4, s8
	v_add_co_ci_u32_e64 v9, null, s9, v5, vcc_lo
	flat_load_dwordx4 v[16:19], v[8:9]
	v_add3_u32 v8, v6, v14, 0x2100
	s_waitcnt vmcnt(0) lgkmcnt(0)
	ds_write2_b64 v8, v[16:17], v[18:19] offset1:1
.LBB52_22:
	s_or_b32 exec_lo, exec_lo, s7
	v_add_nc_u32_e32 v8, 24, v13
	s_mov_b32 s7, exec_lo
	v_cmpx_le_i32_e64 s12, v8
	s_xor_b32 s7, exec_lo, s7
	s_cbranch_execz .LBB52_24
; %bb.23:
	v_mov_b32_e32 v16, 0
                                        ; implicit-def: $vgpr6
	v_mov_b32_e32 v17, v16
	v_mov_b32_e32 v18, v16
	;; [unrolled: 1-line block ×3, first 2 shown]
	ds_write_b128 v7, v[16:19] offset:12672
.LBB52_24:
	s_andn2_saveexec_b32 s7, s7
	s_cbranch_execz .LBB52_26
; %bb.25:
	v_mad_u64_u32 v[7:8], null, 0x180, s16, v[4:5]
	v_add3_u32 v6, v6, v14, 0x3180
	v_mad_u64_u32 v[8:9], null, 0x180, s17, v[8:9]
	flat_load_dwordx4 v[16:19], v[7:8]
	s_waitcnt vmcnt(0) lgkmcnt(0)
	ds_write2_b64 v6, v[16:17], v[18:19] offset1:1
.LBB52_26:
	s_or_b32 exec_lo, exec_lo, s7
	v_add_co_u32 v4, vcc_lo, v4, v15
	v_add_co_ci_u32_e64 v5, null, 0, v5, vcc_lo
	s_mov_b32 s7, 0
	v_sub_co_u32 v4, vcc_lo, v4, s2
	v_subrev_co_ci_u32_e64 v5, null, s3, v5, vcc_lo
	v_add_co_u32 v4, vcc_lo, v4, 16
	v_add_co_ci_u32_e64 v5, null, 0, v5, vcc_lo
	v_cndmask_b32_e64 v6, v4, v2, s1
	v_cndmask_b32_e64 v7, v5, v3, s1
.LBB52_27:
	s_and_b32 vcc_lo, exec_lo, s7
	s_cbranch_vccz .LBB52_29
; %bb.28:
	flat_load_dwordx4 v[4:7], v[2:3]
	v_mul_u32_u24_e32 v8, 0x210, v13
	s_lshl_b64 s[2:3], s[16:17], 7
	v_lshl_add_u32 v11, v10, 4, v8
	v_add_co_u32 v8, vcc_lo, v2, s2
	v_add_co_ci_u32_e64 v9, null, s3, v3, vcc_lo
	v_add_nc_u32_e32 v12, 0x1080, v11
	s_waitcnt vmcnt(0) lgkmcnt(0)
	ds_write2_b64 v11, v[4:5], v[6:7] offset1:1
	flat_load_dwordx4 v[4:7], v[8:9]
	v_add_co_u32 v8, vcc_lo, v8, s2
	v_add_co_ci_u32_e64 v9, null, s3, v9, vcc_lo
	s_waitcnt vmcnt(0) lgkmcnt(0)
	ds_write2_b64 v12, v[4:5], v[6:7] offset1:1
	flat_load_dwordx4 v[4:7], v[8:9]
	v_add_co_u32 v8, vcc_lo, v8, s2
	v_add_nc_u32_e32 v12, 0x2100, v11
	v_add_co_ci_u32_e64 v9, null, s3, v9, vcc_lo
	s_waitcnt vmcnt(0) lgkmcnt(0)
	ds_write2_b64 v12, v[4:5], v[6:7] offset1:1
	flat_load_dwordx4 v[16:19], v[8:9]
	v_mov_b32_e32 v7, v3
	v_add_nc_u32_e32 v4, 0x3180, v11
	v_mov_b32_e32 v6, v2
	s_waitcnt vmcnt(0) lgkmcnt(0)
	ds_write2_b64 v4, v[16:17], v[18:19] offset1:1
.LBB52_29:
	v_lshlrev_b32_e32 v18, 2, v13
	v_mul_u32_u24_e32 v16, 0x210, v10
	s_mov_b32 s1, 0
	s_waitcnt lgkmcnt(0)
	s_barrier
	v_cmp_le_u32_e64 s2, v18, v10
	buffer_gl0_inv
                                        ; implicit-def: $vgpr8
	s_and_saveexec_b32 s3, s2
	s_xor_b32 s3, exec_lo, s3
	s_cbranch_execz .LBB52_33
; %bb.30:
	s_mov_b32 s7, exec_lo
                                        ; implicit-def: $vgpr8
	v_cmpx_eq_u32_e64 v18, v10
	s_xor_b32 s7, exec_lo, s7
; %bb.31:
	s_mov_b32 s1, exec_lo
	v_add_nc_u32_e32 v8, v14, v16
; %bb.32:
	s_or_b32 exec_lo, exec_lo, s7
	s_and_b32 s1, s1, exec_lo
.LBB52_33:
	s_or_saveexec_b32 s3, s3
	v_lshl_or_b32 v2, v10, 9, v14
	v_mov_b32_e32 v4, 0
	v_mov_b32_e32 v5, 0
	v_mad_u32_u24 v9, 0x840, v13, v14
	v_lshl_add_u32 v11, v18, 4, v2
	s_xor_b32 exec_lo, exec_lo, s3
	s_cbranch_execz .LBB52_35
; %bb.34:
	ds_read_b128 v[2:5], v9
	v_mov_b32_e32 v8, v11
	s_or_b32 s1, s1, exec_lo
	s_waitcnt lgkmcnt(0)
	v_xor_b32_e32 v5, 0x80000000, v5
	ds_write_b64 v11, v[2:3]
.LBB52_35:
	s_or_b32 exec_lo, exec_lo, s3
	s_and_saveexec_b32 s3, s1
; %bb.36:
	ds_write_b64 v8, v[4:5] offset:8
; %bb.37:
	s_or_b32 exec_lo, exec_lo, s3
	v_or_b32_e32 v19, 1, v18
	v_cmp_ge_u32_e64 s3, v18, v10
	s_mov_b32 s1, 0
                                        ; implicit-def: $vgpr4_vgpr5
                                        ; implicit-def: $vgpr12
	v_mad_u32_u24 v8, 0x210, v19, v14
	s_and_saveexec_b32 s7, s3
	s_xor_b32 s7, exec_lo, s7
	s_cbranch_execz .LBB52_77
; %bb.38:
	ds_read_b128 v[2:5], v8
	s_mov_b32 s1, exec_lo
	v_add_nc_u32_e32 v12, 16, v11
	s_waitcnt lgkmcnt(0)
	v_xor_b32_e32 v5, 0x80000000, v5
	ds_write_b64 v11, v[2:3] offset:16
	s_andn2_saveexec_b32 s7, s7
	s_cbranch_execnz .LBB52_78
.LBB52_39:
	s_or_b32 exec_lo, exec_lo, s7
	s_and_saveexec_b32 s7, s1
.LBB52_40:
	ds_write_b64 v12, v[4:5] offset:8
.LBB52_41:
	s_or_b32 exec_lo, exec_lo, s7
	v_or_b32_e32 v20, 2, v18
	s_mov_b32 s1, 0
                                        ; implicit-def: $vgpr12
	v_cmp_le_u32_e64 s7, v20, v10
	s_and_saveexec_b32 s8, s7
	s_xor_b32 s8, exec_lo, s8
	s_cbranch_execz .LBB52_45
; %bb.42:
	s_mov_b32 s9, exec_lo
                                        ; implicit-def: $vgpr12
	v_cmpx_eq_u32_e64 v20, v10
; %bb.43:
	v_add_nc_u32_e32 v12, v14, v16
	s_mov_b32 s1, exec_lo
; %bb.44:
	s_or_b32 exec_lo, exec_lo, s9
	s_and_b32 s1, s1, exec_lo
.LBB52_45:
	s_or_saveexec_b32 s8, s8
	v_mov_b32_e32 v4, 0
	v_mov_b32_e32 v5, 0
	s_xor_b32 exec_lo, exec_lo, s8
	s_cbranch_execz .LBB52_47
; %bb.46:
	v_mad_u32_u24 v2, 0x210, v20, v14
	v_add_nc_u32_e32 v12, 32, v11
	s_or_b32 s1, s1, exec_lo
	ds_read_b128 v[2:5], v2
	s_waitcnt lgkmcnt(0)
	v_xor_b32_e32 v5, 0x80000000, v5
	ds_write_b64 v11, v[2:3] offset:32
.LBB52_47:
	s_or_b32 exec_lo, exec_lo, s8
	s_and_saveexec_b32 s8, s1
; %bb.48:
	ds_write_b64 v12, v[4:5] offset:8
; %bb.49:
	s_or_b32 exec_lo, exec_lo, s8
	v_or_b32_e32 v21, 3, v18
	s_mov_b32 s1, 0
                                        ; implicit-def: $vgpr12
	v_cmp_le_u32_e64 s8, v21, v10
	s_and_saveexec_b32 s9, s8
	s_xor_b32 s9, exec_lo, s9
	s_cbranch_execz .LBB52_53
; %bb.50:
	s_mov_b32 s13, exec_lo
                                        ; implicit-def: $vgpr12
	v_cmpx_eq_u32_e64 v21, v10
; %bb.51:
	v_add_nc_u32_e32 v12, v14, v16
	s_mov_b32 s1, exec_lo
; %bb.52:
	s_or_b32 exec_lo, exec_lo, s13
	s_and_b32 s1, s1, exec_lo
                                        ; implicit-def: $vgpr11
.LBB52_53:
	s_or_saveexec_b32 s9, s9
	v_mov_b32_e32 v4, 0
	v_mov_b32_e32 v5, 0
	s_xor_b32 exec_lo, exec_lo, s9
	s_cbranch_execz .LBB52_55
; %bb.54:
	v_mad_u32_u24 v2, 0x210, v21, v14
	v_add_nc_u32_e32 v12, 48, v11
	s_or_b32 s1, s1, exec_lo
	ds_read_b128 v[2:5], v2
	s_waitcnt lgkmcnt(0)
	v_xor_b32_e32 v5, 0x80000000, v5
	ds_write_b64 v11, v[2:3] offset:48
.LBB52_55:
	s_or_b32 exec_lo, exec_lo, s9
	s_and_saveexec_b32 s9, s1
; %bb.56:
	ds_write_b64 v12, v[4:5] offset:8
; %bb.57:
	s_or_b32 exec_lo, exec_lo, s9
	v_lshlrev_b32_e32 v22, 4, v18
	s_waitcnt lgkmcnt(0)
	s_barrier
	buffer_gl0_inv
	ds_read_b128 v[2:5], v9
	ds_read_b128 v[23:26], v22 offset:18176
	ds_read_b128 v[27:30], v8
	ds_read_b128 v[31:34], v8 offset:1056
	ds_read_b128 v[45:48], v22 offset:18192
	;; [unrolled: 1-line block ×4, first 2 shown]
	v_cmp_gt_u32_e64 s1, 32, v44
	s_waitcnt lgkmcnt(5)
	v_mul_f64 v[11:12], v[25:26], v[4:5]
	v_mul_f64 v[4:5], v[23:24], v[4:5]
	s_waitcnt lgkmcnt(2)
	v_mul_f64 v[8:9], v[47:48], v[29:30]
	v_mul_f64 v[29:30], v[45:46], v[29:30]
	s_waitcnt lgkmcnt(0)
	v_mul_f64 v[35:36], v[53:54], v[51:52]
	v_fma_f64 v[11:12], v[23:24], v[2:3], -v[11:12]
	v_fma_f64 v[23:24], v[25:26], v[2:3], v[4:5]
	v_mul_f64 v[25:26], v[55:56], v[51:52]
	v_fma_f64 v[8:9], v[45:46], v[27:28], -v[8:9]
	v_fma_f64 v[27:28], v[47:48], v[27:28], v[29:30]
	ds_read_b128 v[2:5], v22 offset:18224
	v_fma_f64 v[35:36], v[55:56], v[49:50], v[35:36]
	s_waitcnt lgkmcnt(0)
	s_barrier
	buffer_gl0_inv
	v_add_f64 v[11:12], v[11:12], 0
	v_add_f64 v[23:24], v[23:24], 0
	v_fma_f64 v[25:26], v[53:54], v[49:50], -v[25:26]
	v_mul_f64 v[29:30], v[4:5], v[33:34]
	v_mul_f64 v[33:34], v[2:3], v[33:34]
	v_add_f64 v[8:9], v[11:12], v[8:9]
	v_add_f64 v[11:12], v[23:24], v[27:28]
	v_fma_f64 v[2:3], v[2:3], v[31:32], -v[29:30]
	v_fma_f64 v[4:5], v[4:5], v[31:32], v[33:34]
	v_add_f64 v[8:9], v[8:9], v[25:26]
	v_add_f64 v[11:12], v[11:12], v[35:36]
	;; [unrolled: 1-line block ×4, first 2 shown]
	v_mul_u32_u24_e32 v2, 33, v10
	v_mov_b32_e32 v4, 0
	v_mov_b32_e32 v5, 0
	v_lshlrev_b32_e32 v45, 4, v2
	v_mov_b32_e32 v2, 0
	v_mov_b32_e32 v3, 0
	v_lshl_add_u32 v46, v13, 4, v45
	ds_write_b128 v46, v[23:26]
	s_waitcnt lgkmcnt(0)
	s_barrier
	buffer_gl0_inv
	s_and_saveexec_b32 s9, s1
	s_cbranch_execz .LBB52_59
; %bb.58:
	ds_read_b128 v[2:5], v45
	ds_read_b128 v[23:26], v45 offset:16
	s_waitcnt lgkmcnt(0)
	v_add_f64 v[8:9], v[23:24], v[2:3]
	v_add_f64 v[11:12], v[25:26], v[4:5]
	ds_read_b128 v[2:5], v45 offset:32
	ds_read_b128 v[23:26], v45 offset:48
	s_waitcnt lgkmcnt(1)
	v_add_f64 v[2:3], v[8:9], v[2:3]
	v_add_f64 v[4:5], v[11:12], v[4:5]
	s_waitcnt lgkmcnt(0)
	v_add_f64 v[8:9], v[2:3], v[23:24]
	v_add_f64 v[11:12], v[4:5], v[25:26]
	ds_read_b128 v[2:5], v45 offset:64
	ds_read_b128 v[23:26], v45 offset:80
	s_waitcnt lgkmcnt(1)
	v_add_f64 v[2:3], v[8:9], v[2:3]
	v_add_f64 v[4:5], v[11:12], v[4:5]
	;; [unrolled: 8-line block ×3, first 2 shown]
	s_waitcnt lgkmcnt(0)
	v_add_f64 v[2:3], v[2:3], v[23:24]
	v_add_f64 v[4:5], v[4:5], v[25:26]
.LBB52_59:
	s_or_b32 exec_lo, exec_lo, s9
	s_lshl_b64 s[20:21], s[16:17], 9
	v_mad_u32_u24 v17, 0x210, v13, v14
	v_add_co_u32 v23, vcc_lo, v6, s20
	v_add_co_ci_u32_e64 v24, null, s21, v7, vcc_lo
	v_add_co_u32 v6, vcc_lo, 0x200, v23
	v_add_co_ci_u32_e64 v7, null, 0, v24, vcc_lo
	s_and_b32 vcc_lo, exec_lo, s26
	s_barrier
	buffer_gl0_inv
	s_cbranch_vccz .LBB52_81
; %bb.60:
	v_sub_co_u32 v8, vcc_lo, v23, v15
	s_ashr_i32 s13, s12, 31
	v_subrev_co_ci_u32_e64 v9, null, 0, v24, vcc_lo
	s_lshl_b64 s[20:21], s[12:13], 4
	v_or_b32_e32 v11, 32, v10
	v_add_co_u32 v8, vcc_lo, v8, s20
	v_add_co_ci_u32_e64 v9, null, s21, v9, vcc_lo
	s_sub_i32 s13, s12, 32
	v_add_co_u32 v8, vcc_lo, v8, -16
	v_add_co_ci_u32_e64 v9, null, -1, v9, vcc_lo
	v_cmp_gt_i32_e32 vcc_lo, s12, v11
	v_cmp_le_i32_e64 s9, s13, v13
	v_cndmask_b32_e32 v9, v9, v7, vcc_lo
	v_cndmask_b32_e32 v8, v8, v6, vcc_lo
	s_and_saveexec_b32 s27, s9
	s_xor_b32 s9, exec_lo, s27
	s_cbranch_execz .LBB52_62
; %bb.61:
	v_mov_b32_e32 v25, 0
	v_mov_b32_e32 v26, v25
	;; [unrolled: 1-line block ×4, first 2 shown]
	ds_write_b128 v17, v[25:28]
.LBB52_62:
	s_andn2_saveexec_b32 s9, s9
	s_cbranch_execz .LBB52_64
; %bb.63:
	flat_load_dwordx4 v[25:28], v[8:9]
	s_waitcnt vmcnt(0) lgkmcnt(0)
	ds_write2_b64 v17, v[25:26], v[27:28] offset1:1
.LBB52_64:
	s_or_b32 exec_lo, exec_lo, s9
	v_add_nc_u32_e32 v11, 8, v13
	v_cmp_le_i32_e64 s9, s13, v11
	v_mad_u32_u24 v11, 0x210, v11, v14
	s_and_saveexec_b32 s27, s9
	s_xor_b32 s9, exec_lo, s27
	s_cbranch_execz .LBB52_66
; %bb.65:
	v_mov_b32_e32 v25, 0
	v_mov_b32_e32 v26, v25
	;; [unrolled: 1-line block ×4, first 2 shown]
	ds_write_b128 v11, v[25:28]
                                        ; implicit-def: $vgpr11
.LBB52_66:
	s_andn2_saveexec_b32 s27, s9
	s_cbranch_execz .LBB52_68
; %bb.67:
	s_lshl_b64 s[28:29], s[16:17], 7
	v_add_co_u32 v25, s9, v8, s28
	v_add_co_ci_u32_e64 v26, null, s29, v9, s9
	flat_load_dwordx4 v[25:28], v[25:26]
	s_waitcnt vmcnt(0) lgkmcnt(0)
	ds_write2_b64 v11, v[25:26], v[27:28] offset1:1
.LBB52_68:
	s_or_b32 exec_lo, exec_lo, s27
	v_add_nc_u32_e32 v11, 16, v13
	v_cmp_le_i32_e64 s9, s13, v11
	v_mad_u32_u24 v11, 0x210, v11, v14
	s_and_saveexec_b32 s27, s9
	s_xor_b32 s9, exec_lo, s27
	s_cbranch_execz .LBB52_70
; %bb.69:
	v_mov_b32_e32 v25, 0
	v_mov_b32_e32 v26, v25
	;; [unrolled: 1-line block ×4, first 2 shown]
	ds_write_b128 v11, v[25:28]
                                        ; implicit-def: $vgpr11
.LBB52_70:
	s_andn2_saveexec_b32 s27, s9
	s_cbranch_execz .LBB52_72
; %bb.71:
	s_lshl_b64 s[28:29], s[16:17], 8
	v_add_co_u32 v25, s9, v8, s28
	v_add_co_ci_u32_e64 v26, null, s29, v9, s9
	flat_load_dwordx4 v[25:28], v[25:26]
	s_waitcnt vmcnt(0) lgkmcnt(0)
	ds_write2_b64 v11, v[25:26], v[27:28] offset1:1
.LBB52_72:
	s_or_b32 exec_lo, exec_lo, s27
	v_add_nc_u32_e32 v11, 24, v13
	v_cmp_le_i32_e64 s9, s13, v11
	v_mad_u32_u24 v11, 0x210, v11, v14
	s_and_saveexec_b32 s13, s9
	s_xor_b32 s9, exec_lo, s13
	s_cbranch_execz .LBB52_74
; %bb.73:
	v_mov_b32_e32 v25, 0
	v_mov_b32_e32 v26, v25
	;; [unrolled: 1-line block ×4, first 2 shown]
	ds_write_b128 v11, v[25:28]
                                        ; implicit-def: $vgpr11
.LBB52_74:
	s_andn2_saveexec_b32 s9, s9
	s_cbranch_execz .LBB52_76
; %bb.75:
	v_mad_u64_u32 v[25:26], null, 0x180, s16, v[8:9]
	v_mov_b32_e32 v12, v26
	v_mad_u64_u32 v[26:27], null, 0x180, s17, v[12:13]
	flat_load_dwordx4 v[25:28], v[25:26]
	s_waitcnt vmcnt(0) lgkmcnt(0)
	ds_write2_b64 v11, v[25:26], v[27:28] offset1:1
.LBB52_76:
	s_or_b32 exec_lo, exec_lo, s9
	v_add_co_u32 v8, s9, v8, v15
	v_add_co_ci_u32_e64 v9, null, 0, v9, s9
	v_sub_co_u32 v8, s9, v8, s20
	v_subrev_co_ci_u32_e64 v9, null, s21, v9, s9
	v_add_co_u32 v8, s9, 0x210, v8
	v_add_co_ci_u32_e64 v9, null, 0, v9, s9
	v_cndmask_b32_e32 v11, v8, v6, vcc_lo
	v_cndmask_b32_e32 v12, v9, v7, vcc_lo
	s_branch .LBB52_83
.LBB52_77:
	s_andn2_saveexec_b32 s7, s7
	s_cbranch_execz .LBB52_39
.LBB52_78:
	s_mov_b32 s8, s1
	s_mov_b32 s9, exec_lo
                                        ; implicit-def: $vgpr12
	v_cmpx_eq_u32_e64 v19, v10
; %bb.79:
	v_add_nc_u32_e32 v12, v14, v16
	s_or_b32 s8, s1, exec_lo
; %bb.80:
	s_or_b32 exec_lo, exec_lo, s9
	v_mov_b32_e32 v4, 0
	v_mov_b32_e32 v5, 0
	s_andn2_b32 s1, s1, exec_lo
	s_and_b32 s8, s8, exec_lo
	s_or_b32 s1, s1, s8
	s_or_b32 exec_lo, exec_lo, s7
	s_and_saveexec_b32 s7, s1
	s_cbranch_execnz .LBB52_40
	s_branch .LBB52_41
.LBB52_81:
                                        ; implicit-def: $vgpr11_vgpr12
	s_cbranch_execz .LBB52_83
; %bb.82:
	flat_load_dwordx4 v[25:28], v[6:7]
	s_lshl_b64 s[20:21], s[16:17], 7
	v_add_nc_u32_e32 v11, 0x1080, v17
	v_add_co_u32 v8, vcc_lo, v23, s20
	v_add_co_ci_u32_e64 v9, null, s21, v24, vcc_lo
	s_waitcnt vmcnt(0) lgkmcnt(0)
	ds_write2_b64 v17, v[25:26], v[27:28] offset1:1
	flat_load_dwordx4 v[23:26], v[8:9] offset:512
	v_add_co_u32 v8, vcc_lo, v8, s20
	v_add_co_ci_u32_e64 v9, null, s21, v9, vcc_lo
	s_waitcnt vmcnt(0) lgkmcnt(0)
	ds_write2_b64 v11, v[23:24], v[25:26] offset1:1
	flat_load_dwordx4 v[23:26], v[8:9] offset:512
	v_add_co_u32 v8, vcc_lo, v8, s20
	v_add_nc_u32_e32 v11, 0x2100, v17
	v_add_co_ci_u32_e64 v9, null, s21, v9, vcc_lo
	s_waitcnt vmcnt(0) lgkmcnt(0)
	ds_write2_b64 v11, v[23:24], v[25:26] offset1:1
	flat_load_dwordx4 v[23:26], v[8:9] offset:512
	v_mov_b32_e32 v12, v7
	v_add_nc_u32_e32 v8, 0x3180, v17
	v_mov_b32_e32 v11, v6
	s_waitcnt vmcnt(0) lgkmcnt(0)
	ds_write2_b64 v8, v[23:24], v[25:26] offset1:1
.LBB52_83:
	v_mul_u32_u24_e32 v6, 0x840, v13
	s_mov_b32 s9, 0
	s_waitcnt lgkmcnt(0)
	s_barrier
	buffer_gl0_inv
                                        ; implicit-def: $vgpr23
	s_and_saveexec_b32 s13, s2
	s_xor_b32 s2, exec_lo, s13
	s_cbranch_execz .LBB52_87
; %bb.84:
	s_mov_b32 s13, exec_lo
                                        ; implicit-def: $vgpr23
	v_cmpx_eq_u32_e64 v18, v10
	s_xor_b32 s13, exec_lo, s13
; %bb.85:
	v_add_nc_u32_e32 v23, v14, v16
	s_mov_b32 s9, exec_lo
; %bb.86:
	s_or_b32 exec_lo, exec_lo, s13
	s_and_b32 s9, s9, exec_lo
.LBB52_87:
	s_or_saveexec_b32 s2, s2
	v_mov_b32_e32 v8, 0
	v_mov_b32_e32 v9, 0
	v_add_nc_u32_e32 v34, v14, v6
	v_lshl_add_u32 v18, v18, 4, v45
	s_xor_b32 exec_lo, exec_lo, s2
	s_cbranch_execz .LBB52_89
; %bb.88:
	ds_read_b128 v[6:9], v34
	v_mov_b32_e32 v23, v18
	s_or_b32 s9, s9, exec_lo
	s_waitcnt lgkmcnt(0)
	v_xor_b32_e32 v9, 0x80000000, v9
	ds_write_b64 v18, v[6:7]
.LBB52_89:
	s_or_b32 exec_lo, exec_lo, s2
	v_mul_u32_u24_e32 v6, 0x210, v19
	s_and_saveexec_b32 s2, s9
; %bb.90:
	ds_write_b64 v23, v[8:9] offset:8
; %bb.91:
	s_or_b32 exec_lo, exec_lo, s2
	v_add_nc_u32_e32 v47, v14, v6
	s_mov_b32 s2, 0
                                        ; implicit-def: $vgpr8_vgpr9
                                        ; implicit-def: $vgpr23
	s_and_saveexec_b32 s9, s3
	s_xor_b32 s3, exec_lo, s9
	s_cbranch_execz .LBB52_131
; %bb.92:
	ds_read_b128 v[6:9], v47
	s_mov_b32 s2, exec_lo
	v_add_nc_u32_e32 v23, 16, v18
                                        ; implicit-def: $vgpr19
	s_waitcnt lgkmcnt(0)
	v_xor_b32_e32 v9, 0x80000000, v9
	ds_write_b64 v18, v[6:7] offset:16
	s_andn2_saveexec_b32 s3, s3
	s_cbranch_execnz .LBB52_132
.LBB52_93:
	s_or_b32 exec_lo, exec_lo, s3
	s_and_saveexec_b32 s3, s2
.LBB52_94:
	ds_write_b64 v23, v[8:9] offset:8
.LBB52_95:
	s_or_b32 exec_lo, exec_lo, s3
	s_mov_b32 s2, 0
                                        ; implicit-def: $vgpr19
	s_and_saveexec_b32 s3, s7
	s_xor_b32 s3, exec_lo, s3
	s_cbranch_execz .LBB52_99
; %bb.96:
	s_mov_b32 s7, exec_lo
                                        ; implicit-def: $vgpr19
	v_cmpx_eq_u32_e64 v20, v10
; %bb.97:
	v_add_nc_u32_e32 v19, v14, v16
	s_mov_b32 s2, exec_lo
; %bb.98:
	s_or_b32 exec_lo, exec_lo, s7
	s_and_b32 s2, s2, exec_lo
.LBB52_99:
	s_or_saveexec_b32 s3, s3
	v_mov_b32_e32 v8, 0
	v_mov_b32_e32 v9, 0
	s_xor_b32 exec_lo, exec_lo, s3
	s_cbranch_execz .LBB52_101
; %bb.100:
	ds_read_b128 v[6:9], v47 offset:528
	v_add_nc_u32_e32 v19, 32, v18
	s_or_b32 s2, s2, exec_lo
	s_waitcnt lgkmcnt(0)
	v_xor_b32_e32 v9, 0x80000000, v9
	ds_write_b64 v18, v[6:7] offset:32
.LBB52_101:
	s_or_b32 exec_lo, exec_lo, s3
	s_and_saveexec_b32 s3, s2
; %bb.102:
	ds_write_b64 v19, v[8:9] offset:8
; %bb.103:
	s_or_b32 exec_lo, exec_lo, s3
	s_mov_b32 s2, 0
                                        ; implicit-def: $vgpr19
	s_and_saveexec_b32 s3, s8
	s_xor_b32 s3, exec_lo, s3
	s_cbranch_execz .LBB52_107
; %bb.104:
	s_mov_b32 s7, exec_lo
                                        ; implicit-def: $vgpr19
	v_cmpx_eq_u32_e64 v21, v10
; %bb.105:
	v_add_nc_u32_e32 v19, v14, v16
	s_mov_b32 s2, exec_lo
; %bb.106:
	s_or_b32 exec_lo, exec_lo, s7
	s_and_b32 s2, s2, exec_lo
                                        ; implicit-def: $vgpr18
.LBB52_107:
	s_or_saveexec_b32 s3, s3
	v_mov_b32_e32 v8, 0
	v_mov_b32_e32 v9, 0
	s_xor_b32 exec_lo, exec_lo, s3
	s_cbranch_execz .LBB52_109
; %bb.108:
	ds_read_b128 v[6:9], v47 offset:1056
	v_add_nc_u32_e32 v19, 48, v18
	s_or_b32 s2, s2, exec_lo
	s_waitcnt lgkmcnt(0)
	v_xor_b32_e32 v9, 0x80000000, v9
	ds_write_b64 v18, v[6:7] offset:48
.LBB52_109:
	s_or_b32 exec_lo, exec_lo, s3
	v_add_nc_u32_e32 v16, 0x4700, v22
	s_and_saveexec_b32 s3, s2
; %bb.110:
	ds_write_b64 v19, v[8:9] offset:8
; %bb.111:
	s_or_b32 exec_lo, exec_lo, s3
	s_waitcnt lgkmcnt(0)
	s_barrier
	buffer_gl0_inv
	ds_read_b128 v[6:9], v34
	ds_read_b128 v[18:21], v16 offset:512
	ds_read_b128 v[22:25], v16 offset:528
	ds_read_b128 v[26:29], v47
	ds_read_b128 v[30:33], v47 offset:1056
	ds_read_b128 v[48:51], v16 offset:544
	;; [unrolled: 1-line block ×3, first 2 shown]
	v_cmp_eq_u32_e64 s2, 1, v13
	s_waitcnt lgkmcnt(5)
	v_mul_f64 v[35:36], v[20:21], v[8:9]
	v_mul_f64 v[8:9], v[18:19], v[8:9]
	s_waitcnt lgkmcnt(3)
	v_mul_f64 v[42:43], v[24:25], v[28:29]
	v_mul_f64 v[28:29], v[22:23], v[28:29]
	v_fma_f64 v[18:19], v[18:19], v[6:7], -v[35:36]
	v_fma_f64 v[20:21], v[20:21], v[6:7], v[8:9]
	s_waitcnt lgkmcnt(0)
	v_mul_f64 v[35:36], v[50:51], v[54:55]
	v_mul_f64 v[54:55], v[48:49], v[54:55]
	v_fma_f64 v[22:23], v[22:23], v[26:27], -v[42:43]
	v_fma_f64 v[24:25], v[24:25], v[26:27], v[28:29]
	ds_read_b128 v[6:9], v16 offset:560
	s_waitcnt lgkmcnt(0)
	s_barrier
	buffer_gl0_inv
	v_add_f64 v[18:19], v[18:19], 0
	v_add_f64 v[20:21], v[20:21], 0
	v_mul_f64 v[26:27], v[8:9], v[32:33]
	v_mul_f64 v[28:29], v[6:7], v[32:33]
	v_fma_f64 v[32:33], v[48:49], v[52:53], -v[35:36]
	v_fma_f64 v[35:36], v[50:51], v[52:53], v[54:55]
	v_add_f64 v[18:19], v[18:19], v[22:23]
	v_add_f64 v[20:21], v[20:21], v[24:25]
	v_fma_f64 v[6:7], v[6:7], v[30:31], -v[26:27]
	v_fma_f64 v[8:9], v[8:9], v[30:31], v[28:29]
	v_add_f64 v[18:19], v[18:19], v[32:33]
	v_add_f64 v[20:21], v[20:21], v[35:36]
	;; [unrolled: 1-line block ×4, first 2 shown]
	ds_write_b128 v46, v[6:9]
	s_waitcnt lgkmcnt(0)
	s_barrier
	buffer_gl0_inv
	s_and_saveexec_b32 s3, s2
	s_cbranch_execz .LBB52_113
; %bb.112:
	ds_read_b128 v[2:5], v45
	ds_read_b128 v[6:9], v45 offset:16
	s_waitcnt lgkmcnt(0)
	v_add_f64 v[18:19], v[6:7], v[2:3]
	v_add_f64 v[20:21], v[8:9], v[4:5]
	ds_read_b128 v[2:5], v45 offset:32
	ds_read_b128 v[6:9], v45 offset:48
	s_waitcnt lgkmcnt(1)
	v_add_f64 v[2:3], v[18:19], v[2:3]
	v_add_f64 v[4:5], v[20:21], v[4:5]
	s_waitcnt lgkmcnt(0)
	v_add_f64 v[18:19], v[2:3], v[6:7]
	v_add_f64 v[20:21], v[4:5], v[8:9]
	ds_read_b128 v[2:5], v45 offset:64
	ds_read_b128 v[6:9], v45 offset:80
	s_waitcnt lgkmcnt(1)
	v_add_f64 v[2:3], v[18:19], v[2:3]
	v_add_f64 v[4:5], v[20:21], v[4:5]
	s_waitcnt lgkmcnt(0)
	v_add_f64 v[18:19], v[2:3], v[6:7]
	v_add_f64 v[20:21], v[4:5], v[8:9]
	ds_read_b128 v[2:5], v45 offset:96
	ds_read_b128 v[6:9], v45 offset:112
	s_waitcnt lgkmcnt(1)
	v_add_f64 v[2:3], v[18:19], v[2:3]
	v_add_f64 v[4:5], v[20:21], v[4:5]
	s_waitcnt lgkmcnt(0)
	v_add_f64 v[2:3], v[2:3], v[6:7]
	v_add_f64 v[4:5], v[4:5], v[8:9]
.LBB52_113:
	s_or_b32 exec_lo, exec_lo, s3
	v_add_co_u32 v6, vcc_lo, 0xfffffe00, v11
	v_add_co_ci_u32_e64 v7, null, -1, v12, vcc_lo
	s_and_b32 vcc_lo, exec_lo, s26
	s_barrier
	buffer_gl0_inv
	s_cbranch_vccz .LBB52_135
; %bb.114:
	v_sub_co_u32 v8, vcc_lo, v6, v15
	s_ashr_i32 s13, s12, 31
	v_subrev_co_ci_u32_e64 v9, null, 0, v7, vcc_lo
	s_lshl_b64 s[8:9], s[12:13], 4
	s_sub_i32 s7, s12, 32
	v_add_co_u32 v8, vcc_lo, v8, s8
	v_add_co_ci_u32_e64 v9, null, s9, v9, vcc_lo
	v_cmp_le_i32_e64 s3, s7, v13
	v_add_co_u32 v8, vcc_lo, v8, -16
	v_add_co_ci_u32_e64 v9, null, -1, v9, vcc_lo
	v_cmp_gt_i32_e32 vcc_lo, s12, v10
	v_cndmask_b32_e32 v9, v9, v7, vcc_lo
	v_cndmask_b32_e32 v8, v8, v6, vcc_lo
	s_and_saveexec_b32 s13, s3
	s_xor_b32 s3, exec_lo, s13
	s_cbranch_execz .LBB52_116
; %bb.115:
	v_mov_b32_e32 v18, 0
	v_mov_b32_e32 v19, v18
	;; [unrolled: 1-line block ×4, first 2 shown]
	ds_write_b128 v17, v[18:21]
.LBB52_116:
	s_andn2_saveexec_b32 s3, s3
	s_cbranch_execz .LBB52_118
; %bb.117:
	flat_load_dwordx4 v[18:21], v[8:9]
	s_waitcnt vmcnt(0) lgkmcnt(0)
	ds_write2_b64 v17, v[18:19], v[20:21] offset1:1
.LBB52_118:
	s_or_b32 exec_lo, exec_lo, s3
	v_add_nc_u32_e32 v10, 8, v13
	v_cmp_le_i32_e64 s3, s7, v10
	v_mad_u32_u24 v11, 0x210, v10, v14
	s_and_saveexec_b32 s13, s3
	s_xor_b32 s3, exec_lo, s13
	s_cbranch_execz .LBB52_120
; %bb.119:
	v_mov_b32_e32 v18, 0
	v_mov_b32_e32 v19, v18
	;; [unrolled: 1-line block ×4, first 2 shown]
	ds_write_b128 v11, v[18:21]
                                        ; implicit-def: $vgpr11
.LBB52_120:
	s_andn2_saveexec_b32 s13, s3
	s_cbranch_execz .LBB52_122
; %bb.121:
	s_lshl_b64 s[20:21], s[16:17], 7
	v_add_co_u32 v18, s3, v8, s20
	v_add_co_ci_u32_e64 v19, null, s21, v9, s3
	flat_load_dwordx4 v[18:21], v[18:19]
	s_waitcnt vmcnt(0) lgkmcnt(0)
	ds_write2_b64 v11, v[18:19], v[20:21] offset1:1
.LBB52_122:
	s_or_b32 exec_lo, exec_lo, s13
	v_add_nc_u32_e32 v12, 16, v13
	v_cmp_le_i32_e64 s3, s7, v12
	v_mad_u32_u24 v11, 0x210, v12, v14
	s_and_saveexec_b32 s13, s3
	s_xor_b32 s3, exec_lo, s13
	s_cbranch_execz .LBB52_124
; %bb.123:
	v_mov_b32_e32 v18, 0
	v_mov_b32_e32 v19, v18
	;; [unrolled: 1-line block ×4, first 2 shown]
	ds_write_b128 v11, v[18:21]
                                        ; implicit-def: $vgpr11
.LBB52_124:
	s_andn2_saveexec_b32 s13, s3
	s_cbranch_execz .LBB52_126
; %bb.125:
	s_lshl_b64 s[20:21], s[16:17], 8
	v_add_co_u32 v18, s3, v8, s20
	v_add_co_ci_u32_e64 v19, null, s21, v9, s3
	flat_load_dwordx4 v[18:21], v[18:19]
	s_waitcnt vmcnt(0) lgkmcnt(0)
	ds_write2_b64 v11, v[18:19], v[20:21] offset1:1
.LBB52_126:
	s_or_b32 exec_lo, exec_lo, s13
	v_add_nc_u32_e32 v11, 24, v13
	v_cmp_le_i32_e64 s3, s7, v11
	v_mad_u32_u24 v18, 0x210, v11, v14
	s_and_saveexec_b32 s7, s3
	s_xor_b32 s3, exec_lo, s7
	s_cbranch_execz .LBB52_128
; %bb.127:
	v_mov_b32_e32 v19, 0
	v_mov_b32_e32 v20, v19
	;; [unrolled: 1-line block ×4, first 2 shown]
	ds_write_b128 v18, v[19:22]
                                        ; implicit-def: $vgpr18
.LBB52_128:
	s_andn2_saveexec_b32 s3, s3
	s_cbranch_execz .LBB52_130
; %bb.129:
	v_mad_u64_u32 v[19:20], null, 0x180, s16, v[8:9]
	v_mad_u64_u32 v[20:21], null, 0x180, s17, v[20:21]
	flat_load_dwordx4 v[19:22], v[19:20]
	s_waitcnt vmcnt(0) lgkmcnt(0)
	ds_write2_b64 v18, v[19:20], v[21:22] offset1:1
.LBB52_130:
	s_or_b32 exec_lo, exec_lo, s3
	v_add_co_u32 v8, s3, v8, v15
	v_add_co_ci_u32_e64 v9, null, 0, v9, s3
	v_sub_co_u32 v8, s3, v8, s8
	v_subrev_co_ci_u32_e64 v9, null, s9, v9, s3
	v_add_co_u32 v8, s3, v8, 16
	v_add_co_ci_u32_e64 v9, null, 0, v9, s3
	v_cndmask_b32_e32 v42, v8, v6, vcc_lo
	v_cndmask_b32_e32 v43, v9, v7, vcc_lo
	s_branch .LBB52_137
.LBB52_131:
	s_andn2_saveexec_b32 s3, s3
	s_cbranch_execz .LBB52_93
.LBB52_132:
	s_mov_b32 s9, s2
	s_mov_b32 s13, exec_lo
                                        ; implicit-def: $vgpr23
	v_cmpx_eq_u32_e64 v19, v10
; %bb.133:
	v_add_nc_u32_e32 v23, v14, v16
	s_or_b32 s9, s2, exec_lo
; %bb.134:
	s_or_b32 exec_lo, exec_lo, s13
	v_mov_b32_e32 v8, 0
	v_mov_b32_e32 v9, 0
	s_andn2_b32 s2, s2, exec_lo
	s_and_b32 s9, s9, exec_lo
	s_or_b32 s2, s2, s9
	s_or_b32 exec_lo, exec_lo, s3
	s_and_saveexec_b32 s3, s2
	s_cbranch_execnz .LBB52_94
	s_branch .LBB52_95
.LBB52_135:
                                        ; implicit-def: $vgpr42_vgpr43
                                        ; implicit-def: $vgpr10
                                        ; implicit-def: $vgpr12
                                        ; implicit-def: $vgpr11
	s_cbranch_execz .LBB52_137
; %bb.136:
	flat_load_dwordx4 v[8:11], v[6:7]
	s_lshl_b64 s[8:9], s[16:17], 7
	v_mov_b32_e32 v43, v7
	v_add_co_u32 v21, vcc_lo, v6, s8
	v_add_co_ci_u32_e64 v22, null, s9, v7, vcc_lo
	v_add_nc_u32_e32 v12, 16, v13
	v_mov_b32_e32 v42, v6
	s_waitcnt vmcnt(0) lgkmcnt(0)
	ds_write2_b64 v17, v[8:9], v[10:11] offset1:1
	flat_load_dwordx4 v[17:20], v[21:22]
	v_add_nc_u32_e32 v10, 8, v13
	v_add_co_u32 v8, vcc_lo, v21, s8
	v_add_co_ci_u32_e64 v9, null, s9, v22, vcc_lo
	v_mad_u32_u24 v14, 0x210, v10, v14
	v_add_nc_u32_e32 v11, 0x1080, v14
	s_waitcnt vmcnt(0) lgkmcnt(0)
	ds_write2_b64 v14, v[17:18], v[19:20] offset1:1
	flat_load_dwordx4 v[17:20], v[8:9]
	v_add_co_u32 v8, vcc_lo, v8, s8
	v_add_co_ci_u32_e64 v9, null, s9, v9, vcc_lo
	s_waitcnt vmcnt(0) lgkmcnt(0)
	ds_write2_b64 v11, v[17:18], v[19:20] offset1:1
	flat_load_dwordx4 v[17:20], v[8:9]
	v_add_nc_u32_e32 v11, 24, v13
	v_add_nc_u32_e32 v8, 0x2100, v14
	s_waitcnt vmcnt(0) lgkmcnt(0)
	ds_write2_b64 v8, v[17:18], v[19:20] offset1:1
.LBB52_137:
	v_lshlrev_b32_e32 v13, 4, v13
	s_waitcnt lgkmcnt(0)
	s_barrier
	buffer_gl0_inv
	v_lshlrev_b32_e32 v10, 4, v10
	v_add_nc_u32_e32 v6, v45, v13
	ds_read_b128 v[6:9], v6
	ds_read_b128 v[17:20], v13 offset:18176
	v_add_nc_u32_e32 v13, v45, v10
	ds_read_b128 v[21:24], v13
	ds_read_b128 v[25:28], v10 offset:18176
	v_lshlrev_b32_e32 v10, 4, v12
	v_add_nc_u32_e32 v12, v45, v10
	ds_read_b128 v[12:15], v12
	ds_read_b128 v[29:32], v10 offset:18176
	v_lshlrev_b32_e32 v10, 4, v11
	s_waitcnt lgkmcnt(4)
	v_mul_f64 v[35:36], v[8:9], v[19:20]
	v_mul_f64 v[8:9], v[8:9], v[17:18]
	s_waitcnt lgkmcnt(2)
	v_mul_f64 v[48:49], v[23:24], v[27:28]
	v_mul_f64 v[23:24], v[23:24], v[25:26]
	v_fma_f64 v[35:36], v[6:7], v[17:18], v[35:36]
	v_fma_f64 v[50:51], v[6:7], v[19:20], -v[8:9]
	v_add_nc_u32_e32 v6, v45, v10
	ds_read_b128 v[6:9], v6
	ds_read_b128 v[17:20], v10 offset:18176
	s_waitcnt lgkmcnt(2)
	v_mul_f64 v[10:11], v[14:15], v[31:32]
	v_mul_f64 v[14:15], v[14:15], v[29:30]
	v_fma_f64 v[25:26], v[21:22], v[25:26], v[48:49]
	v_fma_f64 v[21:22], v[21:22], v[27:28], -v[23:24]
	v_add_f64 v[23:24], v[35:36], 0
	v_add_f64 v[27:28], v[50:51], 0
	s_waitcnt lgkmcnt(0)
	v_mul_f64 v[35:36], v[8:9], v[19:20]
	v_mul_f64 v[8:9], v[8:9], v[17:18]
	v_fma_f64 v[10:11], v[12:13], v[29:30], v[10:11]
	v_fma_f64 v[12:13], v[12:13], v[31:32], -v[14:15]
	v_add_f64 v[14:15], v[23:24], v[25:26]
	v_add_f64 v[21:22], v[27:28], v[21:22]
	v_fma_f64 v[17:18], v[6:7], v[17:18], v[35:36]
	v_fma_f64 v[6:7], v[6:7], v[19:20], -v[8:9]
	v_add_f64 v[8:9], v[14:15], v[10:11]
	v_add_f64 v[10:11], v[21:22], v[12:13]
	ds_read_b128 v[30:33], v16 offset:512
	ds_read_b128 v[22:25], v16 offset:528
	v_add_f64 v[48:49], v[8:9], v[17:18]
	v_add_f64 v[50:51], v[10:11], v[6:7]
	ds_read_b128 v[10:13], v16 offset:544
	ds_read_b128 v[6:9], v16 offset:560
	ds_read_b128 v[26:29], v47
	ds_read_b128 v[18:21], v47 offset:528
	ds_read_b128 v[34:37], v34
	ds_read_b128 v[14:17], v47 offset:1056
	s_waitcnt lgkmcnt(0)
	s_barrier
	buffer_gl0_inv
	ds_write_b128 v46, v[48:51]
	s_waitcnt lgkmcnt(0)
	s_barrier
	buffer_gl0_inv
	s_and_saveexec_b32 s3, s2
	s_cbranch_execz .LBB52_139
; %bb.138:
	ds_read_b128 v[47:50], v45
	ds_read_b128 v[51:54], v45 offset:16
	s_waitcnt lgkmcnt(1)
	v_add_f64 v[2:3], v[2:3], v[47:48]
	v_add_f64 v[4:5], v[4:5], v[49:50]
	s_waitcnt lgkmcnt(0)
	v_add_f64 v[51:52], v[2:3], v[51:52]
	v_add_f64 v[53:54], v[4:5], v[53:54]
	ds_read_b128 v[2:5], v45 offset:32
	ds_read_b128 v[47:50], v45 offset:48
	s_waitcnt lgkmcnt(1)
	v_add_f64 v[2:3], v[51:52], v[2:3]
	v_add_f64 v[4:5], v[53:54], v[4:5]
	s_waitcnt lgkmcnt(0)
	v_add_f64 v[51:52], v[2:3], v[47:48]
	v_add_f64 v[53:54], v[4:5], v[49:50]
	ds_read_b128 v[2:5], v45 offset:64
	;; [unrolled: 8-line block ×3, first 2 shown]
	ds_read_b128 v[47:50], v45 offset:112
	s_waitcnt lgkmcnt(1)
	v_add_f64 v[2:3], v[51:52], v[2:3]
	v_add_f64 v[4:5], v[53:54], v[4:5]
	s_waitcnt lgkmcnt(0)
	v_add_f64 v[2:3], v[2:3], v[47:48]
	v_add_f64 v[4:5], v[4:5], v[49:50]
.LBB52_139:
	s_or_b32 exec_lo, exec_lo, s3
	v_mul_f64 v[47:48], v[32:33], v[36:37]
	v_mul_f64 v[36:37], v[30:31], v[36:37]
	;; [unrolled: 1-line block ×4, first 2 shown]
	s_barrier
	buffer_gl0_inv
	v_fma_f64 v[30:31], v[30:31], v[34:35], -v[47:48]
	v_fma_f64 v[32:33], v[32:33], v[34:35], v[36:37]
	v_mul_f64 v[34:35], v[12:13], v[20:21]
	v_mul_f64 v[20:21], v[10:11], v[20:21]
	v_fma_f64 v[22:23], v[22:23], v[26:27], -v[49:50]
	v_fma_f64 v[24:25], v[24:25], v[26:27], v[28:29]
	v_add_f64 v[26:27], v[30:31], 0
	v_add_f64 v[28:29], v[32:33], 0
	v_mul_f64 v[30:31], v[8:9], v[16:17]
	v_mul_f64 v[16:17], v[6:7], v[16:17]
	v_fma_f64 v[10:11], v[10:11], v[18:19], -v[34:35]
	v_fma_f64 v[12:13], v[12:13], v[18:19], v[20:21]
	v_add_f64 v[18:19], v[26:27], v[22:23]
	v_add_f64 v[20:21], v[28:29], v[24:25]
	v_fma_f64 v[6:7], v[6:7], v[14:15], -v[30:31]
	v_fma_f64 v[8:9], v[8:9], v[14:15], v[16:17]
	v_add_f64 v[10:11], v[18:19], v[10:11]
	v_add_f64 v[12:13], v[20:21], v[12:13]
	;; [unrolled: 1-line block ×4, first 2 shown]
	ds_write_b128 v46, v[6:9]
	s_waitcnt lgkmcnt(0)
	s_barrier
	buffer_gl0_inv
	s_and_saveexec_b32 s2, s1
	s_cbranch_execz .LBB52_141
; %bb.140:
	ds_read_b128 v[6:9], v45
	ds_read_b128 v[10:13], v45 offset:16
	s_waitcnt lgkmcnt(1)
	v_add_f64 v[2:3], v[2:3], v[6:7]
	v_add_f64 v[4:5], v[4:5], v[8:9]
	s_waitcnt lgkmcnt(0)
	v_add_f64 v[10:11], v[2:3], v[10:11]
	v_add_f64 v[12:13], v[4:5], v[12:13]
	ds_read_b128 v[2:5], v45 offset:32
	ds_read_b128 v[6:9], v45 offset:48
	s_waitcnt lgkmcnt(1)
	v_add_f64 v[2:3], v[10:11], v[2:3]
	v_add_f64 v[4:5], v[12:13], v[4:5]
	s_waitcnt lgkmcnt(0)
	v_add_f64 v[10:11], v[2:3], v[6:7]
	v_add_f64 v[12:13], v[4:5], v[8:9]
	ds_read_b128 v[2:5], v45 offset:64
	ds_read_b128 v[6:9], v45 offset:80
	s_waitcnt lgkmcnt(1)
	v_add_f64 v[2:3], v[10:11], v[2:3]
	v_add_f64 v[4:5], v[12:13], v[4:5]
	s_waitcnt lgkmcnt(0)
	v_add_f64 v[10:11], v[2:3], v[6:7]
	v_add_f64 v[12:13], v[4:5], v[8:9]
	ds_read_b128 v[2:5], v45 offset:96
	ds_read_b128 v[6:9], v45 offset:112
	s_waitcnt lgkmcnt(1)
	v_add_f64 v[2:3], v[10:11], v[2:3]
	v_add_f64 v[4:5], v[12:13], v[4:5]
	s_waitcnt lgkmcnt(0)
	v_add_f64 v[2:3], v[2:3], v[6:7]
	v_add_f64 v[4:5], v[4:5], v[8:9]
.LBB52_141:
	s_or_b32 exec_lo, exec_lo, s2
	s_load_dwordx2 s[2:3], s[4:5], 0x78
	s_mul_hi_u32 s1, s24, s18
	s_mul_i32 s25, s25, s18
	s_mul_i32 s4, s24, s18
	s_add_i32 s1, s1, s25
	s_mul_hi_u32 s5, s4, s19
	s_mul_i32 s1, s1, s19
	s_mul_i32 s4, s4, s19
	s_add_i32 s5, s5, s1
	s_mul_hi_i32 s9, s24, s6
	s_lshl_b64 s[4:5], s[4:5], 4
	s_mul_i32 s8, s24, s6
	v_lshlrev_b32_e32 v169, 4, v0
	s_waitcnt lgkmcnt(0)
	s_barrier
	buffer_gl0_inv
	s_add_u32 s1, s2, s4
	s_addc_u32 s2, s3, s5
	s_lshl_b64 s[4:5], s[8:9], 4
	s_add_u32 s3, s1, s4
	s_addc_u32 s7, s2, s5
	s_add_i32 s1, s6, 1
	s_cmp_ge_u32 s1, s19
	s_cbranch_scc1 .LBB52_199
; %bb.142:
	v_lshlrev_b32_e32 v15, 6, v1
	v_lshrrev_b32_e32 v6, 4, v44
	v_and_b32_e32 v7, 15, v0
	v_and_b32_e32 v8, 48, v0
	v_or_b32_e32 v10, 0xf0, v169
	s_mul_i32 s1, s10, s15
	v_lshlrev_b32_e32 v9, 6, v6
	v_mul_i32_i24_e32 v16, 0xffffffd0, v6
	v_lshlrev_b32_e32 v8, 4, v8
	v_mad_u32_u24 v179, 0x430, v7, v10
	v_add_nc_u32_e32 v10, 0x220, v15
	v_mad_u32_u24 v177, 0x430, v7, v9
	s_mul_hi_u32 s2, s10, s14
	v_mad_u32_u24 v178, 0x430, v7, v8
	s_mul_i32 s4, s11, s14
	v_mad_u64_u32 v[7:8], null, s16, v10, 0
	s_add_i32 s1, s2, s1
	v_add_nc_u32_e32 v12, 0x530, v15
	s_add_i32 s5, s1, s4
	s_mul_i32 s4, s10, s14
	v_add_nc_u32_e32 v17, 0x210, v15
	s_lshl_b64 s[4:5], s[4:5], 4
	v_mov_b32_e32 v6, v8
	v_sub_co_u32 v171, vcc_lo, v40, s4
	v_subrev_co_ci_u32_e64 v172, null, s5, v41, vcc_lo
	v_mad_u64_u32 v[10:11], null, s17, v10, v[6:7]
	v_sub_co_u32 v7, vcc_lo, v7, v38
	v_mad_u64_u32 v[8:9], null, s16, v12, 0
	v_add_nc_u32_e32 v18, 0x500, v15
	v_add_nc_u32_e32 v174, 0x4300, v15
	v_sub_co_ci_u32_e64 v14, null, v10, v39, vcc_lo
	v_mad_u64_u32 v[10:11], null, s16, v17, 0
	v_add_co_u32 v195, vcc_lo, v42, v7
	v_add_co_ci_u32_e64 v196, null, v43, v14, vcc_lo
	v_lshlrev_b32_e32 v170, 2, v1
	v_add_nc_u32_e32 v173, 0x4300, v169
	v_mad_u64_u32 v[12:13], null, s17, v12, v[9:10]
	v_sub_co_u32 v9, vcc_lo, v8, v38
	v_mov_b32_e32 v7, v11
	v_mad_u64_u32 v[13:14], null, s16, v18, 0
	v_add_nc_u32_e32 v175, 0x4700, v169
	v_sub_co_ci_u32_e64 v11, null, v12, v39, vcc_lo
	v_add_nc_u32_e32 v12, 0x200, v15
	v_add_co_u32 v197, vcc_lo, v42, v9
	v_mad_u64_u32 v[7:8], null, s17, v17, v[7:8]
	v_add_co_ci_u32_e64 v198, null, v43, v11, vcc_lo
	v_sub_co_u32 v11, vcc_lo, v10, v38
	v_mad_u64_u32 v[9:10], null, s16, v12, 0
	v_mov_b32_e32 v8, v14
	v_sub_co_ci_u32_e64 v14, null, v7, v39, vcc_lo
	v_add_nc_u32_e32 v17, 0x510, v15
	v_add_co_u32 v199, vcc_lo, v42, v11
	v_mad_u64_u32 v[7:8], null, s17, v18, v[8:9]
	v_add_co_ci_u32_e64 v200, null, v43, v14, vcc_lo
	v_sub_co_u32 v13, vcc_lo, v13, v38
	v_mov_b32_e32 v8, v10
	v_mad_u64_u32 v[10:11], null, s16, v17, 0
	v_sub_co_ci_u32_e64 v14, null, v7, v39, vcc_lo
	v_add_co_u32 v201, vcc_lo, v42, v13
	v_mad_u64_u32 v[7:8], null, s17, v12, v[8:9]
	v_add_co_ci_u32_e64 v202, null, v43, v14, vcc_lo
	v_add_nc_u32_e32 v14, 0x230, v15
	v_mov_b32_e32 v8, v11
	v_sub_co_u32 v9, vcc_lo, v9, v38
	v_sub_co_ci_u32_e64 v13, null, v7, v39, vcc_lo
	v_mad_u64_u32 v[11:12], null, s16, v14, 0
	v_mad_u64_u32 v[7:8], null, s17, v17, v[8:9]
	v_add_nc_u32_e32 v17, 0x320, v15
	v_add_co_u32 v203, vcc_lo, v42, v9
	v_add_co_ci_u32_e64 v204, null, v43, v13, vcc_lo
	v_mov_b32_e32 v8, v12
	v_mad_u64_u32 v[12:13], null, s16, v17, 0
	v_sub_co_u32 v9, vcc_lo, v10, v38
	v_sub_co_ci_u32_e64 v10, null, v7, v39, vcc_lo
	v_mad_u32_u24 v176, 0x10c0, v1, v169
	v_mad_u64_u32 v[7:8], null, s17, v14, v[8:9]
	v_mov_b32_e32 v8, v13
	v_add_nc_u32_e32 v13, 0x520, v15
	v_add_co_u32 v205, vcc_lo, v42, v9
	v_add_co_ci_u32_e64 v206, null, v43, v10, vcc_lo
	v_mad_u64_u32 v[9:10], null, s16, v13, 0
	v_sub_co_u32 v11, vcc_lo, v11, v38
	v_sub_co_ci_u32_e64 v14, null, v7, v39, vcc_lo
	v_cmp_gt_u32_e64 s1, 64, v44
	v_add_co_u32 v207, vcc_lo, v42, v11
	v_mad_u64_u32 v[7:8], null, s17, v17, v[8:9]
	v_add_nc_u32_e32 v17, 0x430, v15
	v_add_co_ci_u32_e64 v208, null, v43, v14, vcc_lo
	v_sub_co_u32 v12, vcc_lo, v12, v38
	v_mov_b32_e32 v8, v10
	v_mad_u64_u32 v[10:11], null, s16, v17, 0
	v_sub_co_ci_u32_e64 v14, null, v7, v39, vcc_lo
	v_add_co_u32 v209, vcc_lo, v42, v12
	v_mad_u64_u32 v[7:8], null, s17, v13, v[8:9]
	v_add_co_ci_u32_e64 v210, null, v43, v14, vcc_lo
	v_add_nc_u32_e32 v14, 0x310, v15
	v_mov_b32_e32 v8, v11
	v_sub_co_u32 v9, vcc_lo, v9, v38
	v_sub_co_ci_u32_e64 v13, null, v7, v39, vcc_lo
	v_mad_u64_u32 v[11:12], null, s16, v14, 0
	v_mad_u64_u32 v[7:8], null, s17, v17, v[8:9]
	v_add_nc_u32_e32 v17, 0x400, v15
	v_add_co_u32 v211, vcc_lo, v42, v9
	v_add_co_ci_u32_e64 v212, null, v43, v13, vcc_lo
	v_mov_b32_e32 v8, v12
	v_mad_u64_u32 v[12:13], null, s16, v17, 0
	v_sub_co_u32 v9, vcc_lo, v10, v38
	v_sub_co_ci_u32_e64 v10, null, v7, v39, vcc_lo
	v_or_b32_e32 v180, 1, v170
	v_mad_u64_u32 v[7:8], null, s17, v14, v[8:9]
	v_mov_b32_e32 v8, v13
	v_add_nc_u32_e32 v13, 0x300, v15
	v_add_co_u32 v213, vcc_lo, v42, v9
	v_add_co_ci_u32_e64 v214, null, v43, v10, vcc_lo
	v_mad_u64_u32 v[9:10], null, s16, v13, 0
	v_sub_co_u32 v11, vcc_lo, v11, v38
	v_sub_co_ci_u32_e64 v14, null, v7, v39, vcc_lo
	v_or_b32_e32 v181, 2, v170
	v_add_co_u32 v215, vcc_lo, v42, v11
	v_mad_u64_u32 v[7:8], null, s17, v17, v[8:9]
	v_add_nc_u32_e32 v17, 0x410, v15
	v_mov_b32_e32 v8, v10
	v_add_co_ci_u32_e64 v216, null, v43, v14, vcc_lo
	v_sub_co_u32 v12, vcc_lo, v12, v38
	v_mad_u64_u32 v[10:11], null, s16, v17, 0
	v_sub_co_ci_u32_e64 v14, null, v7, v39, vcc_lo
	v_mad_u64_u32 v[7:8], null, s17, v13, v[8:9]
	v_add_co_u32 v217, vcc_lo, v42, v12
	v_add_co_ci_u32_e64 v218, null, v43, v14, vcc_lo
	v_mov_b32_e32 v8, v11
	v_sub_co_u32 v11, vcc_lo, v9, v38
	v_sub_co_ci_u32_e64 v12, null, v7, v39, vcc_lo
	v_add_nc_u32_e32 v14, 0x420, v15
	v_add_nc_u32_e32 v13, 0x330, v15
	v_add_co_u32 v219, vcc_lo, v42, v11
	v_mad_u64_u32 v[7:8], null, s17, v17, v[8:9]
	v_add_co_ci_u32_e64 v220, null, v43, v12, vcc_lo
	v_mad_u64_u32 v[11:12], null, s16, v14, 0
	v_mad_u64_u32 v[8:9], null, s16, v13, 0
	v_sub_co_u32 v15, vcc_lo, v10, v38
	v_sub_co_ci_u32_e64 v17, null, v7, v39, vcc_lo
	v_mov_b32_e32 v7, v12
	v_add_co_u32 v221, vcc_lo, v42, v15
	v_mad_u64_u32 v[9:10], null, s17, v13, v[9:10]
	v_mad_u64_u32 v[12:13], null, s17, v14, v[7:8]
	v_add_co_ci_u32_e64 v222, null, v43, v17, vcc_lo
	v_sub_co_u32 v7, vcc_lo, v8, v38
	v_sub_co_ci_u32_e64 v8, null, v9, v39, vcc_lo
	v_sub_co_u32 v9, vcc_lo, v11, v38
	v_sub_co_ci_u32_e64 v10, null, v12, v39, vcc_lo
	v_add_co_u32 v223, vcc_lo, v42, v7
	v_add_co_ci_u32_e64 v224, null, v43, v8, vcc_lo
	v_add_co_u32 v225, vcc_lo, v42, v9
	v_or_b32_e32 v182, 3, v170
	v_add_nc_u32_e32 v183, 16, v170
	v_add_nc_u32_e32 v184, 17, v170
	;; [unrolled: 1-line block ×12, first 2 shown]
	v_mov_b32_e32 v6, 0
	v_add_co_ci_u32_e64 v226, null, v43, v10, vcc_lo
	v_add_nc_u32_e32 v227, v177, v16
	s_add_i32 s8, s19, -2
	s_add_i32 s9, s14, 64
	s_lshl_b64 s[4:5], s[16:17], 10
	s_cmp_eq_u32 s8, s6
	s_cselect_b32 s13, s22, 0
	s_and_saveexec_b32 s2, s0
	s_cbranch_execz .LBB52_148
	s_branch .LBB52_144
.LBB52_143:                             ;   in Loop: Header=BB52_148 Depth=1
	s_mov_b32 s6, s2
	s_cmp_eq_u32 s8, s6
	s_cselect_b32 s13, s22, 0
	s_and_saveexec_b32 s2, s0
	s_cbranch_execz .LBB52_148
.LBB52_144:
	v_cmp_le_i32_e32 vcc_lo, s13, v0
	s_cmp_lg_u32 s13, 0
	s_cselect_b32 s14, -1, 0
	s_and_b32 s14, s14, vcc_lo
	s_and_saveexec_b32 s15, s14
	s_xor_b32 s14, exec_lo, s15
	s_cbranch_execz .LBB52_146
; %bb.145:
	v_mov_b32_e32 v7, v6
	v_mov_b32_e32 v8, v6
	;; [unrolled: 1-line block ×3, first 2 shown]
	ds_write_b128 v173, v[6:9]
.LBB52_146:
	s_andn2_saveexec_b32 s14, s14
	s_cbranch_execz .LBB52_148
; %bb.147:
	s_ashr_i32 s14, s9, 31
	s_mul_hi_u32 s15, s10, s9
	s_mul_i32 s14, s10, s14
	s_mul_i32 s16, s11, s9
	s_add_i32 s15, s15, s14
	s_mul_i32 s14, s10, s9
	s_add_i32 s15, s15, s16
	s_lshl_b64 s[14:15], s[14:15], 4
	v_add_co_u32 v7, vcc_lo, v171, s14
	v_add_co_ci_u32_e64 v8, null, s15, v172, vcc_lo
	flat_load_dwordx4 v[7:10], v[7:8]
	s_waitcnt vmcnt(0) lgkmcnt(0)
	ds_write2_b64 v173, v[7:8], v[9:10] offset1:1
.LBB52_148:                             ; =>This Inner Loop Header: Depth=1
	s_or_b32 exec_lo, exec_lo, s2
	s_cmp_eq_u32 s13, 0
	v_add_co_u32 v19, vcc_lo, v203, v169
	s_cselect_b32 s14, -1, 0
	s_cmp_lg_u32 s13, 0
	v_add_co_ci_u32_e64 v20, null, 0, v204, vcc_lo
	s_cselect_b32 s2, -1, 0
	s_waitcnt lgkmcnt(0)
	s_and_b32 vcc_lo, exec_lo, s2
	s_barrier
	buffer_gl0_inv
	s_cbranch_vccz .LBB52_156
; %bb.149:                              ;   in Loop: Header=BB52_148 Depth=1
	v_mov_b32_e32 v7, 0
	v_mov_b32_e32 v11, 0
	;; [unrolled: 1-line block ×6, first 2 shown]
	s_mov_b32 s15, exec_lo
	v_cmpx_gt_i32_e64 s13, v170
	s_cbranch_execz .LBB52_151
; %bb.150:                              ;   in Loop: Header=BB52_148 Depth=1
	flat_load_dwordx4 v[11:14], v[19:20]
.LBB52_151:                             ;   in Loop: Header=BB52_148 Depth=1
	s_or_b32 exec_lo, exec_lo, s15
	v_mov_b32_e32 v9, 0
	v_mov_b32_e32 v10, 0
	s_mov_b32 s15, exec_lo
	v_cmpx_gt_i32_e64 s13, v180
	s_cbranch_execz .LBB52_153
; %bb.152:                              ;   in Loop: Header=BB52_148 Depth=1
	v_add_co_u32 v7, vcc_lo, v199, v169
	v_add_co_ci_u32_e64 v8, null, 0, v200, vcc_lo
	flat_load_dwordx4 v[7:10], v[7:8]
.LBB52_153:                             ;   in Loop: Header=BB52_148 Depth=1
	s_or_b32 exec_lo, exec_lo, s15
	v_mov_b32_e32 v15, 0
	v_mov_b32_e32 v17, 0
	;; [unrolled: 1-line block ×4, first 2 shown]
	s_mov_b32 s15, exec_lo
	v_cmpx_gt_i32_e64 s13, v181
	s_cbranch_execz .LBB52_155
; %bb.154:                              ;   in Loop: Header=BB52_148 Depth=1
	v_add_co_u32 v15, vcc_lo, v195, v169
	v_add_co_ci_u32_e64 v16, null, 0, v196, vcc_lo
	flat_load_dwordx4 v[15:18], v[15:16]
.LBB52_155:                             ;   in Loop: Header=BB52_148 Depth=1
	s_or_b32 exec_lo, exec_lo, s15
	v_cmp_gt_i32_e64 s15, s13, v182
	s_branch .LBB52_158
.LBB52_156:                             ;   in Loop: Header=BB52_148 Depth=1
	s_mov_b32 s15, 0
                                        ; implicit-def: $vgpr17_vgpr18
                                        ; implicit-def: $vgpr9_vgpr10
                                        ; implicit-def: $vgpr13_vgpr14
	s_cbranch_execz .LBB52_158
; %bb.157:                              ;   in Loop: Header=BB52_148 Depth=1
	s_waitcnt vmcnt(0) lgkmcnt(0)
	v_add_co_u32 v7, vcc_lo, v199, v169
	v_add_co_ci_u32_e64 v8, null, 0, v200, vcc_lo
	v_add_co_u32 v15, vcc_lo, v195, v169
	v_add_co_ci_u32_e64 v16, null, 0, v196, vcc_lo
	flat_load_dwordx4 v[11:14], v[19:20]
	flat_load_dwordx4 v[7:10], v[7:8]
	;; [unrolled: 1-line block ×3, first 2 shown]
	s_or_b32 s15, s15, exec_lo
.LBB52_158:                             ;   in Loop: Header=BB52_148 Depth=1
	v_mov_b32_e32 v19, 0
	v_mov_b32_e32 v21, 0
	;; [unrolled: 1-line block ×4, first 2 shown]
	s_and_saveexec_b32 s16, s15
	s_cbranch_execz .LBB52_160
; %bb.159:                              ;   in Loop: Header=BB52_148 Depth=1
	v_add_co_u32 v19, vcc_lo, v207, v169
	v_add_co_ci_u32_e64 v20, null, 0, v208, vcc_lo
	flat_load_dwordx4 v[19:22], v[19:20]
.LBB52_160:                             ;   in Loop: Header=BB52_148 Depth=1
	s_or_b32 exec_lo, exec_lo, s16
	ds_read_b128 v[23:26], v175
	v_cndmask_b32_e64 v119, 0, 1, s2
	s_waitcnt vmcnt(0) lgkmcnt(0)
	v_mul_f64 v[27:28], v[13:14], v[25:26]
	v_mul_f64 v[29:30], v[13:14], v[23:24]
	;; [unrolled: 1-line block ×8, first 2 shown]
	v_fma_f64 v[39:40], v[11:12], v[23:24], v[27:28]
	v_fma_f64 v[41:42], v[11:12], v[25:26], -v[29:30]
	v_fma_f64 v[43:44], v[7:8], v[23:24], v[31:32]
	v_fma_f64 v[45:46], v[7:8], v[25:26], -v[33:34]
	;; [unrolled: 2-line block ×4, first 2 shown]
	ds_read_b128 v[35:38], v174
	ds_read_b128 v[31:34], v174 offset:16
	ds_read_b128 v[27:30], v174 offset:32
	;; [unrolled: 1-line block ×3, first 2 shown]
	ds_write_b128 v176, v[39:42]
	ds_write_b128 v176, v[43:46] offset:1072
	ds_write_b128 v176, v[47:50] offset:2144
	;; [unrolled: 1-line block ×3, first 2 shown]
	s_waitcnt lgkmcnt(0)
	s_barrier
	buffer_gl0_inv
	ds_read_b128 v[99:102], v177
	ds_read_b128 v[95:98], v177 offset:16
	ds_read_b128 v[91:94], v177 offset:32
	;; [unrolled: 1-line block ×3, first 2 shown]
	v_add_co_u32 v51, vcc_lo, v219, v169
	v_add_co_ci_u32_e64 v52, null, 0, v220, vcc_lo
	s_andn2_b32 vcc_lo, exec_lo, s2
	s_waitcnt lgkmcnt(0)
	s_barrier
	buffer_gl0_inv
	s_cbranch_vccnz .LBB52_168
; %bb.161:                              ;   in Loop: Header=BB52_148 Depth=1
	v_mov_b32_e32 v39, 0
	v_mov_b32_e32 v43, 0
	;; [unrolled: 1-line block ×6, first 2 shown]
	s_mov_b32 s2, exec_lo
	v_cmpx_gt_i32_e64 s13, v183
	s_cbranch_execz .LBB52_163
; %bb.162:                              ;   in Loop: Header=BB52_148 Depth=1
	flat_load_dwordx4 v[43:46], v[51:52]
.LBB52_163:                             ;   in Loop: Header=BB52_148 Depth=1
	s_or_b32 exec_lo, exec_lo, s2
	v_mov_b32_e32 v41, 0
	v_mov_b32_e32 v42, 0
	s_mov_b32 s2, exec_lo
	v_cmpx_gt_i32_e64 s13, v184
	s_cbranch_execz .LBB52_165
; %bb.164:                              ;   in Loop: Header=BB52_148 Depth=1
	v_add_co_u32 v39, vcc_lo, v215, v169
	v_add_co_ci_u32_e64 v40, null, 0, v216, vcc_lo
	flat_load_dwordx4 v[39:42], v[39:40]
.LBB52_165:                             ;   in Loop: Header=BB52_148 Depth=1
	s_or_b32 exec_lo, exec_lo, s2
	v_mov_b32_e32 v47, 0
	v_mov_b32_e32 v49, 0
	;; [unrolled: 1-line block ×4, first 2 shown]
	s_mov_b32 s2, exec_lo
	v_cmpx_gt_i32_e64 s13, v185
	s_cbranch_execz .LBB52_167
; %bb.166:                              ;   in Loop: Header=BB52_148 Depth=1
	v_add_co_u32 v47, vcc_lo, v209, v169
	v_add_co_ci_u32_e64 v48, null, 0, v210, vcc_lo
	flat_load_dwordx4 v[47:50], v[47:48]
.LBB52_167:                             ;   in Loop: Header=BB52_148 Depth=1
	s_or_b32 exec_lo, exec_lo, s2
	v_cmp_gt_i32_e64 s2, s13, v186
	s_branch .LBB52_170
.LBB52_168:                             ;   in Loop: Header=BB52_148 Depth=1
	s_mov_b32 s2, 0
                                        ; implicit-def: $vgpr49_vgpr50
                                        ; implicit-def: $vgpr41_vgpr42
                                        ; implicit-def: $vgpr45_vgpr46
	s_cbranch_execz .LBB52_170
; %bb.169:                              ;   in Loop: Header=BB52_148 Depth=1
	s_waitcnt vmcnt(0) lgkmcnt(0)
	v_add_co_u32 v39, vcc_lo, v215, v169
	v_add_co_ci_u32_e64 v40, null, 0, v216, vcc_lo
	v_add_co_u32 v47, vcc_lo, v209, v169
	v_add_co_ci_u32_e64 v48, null, 0, v210, vcc_lo
	flat_load_dwordx4 v[43:46], v[51:52]
	flat_load_dwordx4 v[39:42], v[39:40]
	;; [unrolled: 1-line block ×3, first 2 shown]
	s_or_b32 s2, s2, exec_lo
.LBB52_170:                             ;   in Loop: Header=BB52_148 Depth=1
	v_mov_b32_e32 v51, 0
	v_mov_b32_e32 v53, 0
	;; [unrolled: 1-line block ×4, first 2 shown]
	s_and_saveexec_b32 s15, s2
	s_cbranch_execz .LBB52_172
; %bb.171:                              ;   in Loop: Header=BB52_148 Depth=1
	v_add_co_u32 v51, vcc_lo, v223, v169
	v_add_co_ci_u32_e64 v52, null, 0, v224, vcc_lo
	flat_load_dwordx4 v[51:54], v[51:52]
.LBB52_172:                             ;   in Loop: Header=BB52_148 Depth=1
	s_or_b32 exec_lo, exec_lo, s15
	ds_read_b128 v[55:58], v175
	v_cmp_ne_u32_e32 vcc_lo, 1, v119
	s_and_b32 vcc_lo, exec_lo, vcc_lo
	s_waitcnt vmcnt(0) lgkmcnt(0)
	v_mul_f64 v[59:60], v[45:46], v[57:58]
	v_mul_f64 v[61:62], v[45:46], v[55:56]
	;; [unrolled: 1-line block ×8, first 2 shown]
	v_fma_f64 v[71:72], v[43:44], v[55:56], v[59:60]
	v_fma_f64 v[73:74], v[43:44], v[57:58], -v[61:62]
	v_fma_f64 v[75:76], v[39:40], v[55:56], v[63:64]
	v_fma_f64 v[77:78], v[39:40], v[57:58], -v[65:66]
	;; [unrolled: 2-line block ×4, first 2 shown]
	ds_read_b128 v[67:70], v174 offset:256
	ds_read_b128 v[63:66], v174 offset:272
	;; [unrolled: 1-line block ×4, first 2 shown]
	ds_write_b128 v176, v[71:74]
	ds_write_b128 v176, v[75:78] offset:1072
	ds_write_b128 v176, v[79:82] offset:2144
	;; [unrolled: 1-line block ×3, first 2 shown]
	s_waitcnt lgkmcnt(0)
	s_barrier
	buffer_gl0_inv
	ds_read_b128 v[147:150], v177
	ds_read_b128 v[143:146], v177 offset:16
	ds_read_b128 v[139:142], v177 offset:32
	;; [unrolled: 1-line block ×3, first 2 shown]
	v_add_co_u32 v87, s2, v217, v169
	v_add_co_ci_u32_e64 v88, null, 0, v218, s2
	s_waitcnt lgkmcnt(0)
	s_barrier
	buffer_gl0_inv
	s_cbranch_vccnz .LBB52_180
; %bb.173:                              ;   in Loop: Header=BB52_148 Depth=1
	v_mov_b32_e32 v71, 0
	v_mov_b32_e32 v75, 0
	;; [unrolled: 1-line block ×6, first 2 shown]
	s_mov_b32 s2, exec_lo
	v_cmpx_gt_i32_e64 s13, v187
	s_cbranch_execz .LBB52_175
; %bb.174:                              ;   in Loop: Header=BB52_148 Depth=1
	flat_load_dwordx4 v[75:78], v[87:88]
.LBB52_175:                             ;   in Loop: Header=BB52_148 Depth=1
	s_or_b32 exec_lo, exec_lo, s2
	v_mov_b32_e32 v73, 0
	v_mov_b32_e32 v74, 0
	s_mov_b32 s2, exec_lo
	v_cmpx_gt_i32_e64 s13, v188
	s_cbranch_execz .LBB52_177
; %bb.176:                              ;   in Loop: Header=BB52_148 Depth=1
	v_add_co_u32 v71, vcc_lo, v221, v169
	v_add_co_ci_u32_e64 v72, null, 0, v222, vcc_lo
	flat_load_dwordx4 v[71:74], v[71:72]
.LBB52_177:                             ;   in Loop: Header=BB52_148 Depth=1
	s_or_b32 exec_lo, exec_lo, s2
	v_mov_b32_e32 v79, 0
	v_mov_b32_e32 v81, 0
	;; [unrolled: 1-line block ×4, first 2 shown]
	s_mov_b32 s2, exec_lo
	v_cmpx_gt_i32_e64 s13, v189
	s_cbranch_execz .LBB52_179
; %bb.178:                              ;   in Loop: Header=BB52_148 Depth=1
	v_add_co_u32 v79, vcc_lo, v225, v169
	v_add_co_ci_u32_e64 v80, null, 0, v226, vcc_lo
	flat_load_dwordx4 v[79:82], v[79:80]
.LBB52_179:                             ;   in Loop: Header=BB52_148 Depth=1
	s_or_b32 exec_lo, exec_lo, s2
	v_cmp_gt_i32_e64 s2, s13, v190
	s_branch .LBB52_182
.LBB52_180:                             ;   in Loop: Header=BB52_148 Depth=1
	s_mov_b32 s2, 0
                                        ; implicit-def: $vgpr81_vgpr82
                                        ; implicit-def: $vgpr73_vgpr74
                                        ; implicit-def: $vgpr77_vgpr78
	s_cbranch_execz .LBB52_182
; %bb.181:                              ;   in Loop: Header=BB52_148 Depth=1
	s_waitcnt vmcnt(0) lgkmcnt(0)
	v_add_co_u32 v71, vcc_lo, v221, v169
	v_add_co_ci_u32_e64 v72, null, 0, v222, vcc_lo
	v_add_co_u32 v79, vcc_lo, v225, v169
	v_add_co_ci_u32_e64 v80, null, 0, v226, vcc_lo
	flat_load_dwordx4 v[75:78], v[87:88]
	flat_load_dwordx4 v[71:74], v[71:72]
	;; [unrolled: 1-line block ×3, first 2 shown]
	s_or_b32 s2, s2, exec_lo
.LBB52_182:                             ;   in Loop: Header=BB52_148 Depth=1
	v_mov_b32_e32 v87, 0
	v_mov_b32_e32 v89, 0
	;; [unrolled: 1-line block ×4, first 2 shown]
	s_and_saveexec_b32 s15, s2
	s_cbranch_execz .LBB52_184
; %bb.183:                              ;   in Loop: Header=BB52_148 Depth=1
	v_add_co_u32 v87, vcc_lo, v213, v169
	v_add_co_ci_u32_e64 v88, null, 0, v214, vcc_lo
	flat_load_dwordx4 v[87:90], v[87:88]
.LBB52_184:                             ;   in Loop: Header=BB52_148 Depth=1
	s_or_b32 exec_lo, exec_lo, s15
	ds_read_b128 v[103:106], v175
	v_cmp_ne_u32_e32 vcc_lo, 1, v119
	s_and_b32 vcc_lo, exec_lo, vcc_lo
	s_waitcnt vmcnt(0) lgkmcnt(0)
	v_mul_f64 v[107:108], v[77:78], v[105:106]
	v_mul_f64 v[109:110], v[77:78], v[103:104]
	;; [unrolled: 1-line block ×8, first 2 shown]
	v_fma_f64 v[120:121], v[75:76], v[103:104], v[107:108]
	v_fma_f64 v[122:123], v[75:76], v[105:106], -v[109:110]
	v_fma_f64 v[124:125], v[71:72], v[103:104], v[111:112]
	v_fma_f64 v[126:127], v[71:72], v[105:106], -v[113:114]
	v_fma_f64 v[128:129], v[79:80], v[103:104], v[115:116]
	v_fma_f64 v[130:131], v[79:80], v[105:106], -v[117:118]
	v_fma_f64 v[151:152], v[87:88], v[103:104], v[132:133]
	v_fma_f64 v[153:154], v[87:88], v[105:106], -v[153:154]
	ds_read_b128 v[115:118], v174 offset:512
	ds_read_b128 v[111:114], v174 offset:528
	;; [unrolled: 1-line block ×4, first 2 shown]
	ds_write_b128 v176, v[120:123]
	ds_write_b128 v176, v[124:127] offset:1072
	ds_write_b128 v176, v[128:131] offset:2144
	;; [unrolled: 1-line block ×3, first 2 shown]
	s_waitcnt lgkmcnt(0)
	s_barrier
	buffer_gl0_inv
	ds_read_b128 v[163:166], v177
	ds_read_b128 v[159:162], v177 offset:16
	ds_read_b128 v[155:158], v177 offset:32
	ds_read_b128 v[151:154], v177 offset:48
	v_add_co_u32 v131, s2, v201, v169
	v_add_co_ci_u32_e64 v132, null, 0, v202, s2
	s_waitcnt lgkmcnt(0)
	s_barrier
	buffer_gl0_inv
	s_cbranch_vccnz .LBB52_192
; %bb.185:                              ;   in Loop: Header=BB52_148 Depth=1
	v_mov_b32_e32 v119, 0
	v_mov_b32_e32 v123, 0
	;; [unrolled: 1-line block ×6, first 2 shown]
	s_mov_b32 s2, exec_lo
	v_cmpx_gt_i32_e64 s13, v191
	s_cbranch_execz .LBB52_187
; %bb.186:                              ;   in Loop: Header=BB52_148 Depth=1
	flat_load_dwordx4 v[123:126], v[131:132]
.LBB52_187:                             ;   in Loop: Header=BB52_148 Depth=1
	s_or_b32 exec_lo, exec_lo, s2
	v_mov_b32_e32 v121, 0
	v_mov_b32_e32 v122, 0
	s_mov_b32 s2, exec_lo
	v_cmpx_gt_i32_e64 s13, v192
	s_cbranch_execz .LBB52_189
; %bb.188:                              ;   in Loop: Header=BB52_148 Depth=1
	v_add_co_u32 v119, vcc_lo, v205, v169
	v_add_co_ci_u32_e64 v120, null, 0, v206, vcc_lo
	flat_load_dwordx4 v[119:122], v[119:120]
.LBB52_189:                             ;   in Loop: Header=BB52_148 Depth=1
	s_or_b32 exec_lo, exec_lo, s2
	v_mov_b32_e32 v127, 0
	v_mov_b32_e32 v129, 0
	;; [unrolled: 1-line block ×4, first 2 shown]
	s_mov_b32 s2, exec_lo
	v_cmpx_gt_i32_e64 s13, v193
	s_cbranch_execz .LBB52_191
; %bb.190:                              ;   in Loop: Header=BB52_148 Depth=1
	v_add_co_u32 v127, vcc_lo, v211, v169
	v_add_co_ci_u32_e64 v128, null, 0, v212, vcc_lo
	flat_load_dwordx4 v[127:130], v[127:128]
.LBB52_191:                             ;   in Loop: Header=BB52_148 Depth=1
	s_or_b32 exec_lo, exec_lo, s2
	v_cmp_gt_i32_e64 s2, s13, v194
	s_branch .LBB52_194
.LBB52_192:                             ;   in Loop: Header=BB52_148 Depth=1
	s_mov_b32 s2, 0
                                        ; implicit-def: $vgpr129_vgpr130
                                        ; implicit-def: $vgpr121_vgpr122
                                        ; implicit-def: $vgpr125_vgpr126
	s_cbranch_execz .LBB52_194
; %bb.193:                              ;   in Loop: Header=BB52_148 Depth=1
	s_waitcnt vmcnt(0) lgkmcnt(0)
	v_add_co_u32 v119, vcc_lo, v205, v169
	v_add_co_ci_u32_e64 v120, null, 0, v206, vcc_lo
	v_add_co_u32 v127, vcc_lo, v211, v169
	v_add_co_ci_u32_e64 v128, null, 0, v212, vcc_lo
	flat_load_dwordx4 v[123:126], v[131:132]
	flat_load_dwordx4 v[119:122], v[119:120]
	;; [unrolled: 1-line block ×3, first 2 shown]
	s_or_b32 s2, s2, exec_lo
.LBB52_194:                             ;   in Loop: Header=BB52_148 Depth=1
	v_mov_b32_e32 v131, 0
	v_mov_b32_e32 v133, 0
	;; [unrolled: 1-line block ×4, first 2 shown]
	s_and_saveexec_b32 s15, s2
	s_cbranch_execz .LBB52_196
; %bb.195:                              ;   in Loop: Header=BB52_148 Depth=1
	v_add_co_u32 v131, vcc_lo, v197, v169
	v_add_co_ci_u32_e64 v132, null, 0, v198, vcc_lo
	flat_load_dwordx4 v[131:134], v[131:132]
.LBB52_196:                             ;   in Loop: Header=BB52_148 Depth=1
	s_or_b32 exec_lo, exec_lo, s15
	ds_read_b128 v[228:231], v175
	v_add_f64 v[163:164], v[163:164], 0
	v_add_f64 v[165:166], v[165:166], 0
	;; [unrolled: 1-line block ×6, first 2 shown]
	v_cmp_gt_i32_e32 vcc_lo, s13, v0
	s_or_b32 s2, s14, vcc_lo
	s_and_b32 s13, s1, s2
	s_waitcnt vmcnt(0) lgkmcnt(0)
	v_mul_f64 v[232:233], v[125:126], v[230:231]
	v_mul_f64 v[234:235], v[125:126], v[228:229]
	;; [unrolled: 1-line block ×8, first 2 shown]
	v_add_f64 v[159:160], v[163:164], v[159:160]
	v_add_f64 v[161:162], v[165:166], v[161:162]
	v_add_f64 v[143:144], v[147:148], v[143:144]
	v_add_f64 v[145:146], v[149:150], v[145:146]
	v_add_f64 v[95:96], v[99:100], v[95:96]
	v_add_f64 v[97:98], v[101:102], v[97:98]
	v_fma_f64 v[232:233], v[123:124], v[228:229], v[232:233]
	v_fma_f64 v[234:235], v[123:124], v[230:231], -v[234:235]
	v_fma_f64 v[236:237], v[119:120], v[228:229], v[236:237]
	v_fma_f64 v[238:239], v[119:120], v[230:231], -v[238:239]
	v_fma_f64 v[240:241], v[127:128], v[228:229], v[240:241]
	v_fma_f64 v[242:243], v[127:128], v[230:231], -v[242:243]
	v_fma_f64 v[228:229], v[131:132], v[228:229], v[244:245]
	v_fma_f64 v[230:231], v[131:132], v[230:231], -v[246:247]
	v_add_f64 v[147:148], v[159:160], v[155:156]
	v_add_f64 v[149:150], v[161:162], v[157:158]
	;; [unrolled: 1-line block ×6, first 2 shown]
	ds_write_b128 v176, v[232:235]
	ds_write_b128 v176, v[236:239] offset:1072
	ds_write_b128 v176, v[240:243] offset:2144
	ds_read_b128 v[139:142], v174 offset:768
	ds_read_b128 v[99:102], v174 offset:784
	ds_write_b128 v176, v[228:231] offset:3216
	v_add_f64 v[143:144], v[147:148], v[151:152]
	v_add_f64 v[145:146], v[149:150], v[153:154]
	ds_read_b128 v[95:98], v174 offset:800
	ds_read_b128 v[91:94], v174 offset:816
	s_waitcnt lgkmcnt(0)
	s_barrier
	buffer_gl0_inv
	ds_read_b128 v[147:150], v177
	ds_read_b128 v[151:154], v177 offset:16
	v_add_f64 v[135:136], v[155:156], v[135:136]
	v_add_f64 v[137:138], v[157:158], v[137:138]
	;; [unrolled: 1-line block ×4, first 2 shown]
	s_waitcnt lgkmcnt(1)
	v_add_f64 v[147:148], v[147:148], 0
	v_add_f64 v[149:150], v[149:150], 0
	s_waitcnt lgkmcnt(0)
	v_add_f64 v[155:156], v[147:148], v[151:152]
	v_add_f64 v[157:158], v[149:150], v[153:154]
	ds_read_b128 v[147:150], v177 offset:32
	ds_read_b128 v[151:154], v177 offset:48
	s_waitcnt lgkmcnt(0)
	s_barrier
	buffer_gl0_inv
	v_add_f64 v[147:148], v[155:156], v[147:148]
	v_add_f64 v[149:150], v[157:158], v[149:150]
	v_add_f64 v[147:148], v[147:148], v[151:152]
	v_add_f64 v[149:150], v[149:150], v[153:154]
	ds_write_b128 v227, v[83:86]
	ds_write_b128 v227, v[135:138] offset:256
	ds_write_b128 v227, v[143:146] offset:512
	;; [unrolled: 1-line block ×3, first 2 shown]
	s_waitcnt lgkmcnt(0)
	s_barrier
	buffer_gl0_inv
	s_and_saveexec_b32 s2, s13
	s_cbranch_execz .LBB52_198
; %bb.197:                              ;   in Loop: Header=BB52_148 Depth=1
	ds_read_b128 v[83:86], v178
	ds_read_b128 v[135:138], v178 offset:16
	s_waitcnt lgkmcnt(0)
	v_add_f64 v[143:144], v[135:136], v[83:84]
	v_add_f64 v[145:146], v[137:138], v[85:86]
	ds_read_b128 v[83:86], v178 offset:32
	ds_read_b128 v[135:138], v178 offset:48
	s_waitcnt lgkmcnt(1)
	v_add_f64 v[83:84], v[143:144], v[83:84]
	v_add_f64 v[85:86], v[145:146], v[85:86]
	s_waitcnt lgkmcnt(0)
	v_add_f64 v[143:144], v[83:84], v[135:136]
	v_add_f64 v[145:146], v[85:86], v[137:138]
	ds_read_b128 v[83:86], v178 offset:64
	ds_read_b128 v[135:138], v178 offset:80
	s_waitcnt lgkmcnt(1)
	v_add_f64 v[83:84], v[143:144], v[83:84]
	v_add_f64 v[85:86], v[145:146], v[85:86]
	;; [unrolled: 8-line block ×6, first 2 shown]
	s_waitcnt lgkmcnt(0)
	v_add_f64 v[143:144], v[83:84], v[135:136]
	v_add_f64 v[145:146], v[85:86], v[137:138]
	ds_read_b128 v[83:86], v178 offset:224
	ds_read_b128 v[135:138], v179
	s_waitcnt lgkmcnt(1)
	v_add_f64 v[83:84], v[143:144], v[83:84]
	v_add_f64 v[85:86], v[145:146], v[85:86]
	v_add_nc_u32_e32 v143, s9, v0
	v_ashrrev_i32_e32 v144, 31, v143
	s_waitcnt lgkmcnt(0)
	v_add_f64 v[83:84], v[83:84], v[135:136]
	v_add_f64 v[85:86], v[85:86], v[137:138]
	v_lshlrev_b64 v[135:136], 4, v[143:144]
	v_add_co_u32 v135, vcc_lo, s3, v135
	v_add_co_ci_u32_e64 v136, null, s7, v136, vcc_lo
	global_store_dwordx4 v[135:136], v[83:86], off
.LBB52_198:                             ;   in Loop: Header=BB52_148 Depth=1
	s_or_b32 exec_lo, exec_lo, s2
	v_mul_f64 v[83:84], v[13:14], v[37:38]
	v_mul_f64 v[37:38], v[11:12], v[37:38]
	;; [unrolled: 1-line block ×4, first 2 shown]
	v_add_co_u32 v195, vcc_lo, v195, s4
	v_add_co_ci_u32_e64 v196, null, s5, v196, vcc_lo
	v_add_co_u32 v197, vcc_lo, v197, s4
	v_add_co_ci_u32_e64 v198, null, s5, v198, vcc_lo
	;; [unrolled: 2-line block ×4, first 2 shown]
	v_add_co_u32 v203, vcc_lo, v203, s4
	v_fma_f64 v[11:12], v[11:12], v[35:36], -v[83:84]
	v_fma_f64 v[13:14], v[13:14], v[35:36], v[37:38]
	v_mul_f64 v[35:36], v[17:18], v[29:30]
	v_mul_f64 v[29:30], v[15:16], v[29:30]
	v_fma_f64 v[7:8], v[7:8], v[31:32], -v[85:86]
	v_fma_f64 v[9:10], v[9:10], v[31:32], v[33:34]
	v_add_co_ci_u32_e64 v204, null, s5, v204, vcc_lo
	v_add_co_u32 v205, vcc_lo, v205, s4
	v_add_co_ci_u32_e64 v206, null, s5, v206, vcc_lo
	v_add_co_u32 v207, vcc_lo, v207, s4
	;; [unrolled: 2-line block ×4, first 2 shown]
	v_add_f64 v[2:3], v[2:3], v[11:12]
	v_add_f64 v[4:5], v[4:5], v[13:14]
	v_mul_f64 v[11:12], v[21:22], v[25:26]
	v_mul_f64 v[13:14], v[19:20], v[25:26]
	v_fma_f64 v[15:16], v[15:16], v[27:28], -v[35:36]
	v_fma_f64 v[17:18], v[17:18], v[27:28], v[29:30]
	v_add_co_ci_u32_e64 v212, null, s5, v212, vcc_lo
	v_add_co_u32 v213, vcc_lo, v213, s4
	v_add_co_ci_u32_e64 v214, null, s5, v214, vcc_lo
	v_add_co_u32 v215, vcc_lo, v215, s4
	;; [unrolled: 2-line block ×4, first 2 shown]
	v_add_f64 v[2:3], v[2:3], v[7:8]
	v_add_f64 v[4:5], v[4:5], v[9:10]
	v_mul_f64 v[7:8], v[45:46], v[69:70]
	v_mul_f64 v[9:10], v[43:44], v[69:70]
	v_fma_f64 v[11:12], v[19:20], v[23:24], -v[11:12]
	v_fma_f64 v[13:14], v[21:22], v[23:24], v[13:14]
	v_add_co_ci_u32_e64 v220, null, s5, v220, vcc_lo
	v_add_co_u32 v221, vcc_lo, v221, s4
	v_add_co_ci_u32_e64 v222, null, s5, v222, vcc_lo
	v_add_co_u32 v223, vcc_lo, v223, s4
	v_add_co_ci_u32_e64 v224, null, s5, v224, vcc_lo
	v_add_co_u32 v225, vcc_lo, v225, s4
	v_add_co_ci_u32_e64 v226, null, s5, v226, vcc_lo
	s_add_i32 s2, s6, 1
	s_add_i32 s6, s6, 2
	v_add_f64 v[2:3], v[2:3], v[15:16]
	v_add_f64 v[4:5], v[4:5], v[17:18]
	v_mul_f64 v[15:16], v[41:42], v[65:66]
	v_mul_f64 v[17:18], v[39:40], v[65:66]
	v_fma_f64 v[7:8], v[43:44], v[67:68], -v[7:8]
	v_fma_f64 v[9:10], v[45:46], v[67:68], v[9:10]
	s_add_i32 s9, s9, 64
	s_cmp_ge_u32 s6, s19
	s_waitcnt_vscnt null, 0x0
	s_barrier
	buffer_gl0_inv
	v_add_f64 v[2:3], v[2:3], v[11:12]
	v_add_f64 v[4:5], v[4:5], v[13:14]
	v_mul_f64 v[11:12], v[49:50], v[61:62]
	v_mul_f64 v[13:14], v[47:48], v[61:62]
	v_fma_f64 v[15:16], v[39:40], v[63:64], -v[15:16]
	v_fma_f64 v[17:18], v[41:42], v[63:64], v[17:18]
	v_add_f64 v[2:3], v[2:3], v[7:8]
	v_add_f64 v[4:5], v[4:5], v[9:10]
	v_mul_f64 v[7:8], v[53:54], v[57:58]
	v_mul_f64 v[9:10], v[51:52], v[57:58]
	v_fma_f64 v[11:12], v[47:48], v[59:60], -v[11:12]
	v_fma_f64 v[13:14], v[49:50], v[59:60], v[13:14]
	;; [unrolled: 6-line block ×10, first 2 shown]
	v_add_f64 v[2:3], v[2:3], v[7:8]
	v_add_f64 v[4:5], v[4:5], v[9:10]
	v_fma_f64 v[7:8], v[131:132], v[91:92], -v[11:12]
	v_fma_f64 v[9:10], v[133:134], v[91:92], v[13:14]
	v_add_f64 v[2:3], v[2:3], v[15:16]
	v_add_f64 v[4:5], v[4:5], v[17:18]
	;; [unrolled: 1-line block ×4, first 2 shown]
	s_cbranch_scc0 .LBB52_143
.LBB52_199:
	v_cmp_gt_i32_e32 vcc_lo, s12, v0
	v_mad_u32_u24 v1, 0x430, v1, v169
	s_or_b32 s1, s23, vcc_lo
	ds_write_b128 v1, v[2:5]
	s_and_b32 s0, s0, s1
	s_waitcnt lgkmcnt(0)
	s_barrier
	buffer_gl0_inv
	s_and_saveexec_b32 s1, s0
	s_cbranch_execz .LBB52_201
; %bb.200:
	ds_read_b128 v[0:3], v169 offset:1072
	ds_read_b128 v[4:7], v169
	s_waitcnt lgkmcnt(0)
	v_add_f64 v[8:9], v[0:1], v[4:5]
	v_add_f64 v[10:11], v[2:3], v[6:7]
	ds_read_b128 v[0:3], v169 offset:2144
	ds_read_b128 v[4:7], v169 offset:3216
	s_waitcnt lgkmcnt(1)
	v_add_f64 v[0:1], v[8:9], v[0:1]
	v_add_f64 v[2:3], v[10:11], v[2:3]
	s_waitcnt lgkmcnt(0)
	v_add_f64 v[0:1], v[0:1], v[4:5]
	v_add_f64 v[2:3], v[2:3], v[6:7]
	v_lshlrev_b64 v[4:5], 4, v[167:168]
	v_add_co_u32 v4, vcc_lo, s3, v4
	v_add_co_ci_u32_e64 v5, null, s7, v5, vcc_lo
	global_store_dwordx4 v[4:5], v[0:3], off
.LBB52_201:
	s_endpgm
	.section	.rodata,"a",@progbits
	.p2align	6, 0x0
	.amdhsa_kernel _ZL26rocblas_hemvn_kernel_upperILb1ELi64ELi4ELi33ELi32ELi16El19rocblas_complex_numIdEPKPKS1_PS1_EviT6_lT7_lT5_lS8_lS9_lS7_lT8_i
		.amdhsa_group_segment_fixed_size 19200
		.amdhsa_private_segment_fixed_size 0
		.amdhsa_kernarg_size 392
		.amdhsa_user_sgpr_count 6
		.amdhsa_user_sgpr_private_segment_buffer 1
		.amdhsa_user_sgpr_dispatch_ptr 0
		.amdhsa_user_sgpr_queue_ptr 0
		.amdhsa_user_sgpr_kernarg_segment_ptr 1
		.amdhsa_user_sgpr_dispatch_id 0
		.amdhsa_user_sgpr_flat_scratch_init 0
		.amdhsa_user_sgpr_private_segment_size 0
		.amdhsa_wavefront_size32 1
		.amdhsa_uses_dynamic_stack 0
		.amdhsa_system_sgpr_private_segment_wavefront_offset 0
		.amdhsa_system_sgpr_workgroup_id_x 1
		.amdhsa_system_sgpr_workgroup_id_y 0
		.amdhsa_system_sgpr_workgroup_id_z 1
		.amdhsa_system_sgpr_workgroup_info 0
		.amdhsa_system_vgpr_workitem_id 1
		.amdhsa_next_free_vgpr 248
		.amdhsa_next_free_sgpr 30
		.amdhsa_reserve_vcc 1
		.amdhsa_reserve_flat_scratch 0
		.amdhsa_float_round_mode_32 0
		.amdhsa_float_round_mode_16_64 0
		.amdhsa_float_denorm_mode_32 3
		.amdhsa_float_denorm_mode_16_64 3
		.amdhsa_dx10_clamp 1
		.amdhsa_ieee_mode 1
		.amdhsa_fp16_overflow 0
		.amdhsa_workgroup_processor_mode 1
		.amdhsa_memory_ordered 1
		.amdhsa_forward_progress 1
		.amdhsa_shared_vgpr_count 0
		.amdhsa_exception_fp_ieee_invalid_op 0
		.amdhsa_exception_fp_denorm_src 0
		.amdhsa_exception_fp_ieee_div_zero 0
		.amdhsa_exception_fp_ieee_overflow 0
		.amdhsa_exception_fp_ieee_underflow 0
		.amdhsa_exception_fp_ieee_inexact 0
		.amdhsa_exception_int_div_zero 0
	.end_amdhsa_kernel
	.section	.text._ZL26rocblas_hemvn_kernel_upperILb1ELi64ELi4ELi33ELi32ELi16El19rocblas_complex_numIdEPKPKS1_PS1_EviT6_lT7_lT5_lS8_lS9_lS7_lT8_i,"axG",@progbits,_ZL26rocblas_hemvn_kernel_upperILb1ELi64ELi4ELi33ELi32ELi16El19rocblas_complex_numIdEPKPKS1_PS1_EviT6_lT7_lT5_lS8_lS9_lS7_lT8_i,comdat
.Lfunc_end52:
	.size	_ZL26rocblas_hemvn_kernel_upperILb1ELi64ELi4ELi33ELi32ELi16El19rocblas_complex_numIdEPKPKS1_PS1_EviT6_lT7_lT5_lS8_lS9_lS7_lT8_i, .Lfunc_end52-_ZL26rocblas_hemvn_kernel_upperILb1ELi64ELi4ELi33ELi32ELi16El19rocblas_complex_numIdEPKPKS1_PS1_EviT6_lT7_lT5_lS8_lS9_lS7_lT8_i
                                        ; -- End function
	.set _ZL26rocblas_hemvn_kernel_upperILb1ELi64ELi4ELi33ELi32ELi16El19rocblas_complex_numIdEPKPKS1_PS1_EviT6_lT7_lT5_lS8_lS9_lS7_lT8_i.num_vgpr, 248
	.set _ZL26rocblas_hemvn_kernel_upperILb1ELi64ELi4ELi33ELi32ELi16El19rocblas_complex_numIdEPKPKS1_PS1_EviT6_lT7_lT5_lS8_lS9_lS7_lT8_i.num_agpr, 0
	.set _ZL26rocblas_hemvn_kernel_upperILb1ELi64ELi4ELi33ELi32ELi16El19rocblas_complex_numIdEPKPKS1_PS1_EviT6_lT7_lT5_lS8_lS9_lS7_lT8_i.numbered_sgpr, 30
	.set _ZL26rocblas_hemvn_kernel_upperILb1ELi64ELi4ELi33ELi32ELi16El19rocblas_complex_numIdEPKPKS1_PS1_EviT6_lT7_lT5_lS8_lS9_lS7_lT8_i.num_named_barrier, 0
	.set _ZL26rocblas_hemvn_kernel_upperILb1ELi64ELi4ELi33ELi32ELi16El19rocblas_complex_numIdEPKPKS1_PS1_EviT6_lT7_lT5_lS8_lS9_lS7_lT8_i.private_seg_size, 0
	.set _ZL26rocblas_hemvn_kernel_upperILb1ELi64ELi4ELi33ELi32ELi16El19rocblas_complex_numIdEPKPKS1_PS1_EviT6_lT7_lT5_lS8_lS9_lS7_lT8_i.uses_vcc, 1
	.set _ZL26rocblas_hemvn_kernel_upperILb1ELi64ELi4ELi33ELi32ELi16El19rocblas_complex_numIdEPKPKS1_PS1_EviT6_lT7_lT5_lS8_lS9_lS7_lT8_i.uses_flat_scratch, 0
	.set _ZL26rocblas_hemvn_kernel_upperILb1ELi64ELi4ELi33ELi32ELi16El19rocblas_complex_numIdEPKPKS1_PS1_EviT6_lT7_lT5_lS8_lS9_lS7_lT8_i.has_dyn_sized_stack, 0
	.set _ZL26rocblas_hemvn_kernel_upperILb1ELi64ELi4ELi33ELi32ELi16El19rocblas_complex_numIdEPKPKS1_PS1_EviT6_lT7_lT5_lS8_lS9_lS7_lT8_i.has_recursion, 0
	.set _ZL26rocblas_hemvn_kernel_upperILb1ELi64ELi4ELi33ELi32ELi16El19rocblas_complex_numIdEPKPKS1_PS1_EviT6_lT7_lT5_lS8_lS9_lS7_lT8_i.has_indirect_call, 0
	.section	.AMDGPU.csdata,"",@progbits
; Kernel info:
; codeLenInByte = 12416
; TotalNumSgprs: 32
; NumVgprs: 248
; ScratchSize: 0
; MemoryBound: 1
; FloatMode: 240
; IeeeMode: 1
; LDSByteSize: 19200 bytes/workgroup (compile time only)
; SGPRBlocks: 0
; VGPRBlocks: 30
; NumSGPRsForWavesPerEU: 32
; NumVGPRsForWavesPerEU: 248
; Occupancy: 4
; WaveLimiterHint : 0
; COMPUTE_PGM_RSRC2:SCRATCH_EN: 0
; COMPUTE_PGM_RSRC2:USER_SGPR: 6
; COMPUTE_PGM_RSRC2:TRAP_HANDLER: 0
; COMPUTE_PGM_RSRC2:TGID_X_EN: 1
; COMPUTE_PGM_RSRC2:TGID_Y_EN: 0
; COMPUTE_PGM_RSRC2:TGID_Z_EN: 1
; COMPUTE_PGM_RSRC2:TIDIG_COMP_CNT: 1
	.section	.text._ZL36rocblas_hemvn_kernel_upper_block_sumILi64El19rocblas_complex_numIdEPKPS1_S1_EviT1_lS5_lT2_lT0_lPT3_i,"axG",@progbits,_ZL36rocblas_hemvn_kernel_upper_block_sumILi64El19rocblas_complex_numIdEPKPS1_S1_EviT1_lS5_lT2_lT0_lPT3_i,comdat
	.globl	_ZL36rocblas_hemvn_kernel_upper_block_sumILi64El19rocblas_complex_numIdEPKPS1_S1_EviT1_lS5_lT2_lT0_lPT3_i ; -- Begin function _ZL36rocblas_hemvn_kernel_upper_block_sumILi64El19rocblas_complex_numIdEPKPS1_S1_EviT1_lS5_lT2_lT0_lPT3_i
	.p2align	8
	.type	_ZL36rocblas_hemvn_kernel_upper_block_sumILi64El19rocblas_complex_numIdEPKPS1_S1_EviT1_lS5_lT2_lT0_lPT3_i,@function
_ZL36rocblas_hemvn_kernel_upper_block_sumILi64El19rocblas_complex_numIdEPKPS1_S1_EviT1_lS5_lT2_lT0_lPT3_i: ; @_ZL36rocblas_hemvn_kernel_upper_block_sumILi64El19rocblas_complex_numIdEPKPS1_S1_EviT1_lS5_lT2_lT0_lPT3_i
; %bb.0:
	s_clause 0x1
	s_load_dwordx4 s[12:15], s[4:5], 0x8
	s_load_dwordx4 s[8:11], s[4:5], 0x20
	s_mov_b32 s16, s7
	s_waitcnt lgkmcnt(0)
	v_cmp_neq_f64_e64 s0, s[12:13], 0
	v_cmp_neq_f64_e64 s1, s[14:15], 0
	s_or_b32 s0, s0, s1
	s_mov_b32 s1, -1
	s_and_b32 vcc_lo, exec_lo, s0
	s_cbranch_vccnz .LBB53_2
; %bb.1:
	v_cmp_neq_f64_e64 s1, s[8:9], 1.0
	v_cmp_neq_f64_e64 s2, s[10:11], 0
	s_or_b32 s1, s1, s2
.LBB53_2:
	s_andn2_b32 vcc_lo, exec_lo, s1
	s_cbranch_vccnz .LBB53_22
; %bb.3:
	s_clause 0x1
	s_load_dwordx2 s[20:21], s[4:5], 0x38
	s_load_dword s18, s[4:5], 0x0
	s_mov_b32 s17, 0
	s_xor_b32 s19, s0, -1
	s_lshl_b64 s[22:23], s[16:17], 3
	s_load_dwordx4 s[0:3], s[4:5], 0x40
	v_lshl_or_b32 v4, s6, 6, v0
	s_waitcnt lgkmcnt(0)
	s_add_u32 s20, s20, s22
	s_addc_u32 s21, s21, s23
	s_load_dwordx2 s[20:21], s[20:21], 0x0
	s_lshl_b64 s[22:23], s[0:1], 4
	v_cmp_gt_i32_e64 s0, s18, v4
	s_waitcnt lgkmcnt(0)
	s_add_u32 s7, s20, s22
	s_addc_u32 s20, s21, s23
	s_andn2_b32 vcc_lo, exec_lo, s19
	s_cbranch_vccnz .LBB53_8
; %bb.4:
	s_mov_b32 s1, 0
                                        ; implicit-def: $vgpr2_vgpr3
                                        ; implicit-def: $vgpr5_vgpr6
	s_and_saveexec_b32 s19, s0
	s_cbranch_execz .LBB53_9
; %bb.5:
	v_cmp_neq_f64_e64 s0, s[8:9], 0
	v_cmp_neq_f64_e64 s17, s[10:11], 0
	v_ashrrev_i32_e32 v0, 31, v4
	v_mul_lo_u32 v7, s3, v4
	v_mad_u64_u32 v[5:6], null, s2, v4, 0
	v_mov_b32_e32 v2, 0
	v_mul_lo_u32 v8, s2, v0
	v_mov_b32_e32 v0, 0
	v_mov_b32_e32 v3, 0
	v_mov_b32_e32 v1, 0
	v_add3_u32 v6, v6, v8, v7
	s_or_b32 s0, s0, s17
	s_andn2_b32 vcc_lo, exec_lo, s0
	s_cbranch_vccnz .LBB53_7
; %bb.6:
	v_lshlrev_b64 v[0:1], 4, v[5:6]
	v_add_co_u32 v0, vcc_lo, s7, v0
	v_add_co_ci_u32_e64 v1, null, s20, v1, vcc_lo
	flat_load_dwordx4 v[7:10], v[0:1]
	s_waitcnt vmcnt(0) lgkmcnt(0)
	v_mul_f64 v[0:1], s[10:11], v[9:10]
	v_mul_f64 v[2:3], s[8:9], v[9:10]
	v_fma_f64 v[0:1], s[8:9], v[7:8], -v[0:1]
	v_fma_f64 v[2:3], s[10:11], v[7:8], v[2:3]
.LBB53_7:
	s_mov_b32 s17, exec_lo
	s_or_b32 exec_lo, exec_lo, s19
	s_and_b32 vcc_lo, exec_lo, s1
	s_cbranch_vccnz .LBB53_10
	s_branch .LBB53_20
.LBB53_8:
                                        ; implicit-def: $vgpr2_vgpr3
                                        ; implicit-def: $vgpr5_vgpr6
	s_cbranch_execnz .LBB53_10
	s_branch .LBB53_20
.LBB53_9:
	s_or_b32 exec_lo, exec_lo, s19
	s_and_b32 vcc_lo, exec_lo, s1
	s_cbranch_vccz .LBB53_20
.LBB53_10:
	s_mov_b32 s21, exec_lo
                                        ; implicit-def: $vgpr2_vgpr3
                                        ; implicit-def: $vgpr5_vgpr6
	v_cmpx_gt_i32_e64 s18, v4
	s_cbranch_execz .LBB53_19
; %bb.11:
	v_mov_b32_e32 v0, 0
	v_mov_b32_e32 v2, 0
	;; [unrolled: 1-line block ×4, first 2 shown]
	v_ashrrev_i32_e32 v5, 31, v4
	s_cmp_lt_i32 s6, 0
	s_cbranch_scc1 .LBB53_14
; %bb.12:
	s_clause 0x1
	s_load_dword s22, s[4:5], 0x68
	s_load_dwordx2 s[0:1], s[4:5], 0x58
	s_ashr_i32 s19, s18, 31
	s_mul_hi_u32 s5, s18, s16
	s_mul_i32 s23, s19, s16
	s_add_i32 s4, s6, 1
	s_add_i32 s5, s5, s23
	s_mul_i32 s6, s18, s16
	v_lshlrev_b64 v[2:3], 4, v[4:5]
	v_mov_b32_e32 v0, 0
	v_mov_b32_e32 v1, 0
	s_waitcnt lgkmcnt(0)
	s_mul_i32 s5, s5, s22
	s_mul_hi_u32 s16, s6, s22
	s_mul_i32 s22, s6, s22
	s_add_i32 s23, s16, s5
	s_lshl_b64 s[22:23], s[22:23], 4
	s_add_u32 s0, s0, s22
	s_addc_u32 s1, s1, s23
	v_add_co_u32 v6, vcc_lo, s0, v2
	v_add_co_ci_u32_e64 v7, null, s1, v3, vcc_lo
	v_mov_b32_e32 v2, 0
	v_add_co_u32 v6, vcc_lo, v6, 8
	v_mov_b32_e32 v3, 0
	v_add_co_ci_u32_e64 v7, null, 0, v7, vcc_lo
	s_lshl_b64 s[0:1], s[18:19], 4
.LBB53_13:                              ; =>This Inner Loop Header: Depth=1
	global_load_dwordx4 v[8:11], v[6:7], off offset:-8
	v_add_co_u32 v6, vcc_lo, v6, s0
	v_add_co_ci_u32_e64 v7, null, s1, v7, vcc_lo
	s_add_i32 s4, s4, -1
	s_cmp_eq_u32 s4, 0
	s_waitcnt vmcnt(0)
	v_add_f64 v[2:3], v[2:3], v[8:9]
	v_add_f64 v[0:1], v[0:1], v[10:11]
	s_cbranch_scc0 .LBB53_13
.LBB53_14:
	v_mul_f64 v[6:7], s[14:15], v[0:1]
	v_mul_f64 v[8:9], s[12:13], v[0:1]
	v_cmp_neq_f64_e64 s0, s[8:9], 0
	v_cmp_neq_f64_e64 s1, s[10:11], 0
	v_fma_f64 v[0:1], s[12:13], v[2:3], -v[6:7]
	v_fma_f64 v[2:3], s[14:15], v[2:3], v[8:9]
	v_mul_lo_u32 v7, s3, v4
	v_mul_lo_u32 v8, s2, v5
	s_or_b32 s0, s0, s1
	s_andn2_b32 vcc_lo, exec_lo, s0
	s_cbranch_vccz .LBB53_16
; %bb.15:
	v_mad_u64_u32 v[5:6], null, s2, v4, 0
	v_add3_u32 v6, v6, v8, v7
	s_cbranch_execz .LBB53_17
	s_branch .LBB53_18
.LBB53_16:
                                        ; implicit-def: $vgpr5_vgpr6
.LBB53_17:
	v_mad_u64_u32 v[5:6], null, s2, v4, 0
	v_add3_u32 v6, v6, v8, v7
	v_lshlrev_b64 v[7:8], 4, v[5:6]
	v_add_co_u32 v7, vcc_lo, s7, v7
	v_add_co_ci_u32_e64 v8, null, s20, v8, vcc_lo
	flat_load_dwordx4 v[7:10], v[7:8]
	s_waitcnt vmcnt(0) lgkmcnt(0)
	v_mul_f64 v[11:12], s[10:11], v[9:10]
	v_mul_f64 v[9:10], s[8:9], v[9:10]
	v_fma_f64 v[11:12], s[8:9], v[7:8], -v[11:12]
	v_fma_f64 v[7:8], s[10:11], v[7:8], v[9:10]
	v_add_f64 v[0:1], v[0:1], v[11:12]
	v_add_f64 v[2:3], v[2:3], v[7:8]
.LBB53_18:
	s_or_b32 s17, s17, exec_lo
.LBB53_19:
	s_or_b32 exec_lo, exec_lo, s21
.LBB53_20:
	s_and_saveexec_b32 s0, s17
	s_cbranch_execz .LBB53_22
; %bb.21:
	v_lshlrev_b64 v[4:5], 4, v[5:6]
	v_add_co_u32 v4, vcc_lo, s7, v4
	v_add_co_ci_u32_e64 v5, null, s20, v5, vcc_lo
	flat_store_dwordx4 v[4:5], v[0:3]
.LBB53_22:
	s_endpgm
	.section	.rodata,"a",@progbits
	.p2align	6, 0x0
	.amdhsa_kernel _ZL36rocblas_hemvn_kernel_upper_block_sumILi64El19rocblas_complex_numIdEPKPS1_S1_EviT1_lS5_lT2_lT0_lPT3_i
		.amdhsa_group_segment_fixed_size 0
		.amdhsa_private_segment_fixed_size 0
		.amdhsa_kernarg_size 360
		.amdhsa_user_sgpr_count 6
		.amdhsa_user_sgpr_private_segment_buffer 1
		.amdhsa_user_sgpr_dispatch_ptr 0
		.amdhsa_user_sgpr_queue_ptr 0
		.amdhsa_user_sgpr_kernarg_segment_ptr 1
		.amdhsa_user_sgpr_dispatch_id 0
		.amdhsa_user_sgpr_flat_scratch_init 0
		.amdhsa_user_sgpr_private_segment_size 0
		.amdhsa_wavefront_size32 1
		.amdhsa_uses_dynamic_stack 0
		.amdhsa_system_sgpr_private_segment_wavefront_offset 0
		.amdhsa_system_sgpr_workgroup_id_x 1
		.amdhsa_system_sgpr_workgroup_id_y 0
		.amdhsa_system_sgpr_workgroup_id_z 1
		.amdhsa_system_sgpr_workgroup_info 0
		.amdhsa_system_vgpr_workitem_id 0
		.amdhsa_next_free_vgpr 13
		.amdhsa_next_free_sgpr 24
		.amdhsa_reserve_vcc 1
		.amdhsa_reserve_flat_scratch 0
		.amdhsa_float_round_mode_32 0
		.amdhsa_float_round_mode_16_64 0
		.amdhsa_float_denorm_mode_32 3
		.amdhsa_float_denorm_mode_16_64 3
		.amdhsa_dx10_clamp 1
		.amdhsa_ieee_mode 1
		.amdhsa_fp16_overflow 0
		.amdhsa_workgroup_processor_mode 1
		.amdhsa_memory_ordered 1
		.amdhsa_forward_progress 1
		.amdhsa_shared_vgpr_count 0
		.amdhsa_exception_fp_ieee_invalid_op 0
		.amdhsa_exception_fp_denorm_src 0
		.amdhsa_exception_fp_ieee_div_zero 0
		.amdhsa_exception_fp_ieee_overflow 0
		.amdhsa_exception_fp_ieee_underflow 0
		.amdhsa_exception_fp_ieee_inexact 0
		.amdhsa_exception_int_div_zero 0
	.end_amdhsa_kernel
	.section	.text._ZL36rocblas_hemvn_kernel_upper_block_sumILi64El19rocblas_complex_numIdEPKPS1_S1_EviT1_lS5_lT2_lT0_lPT3_i,"axG",@progbits,_ZL36rocblas_hemvn_kernel_upper_block_sumILi64El19rocblas_complex_numIdEPKPS1_S1_EviT1_lS5_lT2_lT0_lPT3_i,comdat
.Lfunc_end53:
	.size	_ZL36rocblas_hemvn_kernel_upper_block_sumILi64El19rocblas_complex_numIdEPKPS1_S1_EviT1_lS5_lT2_lT0_lPT3_i, .Lfunc_end53-_ZL36rocblas_hemvn_kernel_upper_block_sumILi64El19rocblas_complex_numIdEPKPS1_S1_EviT1_lS5_lT2_lT0_lPT3_i
                                        ; -- End function
	.set _ZL36rocblas_hemvn_kernel_upper_block_sumILi64El19rocblas_complex_numIdEPKPS1_S1_EviT1_lS5_lT2_lT0_lPT3_i.num_vgpr, 13
	.set _ZL36rocblas_hemvn_kernel_upper_block_sumILi64El19rocblas_complex_numIdEPKPS1_S1_EviT1_lS5_lT2_lT0_lPT3_i.num_agpr, 0
	.set _ZL36rocblas_hemvn_kernel_upper_block_sumILi64El19rocblas_complex_numIdEPKPS1_S1_EviT1_lS5_lT2_lT0_lPT3_i.numbered_sgpr, 24
	.set _ZL36rocblas_hemvn_kernel_upper_block_sumILi64El19rocblas_complex_numIdEPKPS1_S1_EviT1_lS5_lT2_lT0_lPT3_i.num_named_barrier, 0
	.set _ZL36rocblas_hemvn_kernel_upper_block_sumILi64El19rocblas_complex_numIdEPKPS1_S1_EviT1_lS5_lT2_lT0_lPT3_i.private_seg_size, 0
	.set _ZL36rocblas_hemvn_kernel_upper_block_sumILi64El19rocblas_complex_numIdEPKPS1_S1_EviT1_lS5_lT2_lT0_lPT3_i.uses_vcc, 1
	.set _ZL36rocblas_hemvn_kernel_upper_block_sumILi64El19rocblas_complex_numIdEPKPS1_S1_EviT1_lS5_lT2_lT0_lPT3_i.uses_flat_scratch, 0
	.set _ZL36rocblas_hemvn_kernel_upper_block_sumILi64El19rocblas_complex_numIdEPKPS1_S1_EviT1_lS5_lT2_lT0_lPT3_i.has_dyn_sized_stack, 0
	.set _ZL36rocblas_hemvn_kernel_upper_block_sumILi64El19rocblas_complex_numIdEPKPS1_S1_EviT1_lS5_lT2_lT0_lPT3_i.has_recursion, 0
	.set _ZL36rocblas_hemvn_kernel_upper_block_sumILi64El19rocblas_complex_numIdEPKPS1_S1_EviT1_lS5_lT2_lT0_lPT3_i.has_indirect_call, 0
	.section	.AMDGPU.csdata,"",@progbits
; Kernel info:
; codeLenInByte = 876
; TotalNumSgprs: 26
; NumVgprs: 13
; ScratchSize: 0
; MemoryBound: 0
; FloatMode: 240
; IeeeMode: 1
; LDSByteSize: 0 bytes/workgroup (compile time only)
; SGPRBlocks: 0
; VGPRBlocks: 1
; NumSGPRsForWavesPerEU: 26
; NumVGPRsForWavesPerEU: 13
; Occupancy: 16
; WaveLimiterHint : 1
; COMPUTE_PGM_RSRC2:SCRATCH_EN: 0
; COMPUTE_PGM_RSRC2:USER_SGPR: 6
; COMPUTE_PGM_RSRC2:TRAP_HANDLER: 0
; COMPUTE_PGM_RSRC2:TGID_X_EN: 1
; COMPUTE_PGM_RSRC2:TGID_Y_EN: 0
; COMPUTE_PGM_RSRC2:TGID_Z_EN: 1
; COMPUTE_PGM_RSRC2:TIDIG_COMP_CNT: 0
	.section	.text._ZL26rocblas_hemvn_kernel_upperILb1ELi64ELi4ELi33ELi32ELi16Ei19rocblas_complex_numIdEPKPKS1_PS1_EviT6_lT7_lT5_lS8_lS9_lS7_lT8_i,"axG",@progbits,_ZL26rocblas_hemvn_kernel_upperILb1ELi64ELi4ELi33ELi32ELi16Ei19rocblas_complex_numIdEPKPKS1_PS1_EviT6_lT7_lT5_lS8_lS9_lS7_lT8_i,comdat
	.globl	_ZL26rocblas_hemvn_kernel_upperILb1ELi64ELi4ELi33ELi32ELi16Ei19rocblas_complex_numIdEPKPKS1_PS1_EviT6_lT7_lT5_lS8_lS9_lS7_lT8_i ; -- Begin function _ZL26rocblas_hemvn_kernel_upperILb1ELi64ELi4ELi33ELi32ELi16Ei19rocblas_complex_numIdEPKPKS1_PS1_EviT6_lT7_lT5_lS8_lS9_lS7_lT8_i
	.p2align	8
	.type	_ZL26rocblas_hemvn_kernel_upperILb1ELi64ELi4ELi33ELi32ELi16Ei19rocblas_complex_numIdEPKPKS1_PS1_EviT6_lT7_lT5_lS8_lS9_lS7_lT8_i,@function
_ZL26rocblas_hemvn_kernel_upperILb1ELi64ELi4ELi33ELi32ELi16Ei19rocblas_complex_numIdEPKPKS1_PS1_EviT6_lT7_lT5_lS8_lS9_lS7_lT8_i: ; @_ZL26rocblas_hemvn_kernel_upperILb1ELi64ELi4ELi33ELi32ELi16Ei19rocblas_complex_numIdEPKPKS1_PS1_EviT6_lT7_lT5_lS8_lS9_lS7_lT8_i
; %bb.0:
	s_load_dwordx2 s[0:1], s[4:5], 0x94
	s_add_u32 s8, s4, 0x88
	s_addc_u32 s9, s5, 0
	s_waitcnt lgkmcnt(0)
	s_lshr_b32 s2, s0, 16
	s_and_b32 s0, s0, 0xffff
	s_and_b32 s1, s1, 0xffff
	s_mul_i32 s0, s2, s0
	s_mul_i32 s0, s0, s1
	s_cmpk_lg_i32 s0, 0x100
	s_cbranch_scc1 .LBB54_201
; %bb.1:
	s_load_dwordx4 s[0:3], s[4:5], 0x8
	s_mov_b32 s12, s7
	s_waitcnt lgkmcnt(0)
	v_cmp_neq_f64_e64 s0, s[0:1], 0
	v_cmp_neq_f64_e64 s1, s[2:3], 0
	s_or_b32 s0, s0, s1
	s_and_b32 vcc_lo, exec_lo, s0
	s_mov_b32 s0, -1
	s_cbranch_vccnz .LBB54_3
; %bb.2:
	s_load_dwordx4 s[0:3], s[4:5], 0x60
	s_waitcnt lgkmcnt(0)
	v_cmp_eq_f64_e64 s0, s[0:1], 1.0
	v_cmp_eq_f64_e64 s1, s[2:3], 0
	s_and_b32 s0, s0, s1
	s_andn2_b32 vcc_lo, exec_lo, s0
	s_mov_b32 s0, 0
.LBB54_3:
	s_andn2_b32 vcc_lo, exec_lo, s0
	s_cbranch_vccnz .LBB54_201
; %bb.4:
	s_clause 0x1
	s_load_dwordx4 s[0:3], s[4:5], 0x20
	s_load_dwordx4 s[16:19], s[4:5], 0x40
	s_mov_b32 s13, 0
	s_load_dword s27, s[4:5], 0x50
	s_lshl_b64 s[10:11], s[12:13], 3
	s_waitcnt lgkmcnt(0)
	s_add_u32 s0, s0, s10
	s_addc_u32 s1, s1, s11
	s_add_u32 s10, s16, s10
	s_addc_u32 s11, s17, s11
	s_lshl_b64 s[14:15], s[18:19], 4
	s_load_dwordx2 s[10:11], s[10:11], 0x0
	s_load_dword s13, s[4:5], 0x0
	s_load_dword s24, s[8:9], 0x0
	s_load_dwordx2 s[8:9], s[0:1], 0x0
	s_waitcnt lgkmcnt(0)
	s_add_u32 s7, s10, s14
	s_addc_u32 s10, s11, s15
	s_lshl_b32 s16, s6, 6
	s_ashr_i32 s28, s13, 31
	v_add_nc_u32_e32 v167, s16, v0
	s_lshr_b32 s0, s28, 26
	s_add_i32 s1, s24, -1
	s_add_i32 s0, s13, s0
	v_mul_lo_u32 v2, s27, v167
	s_andn2_b32 s0, s0, 63
	s_sub_i32 s25, s13, s0
	v_cmp_eq_u32_e64 s0, 0, v1
	s_cmp_eq_u32 s6, s1
	v_ashrrev_i32_e32 v3, 31, v2
	v_lshlrev_b64 v[2:3], 4, v[2:3]
	v_add_co_u32 v38, vcc_lo, s7, v2
	v_add_co_ci_u32_e64 v39, null, s10, v3, vcc_lo
	s_mov_b32 s7, -1
	s_cselect_b32 s10, s25, 0
	s_and_saveexec_b32 s1, s0
	s_cbranch_execz .LBB54_9
; %bb.5:
	v_cmp_le_i32_e32 vcc_lo, s10, v0
	s_cmp_lg_u32 s10, 0
	v_lshl_add_u32 v2, v0, 4, 0x4700
	s_cselect_b32 s11, -1, 0
	s_and_b32 s11, s11, vcc_lo
	s_and_saveexec_b32 s14, s11
	s_xor_b32 s11, exec_lo, s14
	s_cbranch_execz .LBB54_7
; %bb.6:
	v_mov_b32_e32 v3, 0
	v_mov_b32_e32 v4, v3
	;; [unrolled: 1-line block ×4, first 2 shown]
	ds_write_b128 v2, v[3:6]
                                        ; implicit-def: $vgpr2
.LBB54_7:
	s_andn2_saveexec_b32 s11, s11
	s_cbranch_execz .LBB54_9
; %bb.8:
	flat_load_dwordx4 v[3:6], v[38:39]
	s_waitcnt vmcnt(0) lgkmcnt(0)
	ds_write2_b64 v2, v[3:4], v[5:6] offset1:1
.LBB54_9:
	s_or_b32 exec_lo, exec_lo, s1
	s_load_dword s14, s[4:5], 0x30
	v_lshl_add_u32 v44, v1, 6, v0
	v_and_b32_e32 v10, 31, v0
	s_lshl_b64 s[2:3], s[2:3], 4
                                        ; implicit-def: $vgpr6_vgpr7
	s_add_u32 s1, s8, s2
	v_lshrrev_b32_e32 v13, 5, v44
	s_addc_u32 s8, s9, s3
	s_ashr_i32 s17, s16, 31
	v_lshlrev_b32_e32 v14, 4, v10
	s_lshl_b64 s[2:3], s[16:17], 4
	s_add_u32 s9, s1, s2
	s_addc_u32 s8, s8, s3
	v_cmp_gt_i32_e64 s1, s10, v10
	s_waitcnt lgkmcnt(0)
	v_mad_u64_u32 v[2:3], null, s14, v13, v[10:11]
	s_mul_i32 s2, s14, s16
	s_ashr_i32 s3, s2, 31
	s_lshl_b64 s[2:3], s[2:3], 4
	s_cmp_eq_u32 s10, 0
	v_ashrrev_i32_e32 v3, 31, v2
	s_cselect_b32 s26, -1, 0
	s_cmp_lg_u32 s10, 0
	s_cselect_b32 s17, -1, 0
	v_lshlrev_b64 v[40:41], 4, v[2:3]
	v_add_co_u32 v2, vcc_lo, s9, v40
	v_add_co_ci_u32_e64 v3, null, s8, v41, vcc_lo
	s_and_b32 vcc_lo, exec_lo, s17
	v_add_co_u32 v2, s2, v2, s2
	v_add_co_ci_u32_e64 v3, null, s3, v3, s2
	s_cbranch_vccz .LBB54_27
; %bb.10:
	v_sub_co_u32 v4, vcc_lo, v2, v14
	s_ashr_i32 s11, s10, 31
	v_subrev_co_ci_u32_e64 v5, null, 0, v3, vcc_lo
	s_lshl_b64 s[2:3], s[10:11], 4
	v_mad_u32_u24 v7, 0x210, v13, v14
	v_add_co_u32 v4, vcc_lo, v4, s2
	v_add_co_ci_u32_e64 v5, null, s3, v5, vcc_lo
	s_mov_b32 s7, exec_lo
	v_add_co_u32 v4, vcc_lo, v4, -16
	v_add_co_ci_u32_e64 v5, null, -1, v5, vcc_lo
	v_cndmask_b32_e64 v4, v4, v2, s1
	v_cndmask_b32_e64 v5, v5, v3, s1
	v_cmpx_le_i32_e64 s10, v13
	s_xor_b32 s7, exec_lo, s7
	s_cbranch_execz .LBB54_12
; %bb.11:
	v_mov_b32_e32 v15, 0
	v_mov_b32_e32 v16, v15
	;; [unrolled: 1-line block ×4, first 2 shown]
	ds_write_b128 v7, v[15:18]
                                        ; implicit-def: $vgpr7
.LBB54_12:
	s_or_saveexec_b32 s7, s7
	v_mul_u32_u24_e32 v6, 0x210, v13
	s_xor_b32 exec_lo, exec_lo, s7
	s_cbranch_execz .LBB54_14
; %bb.13:
	flat_load_dwordx4 v[15:18], v[4:5]
	s_waitcnt vmcnt(0) lgkmcnt(0)
	ds_write2_b64 v7, v[15:16], v[17:18] offset1:1
.LBB54_14:
	s_or_b32 exec_lo, exec_lo, s7
	v_add_nc_u32_e32 v7, 8, v13
	v_cmp_le_i32_e32 vcc_lo, s10, v7
	v_add_nc_u32_e32 v7, v6, v14
	s_and_saveexec_b32 s7, vcc_lo
	s_xor_b32 s7, exec_lo, s7
	s_cbranch_execz .LBB54_16
; %bb.15:
	v_mov_b32_e32 v15, 0
	v_mov_b32_e32 v16, v15
	;; [unrolled: 1-line block ×4, first 2 shown]
	ds_write_b128 v7, v[15:18] offset:4224
.LBB54_16:
	s_andn2_saveexec_b32 s7, s7
	s_cbranch_execz .LBB54_18
; %bb.17:
	s_lshl_b32 s8, s14, 3
	s_ashr_i32 s9, s8, 31
	s_lshl_b64 s[8:9], s[8:9], 4
	v_add_co_u32 v8, vcc_lo, v4, s8
	v_add_co_ci_u32_e64 v9, null, s9, v5, vcc_lo
	flat_load_dwordx4 v[15:18], v[8:9]
	v_add3_u32 v8, v6, v14, 0x1080
	s_waitcnt vmcnt(0) lgkmcnt(0)
	ds_write2_b64 v8, v[15:16], v[17:18] offset1:1
.LBB54_18:
	s_or_b32 exec_lo, exec_lo, s7
	v_add_nc_u32_e32 v8, 16, v13
	s_mov_b32 s7, exec_lo
	v_cmpx_le_i32_e64 s10, v8
	s_xor_b32 s7, exec_lo, s7
	s_cbranch_execz .LBB54_20
; %bb.19:
	v_mov_b32_e32 v15, 0
	v_mov_b32_e32 v16, v15
	;; [unrolled: 1-line block ×4, first 2 shown]
	ds_write_b128 v7, v[15:18] offset:8448
.LBB54_20:
	s_andn2_saveexec_b32 s7, s7
	s_cbranch_execz .LBB54_22
; %bb.21:
	s_lshl_b32 s8, s14, 4
	s_ashr_i32 s9, s8, 31
	s_lshl_b64 s[8:9], s[8:9], 4
	v_add_co_u32 v8, vcc_lo, v4, s8
	v_add_co_ci_u32_e64 v9, null, s9, v5, vcc_lo
	flat_load_dwordx4 v[15:18], v[8:9]
	v_add3_u32 v8, v6, v14, 0x2100
	s_waitcnt vmcnt(0) lgkmcnt(0)
	ds_write2_b64 v8, v[15:16], v[17:18] offset1:1
.LBB54_22:
	s_or_b32 exec_lo, exec_lo, s7
	v_add_nc_u32_e32 v8, 24, v13
	s_mov_b32 s7, exec_lo
	v_cmpx_le_i32_e64 s10, v8
	s_xor_b32 s7, exec_lo, s7
	s_cbranch_execz .LBB54_24
; %bb.23:
	v_mov_b32_e32 v15, 0
                                        ; implicit-def: $vgpr6
	v_mov_b32_e32 v16, v15
	v_mov_b32_e32 v17, v15
	;; [unrolled: 1-line block ×3, first 2 shown]
	ds_write_b128 v7, v[15:18] offset:12672
.LBB54_24:
	s_andn2_saveexec_b32 s7, s7
	s_cbranch_execz .LBB54_26
; %bb.25:
	s_mul_i32 s8, s14, 24
	v_add3_u32 v6, v6, v14, 0x3180
	s_ashr_i32 s9, s8, 31
	s_lshl_b64 s[8:9], s[8:9], 4
	v_add_co_u32 v7, vcc_lo, v4, s8
	v_add_co_ci_u32_e64 v8, null, s9, v5, vcc_lo
	flat_load_dwordx4 v[15:18], v[7:8]
	s_waitcnt vmcnt(0) lgkmcnt(0)
	ds_write2_b64 v6, v[15:16], v[17:18] offset1:1
.LBB54_26:
	s_or_b32 exec_lo, exec_lo, s7
	v_add_co_u32 v4, vcc_lo, v4, v14
	v_add_co_ci_u32_e64 v5, null, 0, v5, vcc_lo
	s_mov_b32 s7, 0
	v_sub_co_u32 v4, vcc_lo, v4, s2
	v_subrev_co_ci_u32_e64 v5, null, s3, v5, vcc_lo
	v_add_co_u32 v4, vcc_lo, v4, 16
	v_add_co_ci_u32_e64 v5, null, 0, v5, vcc_lo
	v_cndmask_b32_e64 v6, v4, v2, s1
	v_cndmask_b32_e64 v7, v5, v3, s1
.LBB54_27:
	v_mul_u32_u24_e32 v15, 0x210, v13
	s_and_b32 vcc_lo, exec_lo, s7
	s_cbranch_vccz .LBB54_29
; %bb.28:
	flat_load_dwordx4 v[4:7], v[2:3]
	s_lshl_b32 s2, s14, 3
	v_lshl_add_u32 v11, v10, 4, v15
	s_ashr_i32 s3, s2, 31
	s_ashr_i32 s15, s14, 31
	s_lshl_b64 s[2:3], s[2:3], 4
	v_add_co_u32 v8, vcc_lo, v2, s2
	v_add_co_ci_u32_e64 v9, null, s3, v3, vcc_lo
	s_lshl_b64 s[2:3], s[14:15], 7
	v_add_nc_u32_e32 v12, 0x1080, v11
	s_waitcnt vmcnt(0) lgkmcnt(0)
	ds_write2_b64 v11, v[4:5], v[6:7] offset1:1
	flat_load_dwordx4 v[4:7], v[8:9]
	v_add_co_u32 v8, vcc_lo, v8, s2
	v_add_co_ci_u32_e64 v9, null, s3, v9, vcc_lo
	s_waitcnt vmcnt(0) lgkmcnt(0)
	ds_write2_b64 v12, v[4:5], v[6:7] offset1:1
	flat_load_dwordx4 v[4:7], v[8:9]
	v_add_co_u32 v8, vcc_lo, v8, s2
	v_add_nc_u32_e32 v12, 0x2100, v11
	v_add_co_ci_u32_e64 v9, null, s3, v9, vcc_lo
	s_waitcnt vmcnt(0) lgkmcnt(0)
	ds_write2_b64 v12, v[4:5], v[6:7] offset1:1
	flat_load_dwordx4 v[16:19], v[8:9]
	v_mov_b32_e32 v7, v3
	v_add_nc_u32_e32 v4, 0x3180, v11
	v_mov_b32_e32 v6, v2
	s_waitcnt vmcnt(0) lgkmcnt(0)
	ds_write2_b64 v4, v[16:17], v[18:19] offset1:1
.LBB54_29:
	v_lshlrev_b32_e32 v18, 2, v13
	v_mul_u32_u24_e32 v16, 0x210, v10
	s_mov_b32 s1, 0
	s_waitcnt lgkmcnt(0)
	s_barrier
	v_cmp_le_u32_e64 s2, v18, v10
	buffer_gl0_inv
                                        ; implicit-def: $vgpr8
	s_and_saveexec_b32 s3, s2
	s_xor_b32 s3, exec_lo, s3
	s_cbranch_execz .LBB54_33
; %bb.30:
	s_mov_b32 s7, exec_lo
                                        ; implicit-def: $vgpr8
	v_cmpx_eq_u32_e64 v18, v10
	s_xor_b32 s7, exec_lo, s7
; %bb.31:
	s_mov_b32 s1, exec_lo
	v_add_nc_u32_e32 v8, v14, v16
; %bb.32:
	s_or_b32 exec_lo, exec_lo, s7
	s_and_b32 s1, s1, exec_lo
.LBB54_33:
	s_or_saveexec_b32 s3, s3
	v_lshl_or_b32 v2, v10, 9, v14
	v_mov_b32_e32 v4, 0
	v_mov_b32_e32 v5, 0
	v_mad_u32_u24 v9, 0x840, v13, v14
	v_lshl_add_u32 v11, v18, 4, v2
	s_xor_b32 exec_lo, exec_lo, s3
	s_cbranch_execz .LBB54_35
; %bb.34:
	ds_read_b128 v[2:5], v9
	v_mov_b32_e32 v8, v11
	s_or_b32 s1, s1, exec_lo
	s_waitcnt lgkmcnt(0)
	v_xor_b32_e32 v5, 0x80000000, v5
	ds_write_b64 v11, v[2:3]
.LBB54_35:
	s_or_b32 exec_lo, exec_lo, s3
	s_and_saveexec_b32 s3, s1
; %bb.36:
	ds_write_b64 v8, v[4:5] offset:8
; %bb.37:
	s_or_b32 exec_lo, exec_lo, s3
	v_or_b32_e32 v19, 1, v18
	v_cmp_ge_u32_e64 s3, v18, v10
	s_mov_b32 s1, 0
                                        ; implicit-def: $vgpr4_vgpr5
                                        ; implicit-def: $vgpr12
	v_mad_u32_u24 v8, 0x210, v19, v14
	s_and_saveexec_b32 s7, s3
	s_xor_b32 s7, exec_lo, s7
	s_cbranch_execz .LBB54_77
; %bb.38:
	ds_read_b128 v[2:5], v8
	s_mov_b32 s1, exec_lo
	v_add_nc_u32_e32 v12, 16, v11
	s_waitcnt lgkmcnt(0)
	v_xor_b32_e32 v5, 0x80000000, v5
	ds_write_b64 v11, v[2:3] offset:16
	s_andn2_saveexec_b32 s7, s7
	s_cbranch_execnz .LBB54_78
.LBB54_39:
	s_or_b32 exec_lo, exec_lo, s7
	s_and_saveexec_b32 s7, s1
.LBB54_40:
	ds_write_b64 v12, v[4:5] offset:8
.LBB54_41:
	s_or_b32 exec_lo, exec_lo, s7
	v_or_b32_e32 v20, 2, v18
	s_mov_b32 s1, 0
                                        ; implicit-def: $vgpr12
	v_cmp_le_u32_e64 s7, v20, v10
	s_and_saveexec_b32 s8, s7
	s_xor_b32 s8, exec_lo, s8
	s_cbranch_execz .LBB54_45
; %bb.42:
	s_mov_b32 s9, exec_lo
                                        ; implicit-def: $vgpr12
	v_cmpx_eq_u32_e64 v20, v10
; %bb.43:
	v_add_nc_u32_e32 v12, v14, v16
	s_mov_b32 s1, exec_lo
; %bb.44:
	s_or_b32 exec_lo, exec_lo, s9
	s_and_b32 s1, s1, exec_lo
.LBB54_45:
	s_or_saveexec_b32 s8, s8
	v_mov_b32_e32 v4, 0
	v_mov_b32_e32 v5, 0
	s_xor_b32 exec_lo, exec_lo, s8
	s_cbranch_execz .LBB54_47
; %bb.46:
	v_mad_u32_u24 v2, 0x210, v20, v14
	v_add_nc_u32_e32 v12, 32, v11
	s_or_b32 s1, s1, exec_lo
	ds_read_b128 v[2:5], v2
	s_waitcnt lgkmcnt(0)
	v_xor_b32_e32 v5, 0x80000000, v5
	ds_write_b64 v11, v[2:3] offset:32
.LBB54_47:
	s_or_b32 exec_lo, exec_lo, s8
	s_and_saveexec_b32 s8, s1
; %bb.48:
	ds_write_b64 v12, v[4:5] offset:8
; %bb.49:
	s_or_b32 exec_lo, exec_lo, s8
	v_or_b32_e32 v21, 3, v18
	s_mov_b32 s1, 0
                                        ; implicit-def: $vgpr12
	v_cmp_le_u32_e64 s8, v21, v10
	s_and_saveexec_b32 s9, s8
	s_xor_b32 s9, exec_lo, s9
	s_cbranch_execz .LBB54_53
; %bb.50:
	s_mov_b32 s11, exec_lo
                                        ; implicit-def: $vgpr12
	v_cmpx_eq_u32_e64 v21, v10
; %bb.51:
	v_add_nc_u32_e32 v12, v14, v16
	s_mov_b32 s1, exec_lo
; %bb.52:
	s_or_b32 exec_lo, exec_lo, s11
	s_and_b32 s1, s1, exec_lo
                                        ; implicit-def: $vgpr11
.LBB54_53:
	s_or_saveexec_b32 s9, s9
	v_mov_b32_e32 v4, 0
	v_mov_b32_e32 v5, 0
	s_xor_b32 exec_lo, exec_lo, s9
	s_cbranch_execz .LBB54_55
; %bb.54:
	v_mad_u32_u24 v2, 0x210, v21, v14
	v_add_nc_u32_e32 v12, 48, v11
	s_or_b32 s1, s1, exec_lo
	ds_read_b128 v[2:5], v2
	s_waitcnt lgkmcnt(0)
	v_xor_b32_e32 v5, 0x80000000, v5
	ds_write_b64 v11, v[2:3] offset:48
.LBB54_55:
	s_or_b32 exec_lo, exec_lo, s9
	s_and_saveexec_b32 s9, s1
; %bb.56:
	ds_write_b64 v12, v[4:5] offset:8
; %bb.57:
	s_or_b32 exec_lo, exec_lo, s9
	v_lshlrev_b32_e32 v22, 4, v18
	s_waitcnt lgkmcnt(0)
	s_barrier
	buffer_gl0_inv
	ds_read_b128 v[2:5], v9
	ds_read_b128 v[23:26], v22 offset:18176
	ds_read_b128 v[27:30], v8
	ds_read_b128 v[31:34], v8 offset:1056
	ds_read_b128 v[45:48], v22 offset:18192
	;; [unrolled: 1-line block ×4, first 2 shown]
	v_cmp_gt_u32_e64 s1, 32, v44
	s_waitcnt lgkmcnt(5)
	v_mul_f64 v[11:12], v[25:26], v[4:5]
	v_mul_f64 v[4:5], v[23:24], v[4:5]
	s_waitcnt lgkmcnt(2)
	v_mul_f64 v[8:9], v[47:48], v[29:30]
	v_mul_f64 v[29:30], v[45:46], v[29:30]
	s_waitcnt lgkmcnt(0)
	v_mul_f64 v[35:36], v[53:54], v[51:52]
	v_fma_f64 v[11:12], v[23:24], v[2:3], -v[11:12]
	v_fma_f64 v[23:24], v[25:26], v[2:3], v[4:5]
	v_mul_f64 v[25:26], v[55:56], v[51:52]
	v_fma_f64 v[8:9], v[45:46], v[27:28], -v[8:9]
	v_fma_f64 v[27:28], v[47:48], v[27:28], v[29:30]
	ds_read_b128 v[2:5], v22 offset:18224
	v_fma_f64 v[35:36], v[55:56], v[49:50], v[35:36]
	s_waitcnt lgkmcnt(0)
	s_barrier
	buffer_gl0_inv
	v_add_f64 v[11:12], v[11:12], 0
	v_add_f64 v[23:24], v[23:24], 0
	v_fma_f64 v[25:26], v[53:54], v[49:50], -v[25:26]
	v_mul_f64 v[29:30], v[4:5], v[33:34]
	v_mul_f64 v[33:34], v[2:3], v[33:34]
	v_add_f64 v[8:9], v[11:12], v[8:9]
	v_add_f64 v[11:12], v[23:24], v[27:28]
	v_fma_f64 v[2:3], v[2:3], v[31:32], -v[29:30]
	v_fma_f64 v[4:5], v[4:5], v[31:32], v[33:34]
	v_add_f64 v[8:9], v[8:9], v[25:26]
	v_add_f64 v[11:12], v[11:12], v[35:36]
	v_add_f64 v[23:24], v[8:9], v[2:3]
	v_add_f64 v[25:26], v[11:12], v[4:5]
	v_mul_u32_u24_e32 v2, 33, v10
	v_mov_b32_e32 v4, 0
	v_mov_b32_e32 v5, 0
	v_lshlrev_b32_e32 v45, 4, v2
	v_mov_b32_e32 v2, 0
	v_mov_b32_e32 v3, 0
	v_lshl_add_u32 v46, v13, 4, v45
	ds_write_b128 v46, v[23:26]
	s_waitcnt lgkmcnt(0)
	s_barrier
	buffer_gl0_inv
	s_and_saveexec_b32 s9, s1
	s_cbranch_execz .LBB54_59
; %bb.58:
	ds_read_b128 v[2:5], v45
	ds_read_b128 v[23:26], v45 offset:16
	s_waitcnt lgkmcnt(0)
	v_add_f64 v[8:9], v[23:24], v[2:3]
	v_add_f64 v[11:12], v[25:26], v[4:5]
	ds_read_b128 v[2:5], v45 offset:32
	ds_read_b128 v[23:26], v45 offset:48
	s_waitcnt lgkmcnt(1)
	v_add_f64 v[2:3], v[8:9], v[2:3]
	v_add_f64 v[4:5], v[11:12], v[4:5]
	s_waitcnt lgkmcnt(0)
	v_add_f64 v[8:9], v[2:3], v[23:24]
	v_add_f64 v[11:12], v[4:5], v[25:26]
	ds_read_b128 v[2:5], v45 offset:64
	ds_read_b128 v[23:26], v45 offset:80
	s_waitcnt lgkmcnt(1)
	v_add_f64 v[2:3], v[8:9], v[2:3]
	v_add_f64 v[4:5], v[11:12], v[4:5]
	;; [unrolled: 8-line block ×3, first 2 shown]
	s_waitcnt lgkmcnt(0)
	v_add_f64 v[2:3], v[2:3], v[23:24]
	v_add_f64 v[4:5], v[4:5], v[25:26]
.LBB54_59:
	s_or_b32 exec_lo, exec_lo, s9
	s_lshl_b32 s20, s14, 5
	v_mad_u32_u24 v17, 0x210, v13, v14
	s_ashr_i32 s21, s20, 31
	s_lshl_b64 s[18:19], s[20:21], 4
	s_barrier
	v_add_co_u32 v23, vcc_lo, v6, s18
	v_add_co_ci_u32_e64 v24, null, s19, v7, vcc_lo
	buffer_gl0_inv
	v_add_co_u32 v6, vcc_lo, 0x200, v23
	v_add_co_ci_u32_e64 v7, null, 0, v24, vcc_lo
	s_and_b32 vcc_lo, exec_lo, s17
	s_cbranch_vccz .LBB54_81
; %bb.60:
	v_sub_co_u32 v8, vcc_lo, v23, v14
	s_ashr_i32 s11, s10, 31
	v_subrev_co_ci_u32_e64 v9, null, 0, v24, vcc_lo
	s_lshl_b64 s[22:23], s[10:11], 4
	v_or_b32_e32 v11, 32, v10
	v_add_co_u32 v8, vcc_lo, v8, s22
	v_add_co_ci_u32_e64 v9, null, s23, v9, vcc_lo
	s_sub_i32 s11, s10, 32
	v_add_co_u32 v8, vcc_lo, v8, -16
	v_add_co_ci_u32_e64 v9, null, -1, v9, vcc_lo
	v_cmp_gt_i32_e32 vcc_lo, s10, v11
	v_cmp_le_i32_e64 s9, s11, v13
	v_cndmask_b32_e32 v9, v9, v7, vcc_lo
	v_cndmask_b32_e32 v8, v8, v6, vcc_lo
	s_and_saveexec_b32 s15, s9
	s_xor_b32 s9, exec_lo, s15
	s_cbranch_execz .LBB54_62
; %bb.61:
	v_mov_b32_e32 v25, 0
	v_mov_b32_e32 v26, v25
	;; [unrolled: 1-line block ×4, first 2 shown]
	ds_write_b128 v17, v[25:28]
.LBB54_62:
	s_andn2_saveexec_b32 s9, s9
	s_cbranch_execz .LBB54_64
; %bb.63:
	flat_load_dwordx4 v[25:28], v[8:9]
	s_waitcnt vmcnt(0) lgkmcnt(0)
	ds_write2_b64 v17, v[25:26], v[27:28] offset1:1
.LBB54_64:
	s_or_b32 exec_lo, exec_lo, s9
	v_add_nc_u32_e32 v11, 8, v13
	v_cmp_le_i32_e64 s9, s11, v11
	v_add_nc_u32_e32 v11, v15, v14
	s_and_saveexec_b32 s15, s9
	s_xor_b32 s9, exec_lo, s15
	s_cbranch_execz .LBB54_66
; %bb.65:
	v_mov_b32_e32 v25, 0
	v_mov_b32_e32 v26, v25
	;; [unrolled: 1-line block ×4, first 2 shown]
	ds_write_b128 v11, v[25:28] offset:4224
.LBB54_66:
	s_andn2_saveexec_b32 s15, s9
	s_cbranch_execz .LBB54_68
; %bb.67:
	s_lshl_b32 s30, s14, 3
	v_add3_u32 v12, v15, v14, 0x1080
	s_ashr_i32 s31, s30, 31
	s_lshl_b64 s[30:31], s[30:31], 4
	v_add_co_u32 v25, s9, v8, s30
	v_add_co_ci_u32_e64 v26, null, s31, v9, s9
	flat_load_dwordx4 v[25:28], v[25:26]
	s_waitcnt vmcnt(0) lgkmcnt(0)
	ds_write2_b64 v12, v[25:26], v[27:28] offset1:1
.LBB54_68:
	s_or_b32 exec_lo, exec_lo, s15
	v_add_nc_u32_e32 v12, 16, v13
	v_cmp_le_i32_e64 s9, s11, v12
	s_and_saveexec_b32 s15, s9
	s_xor_b32 s9, exec_lo, s15
	s_cbranch_execz .LBB54_70
; %bb.69:
	v_mov_b32_e32 v25, 0
	v_mov_b32_e32 v26, v25
	;; [unrolled: 1-line block ×4, first 2 shown]
	ds_write_b128 v11, v[25:28] offset:8448
.LBB54_70:
	s_andn2_saveexec_b32 s15, s9
	s_cbranch_execz .LBB54_72
; %bb.71:
	s_lshl_b32 s30, s14, 4
	v_add3_u32 v12, v15, v14, 0x2100
	s_ashr_i32 s31, s30, 31
	s_lshl_b64 s[30:31], s[30:31], 4
	v_add_co_u32 v25, s9, v8, s30
	v_add_co_ci_u32_e64 v26, null, s31, v9, s9
	flat_load_dwordx4 v[25:28], v[25:26]
	s_waitcnt vmcnt(0) lgkmcnt(0)
	ds_write2_b64 v12, v[25:26], v[27:28] offset1:1
.LBB54_72:
	s_or_b32 exec_lo, exec_lo, s15
	v_add_nc_u32_e32 v12, 24, v13
	v_cmp_le_i32_e64 s9, s11, v12
	s_and_saveexec_b32 s11, s9
	s_xor_b32 s9, exec_lo, s11
	s_cbranch_execz .LBB54_74
; %bb.73:
	v_mov_b32_e32 v25, 0
	v_mov_b32_e32 v26, v25
	v_mov_b32_e32 v27, v25
	v_mov_b32_e32 v28, v25
	ds_write_b128 v11, v[25:28] offset:12672
.LBB54_74:
	s_andn2_saveexec_b32 s11, s9
	s_cbranch_execz .LBB54_76
; %bb.75:
	s_mul_i32 s30, s14, 24
	s_ashr_i32 s31, s30, 31
	s_lshl_b64 s[30:31], s[30:31], 4
	v_add_co_u32 v11, s9, v8, s30
	v_add_co_ci_u32_e64 v12, null, s31, v9, s9
	flat_load_dwordx4 v[25:28], v[11:12]
	v_add3_u32 v11, v15, v14, 0x3180
	s_waitcnt vmcnt(0) lgkmcnt(0)
	ds_write2_b64 v11, v[25:26], v[27:28] offset1:1
.LBB54_76:
	s_or_b32 exec_lo, exec_lo, s11
	v_add_co_u32 v8, s9, v8, v14
	v_add_co_ci_u32_e64 v9, null, 0, v9, s9
	v_sub_co_u32 v8, s9, v8, s22
	v_subrev_co_ci_u32_e64 v9, null, s23, v9, s9
	v_add_co_u32 v8, s9, 0x210, v8
	v_add_co_ci_u32_e64 v9, null, 0, v9, s9
	v_cndmask_b32_e32 v11, v8, v6, vcc_lo
	v_cndmask_b32_e32 v12, v9, v7, vcc_lo
	s_branch .LBB54_83
.LBB54_77:
	s_andn2_saveexec_b32 s7, s7
	s_cbranch_execz .LBB54_39
.LBB54_78:
	s_mov_b32 s8, s1
	s_mov_b32 s9, exec_lo
                                        ; implicit-def: $vgpr12
	v_cmpx_eq_u32_e64 v19, v10
; %bb.79:
	v_add_nc_u32_e32 v12, v14, v16
	s_or_b32 s8, s1, exec_lo
; %bb.80:
	s_or_b32 exec_lo, exec_lo, s9
	v_mov_b32_e32 v4, 0
	v_mov_b32_e32 v5, 0
	s_andn2_b32 s1, s1, exec_lo
	s_and_b32 s8, s8, exec_lo
	s_or_b32 s1, s1, s8
	s_or_b32 exec_lo, exec_lo, s7
	s_and_saveexec_b32 s7, s1
	s_cbranch_execnz .LBB54_40
	s_branch .LBB54_41
.LBB54_81:
                                        ; implicit-def: $vgpr11_vgpr12
	s_cbranch_execz .LBB54_83
; %bb.82:
	flat_load_dwordx4 v[25:28], v[6:7]
	s_lshl_b32 s22, s14, 3
	s_ashr_i32 s15, s14, 31
	s_ashr_i32 s23, s22, 31
	v_add_nc_u32_e32 v11, 0x1080, v17
	s_lshl_b64 s[22:23], s[22:23], 4
	v_add_co_u32 v8, vcc_lo, v23, s22
	v_add_co_ci_u32_e64 v9, null, s23, v24, vcc_lo
	s_lshl_b64 s[22:23], s[14:15], 7
	s_waitcnt vmcnt(0) lgkmcnt(0)
	ds_write2_b64 v17, v[25:26], v[27:28] offset1:1
	flat_load_dwordx4 v[23:26], v[8:9] offset:512
	v_add_co_u32 v8, vcc_lo, v8, s22
	v_add_co_ci_u32_e64 v9, null, s23, v9, vcc_lo
	s_waitcnt vmcnt(0) lgkmcnt(0)
	ds_write2_b64 v11, v[23:24], v[25:26] offset1:1
	flat_load_dwordx4 v[23:26], v[8:9] offset:512
	v_add_co_u32 v8, vcc_lo, v8, s22
	v_add_nc_u32_e32 v11, 0x2100, v17
	v_add_co_ci_u32_e64 v9, null, s23, v9, vcc_lo
	s_waitcnt vmcnt(0) lgkmcnt(0)
	ds_write2_b64 v11, v[23:24], v[25:26] offset1:1
	flat_load_dwordx4 v[23:26], v[8:9] offset:512
	v_mov_b32_e32 v12, v7
	v_add_nc_u32_e32 v8, 0x3180, v17
	v_mov_b32_e32 v11, v6
	s_waitcnt vmcnt(0) lgkmcnt(0)
	ds_write2_b64 v8, v[23:24], v[25:26] offset1:1
.LBB54_83:
	v_mul_u32_u24_e32 v6, 0x840, v13
	s_mov_b32 s9, 0
	s_waitcnt lgkmcnt(0)
	s_barrier
	buffer_gl0_inv
                                        ; implicit-def: $vgpr23
	s_and_saveexec_b32 s11, s2
	s_xor_b32 s2, exec_lo, s11
	s_cbranch_execz .LBB54_87
; %bb.84:
	s_mov_b32 s11, exec_lo
                                        ; implicit-def: $vgpr23
	v_cmpx_eq_u32_e64 v18, v10
	s_xor_b32 s11, exec_lo, s11
; %bb.85:
	v_add_nc_u32_e32 v23, v14, v16
	s_mov_b32 s9, exec_lo
; %bb.86:
	s_or_b32 exec_lo, exec_lo, s11
	s_and_b32 s9, s9, exec_lo
.LBB54_87:
	s_or_saveexec_b32 s2, s2
	v_mov_b32_e32 v8, 0
	v_mov_b32_e32 v9, 0
	v_add_nc_u32_e32 v34, v14, v6
	v_lshl_add_u32 v18, v18, 4, v45
	s_xor_b32 exec_lo, exec_lo, s2
	s_cbranch_execz .LBB54_89
; %bb.88:
	ds_read_b128 v[6:9], v34
	v_mov_b32_e32 v23, v18
	s_or_b32 s9, s9, exec_lo
	s_waitcnt lgkmcnt(0)
	v_xor_b32_e32 v9, 0x80000000, v9
	ds_write_b64 v18, v[6:7]
.LBB54_89:
	s_or_b32 exec_lo, exec_lo, s2
	v_mul_u32_u24_e32 v6, 0x210, v19
	s_and_saveexec_b32 s2, s9
; %bb.90:
	ds_write_b64 v23, v[8:9] offset:8
; %bb.91:
	s_or_b32 exec_lo, exec_lo, s2
	v_add_nc_u32_e32 v47, v14, v6
	s_mov_b32 s2, 0
                                        ; implicit-def: $vgpr8_vgpr9
                                        ; implicit-def: $vgpr23
	s_and_saveexec_b32 s9, s3
	s_xor_b32 s3, exec_lo, s9
	s_cbranch_execz .LBB54_131
; %bb.92:
	ds_read_b128 v[6:9], v47
	s_mov_b32 s2, exec_lo
	v_add_nc_u32_e32 v23, 16, v18
                                        ; implicit-def: $vgpr19
	s_waitcnt lgkmcnt(0)
	v_xor_b32_e32 v9, 0x80000000, v9
	ds_write_b64 v18, v[6:7] offset:16
	s_andn2_saveexec_b32 s3, s3
	s_cbranch_execnz .LBB54_132
.LBB54_93:
	s_or_b32 exec_lo, exec_lo, s3
	s_and_saveexec_b32 s3, s2
.LBB54_94:
	ds_write_b64 v23, v[8:9] offset:8
.LBB54_95:
	s_or_b32 exec_lo, exec_lo, s3
	s_mov_b32 s2, 0
                                        ; implicit-def: $vgpr19
	s_and_saveexec_b32 s3, s7
	s_xor_b32 s3, exec_lo, s3
	s_cbranch_execz .LBB54_99
; %bb.96:
	s_mov_b32 s7, exec_lo
                                        ; implicit-def: $vgpr19
	v_cmpx_eq_u32_e64 v20, v10
; %bb.97:
	v_add_nc_u32_e32 v19, v14, v16
	s_mov_b32 s2, exec_lo
; %bb.98:
	s_or_b32 exec_lo, exec_lo, s7
	s_and_b32 s2, s2, exec_lo
.LBB54_99:
	s_or_saveexec_b32 s3, s3
	v_mov_b32_e32 v8, 0
	v_mov_b32_e32 v9, 0
	s_xor_b32 exec_lo, exec_lo, s3
	s_cbranch_execz .LBB54_101
; %bb.100:
	ds_read_b128 v[6:9], v47 offset:528
	v_add_nc_u32_e32 v19, 32, v18
	s_or_b32 s2, s2, exec_lo
	s_waitcnt lgkmcnt(0)
	v_xor_b32_e32 v9, 0x80000000, v9
	ds_write_b64 v18, v[6:7] offset:32
.LBB54_101:
	s_or_b32 exec_lo, exec_lo, s3
	s_and_saveexec_b32 s3, s2
; %bb.102:
	ds_write_b64 v19, v[8:9] offset:8
; %bb.103:
	s_or_b32 exec_lo, exec_lo, s3
	s_mov_b32 s2, 0
                                        ; implicit-def: $vgpr19
	s_and_saveexec_b32 s3, s8
	s_xor_b32 s3, exec_lo, s3
	s_cbranch_execz .LBB54_107
; %bb.104:
	s_mov_b32 s7, exec_lo
                                        ; implicit-def: $vgpr19
	v_cmpx_eq_u32_e64 v21, v10
; %bb.105:
	v_add_nc_u32_e32 v19, v14, v16
	s_mov_b32 s2, exec_lo
; %bb.106:
	s_or_b32 exec_lo, exec_lo, s7
	s_and_b32 s2, s2, exec_lo
                                        ; implicit-def: $vgpr18
.LBB54_107:
	s_or_saveexec_b32 s3, s3
	v_mov_b32_e32 v8, 0
	v_mov_b32_e32 v9, 0
	s_xor_b32 exec_lo, exec_lo, s3
	s_cbranch_execz .LBB54_109
; %bb.108:
	ds_read_b128 v[6:9], v47 offset:1056
	v_add_nc_u32_e32 v19, 48, v18
	s_or_b32 s2, s2, exec_lo
	s_waitcnt lgkmcnt(0)
	v_xor_b32_e32 v9, 0x80000000, v9
	ds_write_b64 v18, v[6:7] offset:48
.LBB54_109:
	s_or_b32 exec_lo, exec_lo, s3
	v_add_nc_u32_e32 v16, 0x4700, v22
	s_and_saveexec_b32 s3, s2
; %bb.110:
	ds_write_b64 v19, v[8:9] offset:8
; %bb.111:
	s_or_b32 exec_lo, exec_lo, s3
	s_waitcnt lgkmcnt(0)
	s_barrier
	buffer_gl0_inv
	ds_read_b128 v[6:9], v34
	ds_read_b128 v[18:21], v16 offset:512
	ds_read_b128 v[22:25], v16 offset:528
	ds_read_b128 v[26:29], v47
	ds_read_b128 v[30:33], v47 offset:1056
	ds_read_b128 v[48:51], v16 offset:544
	;; [unrolled: 1-line block ×3, first 2 shown]
	v_cmp_eq_u32_e64 s2, 1, v13
	s_waitcnt lgkmcnt(5)
	v_mul_f64 v[35:36], v[20:21], v[8:9]
	v_mul_f64 v[8:9], v[18:19], v[8:9]
	s_waitcnt lgkmcnt(3)
	v_mul_f64 v[42:43], v[24:25], v[28:29]
	v_mul_f64 v[28:29], v[22:23], v[28:29]
	v_fma_f64 v[18:19], v[18:19], v[6:7], -v[35:36]
	v_fma_f64 v[20:21], v[20:21], v[6:7], v[8:9]
	s_waitcnt lgkmcnt(0)
	v_mul_f64 v[35:36], v[50:51], v[54:55]
	v_mul_f64 v[54:55], v[48:49], v[54:55]
	v_fma_f64 v[22:23], v[22:23], v[26:27], -v[42:43]
	v_fma_f64 v[24:25], v[24:25], v[26:27], v[28:29]
	ds_read_b128 v[6:9], v16 offset:560
	s_waitcnt lgkmcnt(0)
	s_barrier
	buffer_gl0_inv
	v_add_f64 v[18:19], v[18:19], 0
	v_add_f64 v[20:21], v[20:21], 0
	v_mul_f64 v[26:27], v[8:9], v[32:33]
	v_mul_f64 v[28:29], v[6:7], v[32:33]
	v_fma_f64 v[32:33], v[48:49], v[52:53], -v[35:36]
	v_fma_f64 v[35:36], v[50:51], v[52:53], v[54:55]
	v_add_f64 v[18:19], v[18:19], v[22:23]
	v_add_f64 v[20:21], v[20:21], v[24:25]
	v_fma_f64 v[6:7], v[6:7], v[30:31], -v[26:27]
	v_fma_f64 v[8:9], v[8:9], v[30:31], v[28:29]
	v_add_f64 v[18:19], v[18:19], v[32:33]
	v_add_f64 v[20:21], v[20:21], v[35:36]
	;; [unrolled: 1-line block ×4, first 2 shown]
	ds_write_b128 v46, v[6:9]
	s_waitcnt lgkmcnt(0)
	s_barrier
	buffer_gl0_inv
	s_and_saveexec_b32 s3, s2
	s_cbranch_execz .LBB54_113
; %bb.112:
	ds_read_b128 v[2:5], v45
	ds_read_b128 v[6:9], v45 offset:16
	s_waitcnt lgkmcnt(0)
	v_add_f64 v[18:19], v[6:7], v[2:3]
	v_add_f64 v[20:21], v[8:9], v[4:5]
	ds_read_b128 v[2:5], v45 offset:32
	ds_read_b128 v[6:9], v45 offset:48
	s_waitcnt lgkmcnt(1)
	v_add_f64 v[2:3], v[18:19], v[2:3]
	v_add_f64 v[4:5], v[20:21], v[4:5]
	s_waitcnt lgkmcnt(0)
	v_add_f64 v[18:19], v[2:3], v[6:7]
	v_add_f64 v[20:21], v[4:5], v[8:9]
	ds_read_b128 v[2:5], v45 offset:64
	ds_read_b128 v[6:9], v45 offset:80
	s_waitcnt lgkmcnt(1)
	v_add_f64 v[2:3], v[18:19], v[2:3]
	v_add_f64 v[4:5], v[20:21], v[4:5]
	;; [unrolled: 8-line block ×3, first 2 shown]
	s_waitcnt lgkmcnt(0)
	v_add_f64 v[2:3], v[2:3], v[6:7]
	v_add_f64 v[4:5], v[4:5], v[8:9]
.LBB54_113:
	s_or_b32 exec_lo, exec_lo, s3
	v_add_co_u32 v6, vcc_lo, 0xfffffe00, v11
	v_add_co_ci_u32_e64 v7, null, -1, v12, vcc_lo
	s_and_b32 vcc_lo, exec_lo, s17
	s_barrier
	buffer_gl0_inv
	s_cbranch_vccz .LBB54_135
; %bb.114:
	v_sub_co_u32 v8, vcc_lo, v6, v14
	s_ashr_i32 s11, s10, 31
	v_subrev_co_ci_u32_e64 v9, null, 0, v7, vcc_lo
	s_lshl_b64 s[8:9], s[10:11], 4
	s_sub_i32 s7, s10, 32
	v_add_co_u32 v8, vcc_lo, v8, s8
	v_add_co_ci_u32_e64 v9, null, s9, v9, vcc_lo
	v_cmp_le_i32_e64 s3, s7, v13
	v_add_co_u32 v8, vcc_lo, v8, -16
	v_add_co_ci_u32_e64 v9, null, -1, v9, vcc_lo
	v_cmp_gt_i32_e32 vcc_lo, s10, v10
	v_cndmask_b32_e32 v9, v9, v7, vcc_lo
	v_cndmask_b32_e32 v8, v8, v6, vcc_lo
	s_and_saveexec_b32 s11, s3
	s_xor_b32 s3, exec_lo, s11
	s_cbranch_execz .LBB54_116
; %bb.115:
	v_mov_b32_e32 v18, 0
	v_mov_b32_e32 v19, v18
	;; [unrolled: 1-line block ×4, first 2 shown]
	ds_write_b128 v17, v[18:21]
.LBB54_116:
	s_andn2_saveexec_b32 s3, s3
	s_cbranch_execz .LBB54_118
; %bb.117:
	flat_load_dwordx4 v[18:21], v[8:9]
	s_waitcnt vmcnt(0) lgkmcnt(0)
	ds_write2_b64 v17, v[18:19], v[20:21] offset1:1
.LBB54_118:
	s_or_b32 exec_lo, exec_lo, s3
	v_add_nc_u32_e32 v10, 8, v13
	v_add_nc_u32_e32 v18, v15, v14
	v_cmp_le_i32_e64 s3, s7, v10
	s_and_saveexec_b32 s11, s3
	s_xor_b32 s3, exec_lo, s11
	s_cbranch_execz .LBB54_120
; %bb.119:
	v_mov_b32_e32 v19, 0
	v_mov_b32_e32 v20, v19
	;; [unrolled: 1-line block ×4, first 2 shown]
	ds_write_b128 v18, v[19:22] offset:4224
.LBB54_120:
	s_andn2_saveexec_b32 s11, s3
	s_cbranch_execz .LBB54_122
; %bb.121:
	s_lshl_b32 s22, s14, 3
	s_ashr_i32 s23, s22, 31
	s_lshl_b64 s[22:23], s[22:23], 4
	v_add_co_u32 v11, s3, v8, s22
	v_add_co_ci_u32_e64 v12, null, s23, v9, s3
	flat_load_dwordx4 v[19:22], v[11:12]
	v_add3_u32 v11, v15, v14, 0x1080
	s_waitcnt vmcnt(0) lgkmcnt(0)
	ds_write2_b64 v11, v[19:20], v[21:22] offset1:1
.LBB54_122:
	s_or_b32 exec_lo, exec_lo, s11
	v_add_nc_u32_e32 v12, 16, v13
	v_cmp_le_i32_e64 s3, s7, v12
	s_and_saveexec_b32 s11, s3
	s_xor_b32 s3, exec_lo, s11
	s_cbranch_execz .LBB54_124
; %bb.123:
	v_mov_b32_e32 v19, 0
	v_mov_b32_e32 v20, v19
	;; [unrolled: 1-line block ×4, first 2 shown]
	ds_write_b128 v18, v[19:22] offset:8448
.LBB54_124:
	s_andn2_saveexec_b32 s11, s3
	s_cbranch_execz .LBB54_126
; %bb.125:
	s_lshl_b32 s22, s14, 4
	v_add3_u32 v11, v15, v14, 0x2100
	s_ashr_i32 s23, s22, 31
	s_lshl_b64 s[22:23], s[22:23], 4
	v_add_co_u32 v19, s3, v8, s22
	v_add_co_ci_u32_e64 v20, null, s23, v9, s3
	flat_load_dwordx4 v[19:22], v[19:20]
	s_waitcnt vmcnt(0) lgkmcnt(0)
	ds_write2_b64 v11, v[19:20], v[21:22] offset1:1
.LBB54_126:
	s_or_b32 exec_lo, exec_lo, s11
	v_add_nc_u32_e32 v11, 24, v13
	v_cmp_le_i32_e64 s3, s7, v11
	s_and_saveexec_b32 s7, s3
	s_xor_b32 s3, exec_lo, s7
	s_cbranch_execz .LBB54_128
; %bb.127:
	v_mov_b32_e32 v19, 0
                                        ; implicit-def: $vgpr15
	v_mov_b32_e32 v20, v19
	v_mov_b32_e32 v21, v19
	;; [unrolled: 1-line block ×3, first 2 shown]
	ds_write_b128 v18, v[19:22] offset:12672
.LBB54_128:
	s_andn2_saveexec_b32 s7, s3
	s_cbranch_execz .LBB54_130
; %bb.129:
	s_mul_i32 s22, s14, 24
	v_add3_u32 v15, v15, v14, 0x3180
	s_ashr_i32 s23, s22, 31
	s_lshl_b64 s[22:23], s[22:23], 4
	v_add_co_u32 v18, s3, v8, s22
	v_add_co_ci_u32_e64 v19, null, s23, v9, s3
	flat_load_dwordx4 v[18:21], v[18:19]
	s_waitcnt vmcnt(0) lgkmcnt(0)
	ds_write2_b64 v15, v[18:19], v[20:21] offset1:1
.LBB54_130:
	s_or_b32 exec_lo, exec_lo, s7
	v_add_co_u32 v8, s3, v8, v14
	v_add_co_ci_u32_e64 v9, null, 0, v9, s3
	v_sub_co_u32 v8, s3, v8, s8
	v_subrev_co_ci_u32_e64 v9, null, s9, v9, s3
	v_add_co_u32 v8, s3, v8, 16
	v_add_co_ci_u32_e64 v9, null, 0, v9, s3
	v_cndmask_b32_e32 v42, v8, v6, vcc_lo
	v_cndmask_b32_e32 v43, v9, v7, vcc_lo
	s_branch .LBB54_137
.LBB54_131:
	s_andn2_saveexec_b32 s3, s3
	s_cbranch_execz .LBB54_93
.LBB54_132:
	s_mov_b32 s9, s2
	s_mov_b32 s11, exec_lo
                                        ; implicit-def: $vgpr23
	v_cmpx_eq_u32_e64 v19, v10
; %bb.133:
	v_add_nc_u32_e32 v23, v14, v16
	s_or_b32 s9, s2, exec_lo
; %bb.134:
	s_or_b32 exec_lo, exec_lo, s11
	v_mov_b32_e32 v8, 0
	v_mov_b32_e32 v9, 0
	s_andn2_b32 s2, s2, exec_lo
	s_and_b32 s9, s9, exec_lo
	s_or_b32 s2, s2, s9
	s_or_b32 exec_lo, exec_lo, s3
	s_and_saveexec_b32 s3, s2
	s_cbranch_execnz .LBB54_94
	s_branch .LBB54_95
.LBB54_135:
                                        ; implicit-def: $vgpr42_vgpr43
                                        ; implicit-def: $vgpr10
                                        ; implicit-def: $vgpr12
                                        ; implicit-def: $vgpr11
	s_cbranch_execz .LBB54_137
; %bb.136:
	flat_load_dwordx4 v[8:11], v[6:7]
	s_lshl_b32 s8, s14, 3
	s_ashr_i32 s15, s14, 31
	s_ashr_i32 s9, s8, 31
	v_add_nc_u32_e32 v12, 0x1080, v17
	s_lshl_b64 s[8:9], s[8:9], 4
	v_mov_b32_e32 v43, v7
	v_add_co_u32 v14, vcc_lo, v6, s8
	v_add_co_ci_u32_e64 v15, null, s9, v7, vcc_lo
	s_lshl_b64 s[8:9], s[14:15], 7
	v_mov_b32_e32 v42, v6
	s_waitcnt vmcnt(0) lgkmcnt(0)
	ds_write2_b64 v17, v[8:9], v[10:11] offset1:1
	flat_load_dwordx4 v[8:11], v[14:15]
	v_add_co_u32 v14, vcc_lo, v14, s8
	v_add_co_ci_u32_e64 v15, null, s9, v15, vcc_lo
	s_waitcnt vmcnt(0) lgkmcnt(0)
	ds_write2_b64 v12, v[8:9], v[10:11] offset1:1
	flat_load_dwordx4 v[8:11], v[14:15]
	v_add_co_u32 v14, vcc_lo, v14, s8
	v_add_nc_u32_e32 v12, 0x2100, v17
	v_add_co_ci_u32_e64 v15, null, s9, v15, vcc_lo
	s_waitcnt vmcnt(0) lgkmcnt(0)
	ds_write2_b64 v12, v[8:9], v[10:11] offset1:1
	flat_load_dwordx4 v[18:21], v[14:15]
	v_add_nc_u32_e32 v10, 8, v13
	v_add_nc_u32_e32 v12, 16, v13
	;; [unrolled: 1-line block ×4, first 2 shown]
	s_waitcnt vmcnt(0) lgkmcnt(0)
	ds_write2_b64 v8, v[18:19], v[20:21] offset1:1
.LBB54_137:
	v_lshlrev_b32_e32 v13, 4, v13
	s_waitcnt lgkmcnt(0)
	s_barrier
	buffer_gl0_inv
	v_lshlrev_b32_e32 v10, 4, v10
	v_add_nc_u32_e32 v6, v45, v13
	ds_read_b128 v[6:9], v6
	ds_read_b128 v[17:20], v13 offset:18176
	v_add_nc_u32_e32 v13, v45, v10
	ds_read_b128 v[21:24], v13
	ds_read_b128 v[25:28], v10 offset:18176
	v_lshlrev_b32_e32 v10, 4, v12
	v_add_nc_u32_e32 v12, v45, v10
	ds_read_b128 v[12:15], v12
	ds_read_b128 v[29:32], v10 offset:18176
	v_lshlrev_b32_e32 v10, 4, v11
	s_waitcnt lgkmcnt(4)
	v_mul_f64 v[35:36], v[8:9], v[19:20]
	v_mul_f64 v[8:9], v[8:9], v[17:18]
	s_waitcnt lgkmcnt(2)
	v_mul_f64 v[48:49], v[23:24], v[27:28]
	v_mul_f64 v[23:24], v[23:24], v[25:26]
	v_fma_f64 v[35:36], v[6:7], v[17:18], v[35:36]
	v_fma_f64 v[50:51], v[6:7], v[19:20], -v[8:9]
	v_add_nc_u32_e32 v6, v45, v10
	ds_read_b128 v[6:9], v6
	ds_read_b128 v[17:20], v10 offset:18176
	s_waitcnt lgkmcnt(2)
	v_mul_f64 v[10:11], v[14:15], v[31:32]
	v_mul_f64 v[14:15], v[14:15], v[29:30]
	v_fma_f64 v[25:26], v[21:22], v[25:26], v[48:49]
	v_fma_f64 v[21:22], v[21:22], v[27:28], -v[23:24]
	v_add_f64 v[23:24], v[35:36], 0
	v_add_f64 v[27:28], v[50:51], 0
	s_waitcnt lgkmcnt(0)
	v_mul_f64 v[35:36], v[8:9], v[19:20]
	v_mul_f64 v[8:9], v[8:9], v[17:18]
	v_fma_f64 v[10:11], v[12:13], v[29:30], v[10:11]
	v_fma_f64 v[12:13], v[12:13], v[31:32], -v[14:15]
	v_add_f64 v[14:15], v[23:24], v[25:26]
	v_add_f64 v[21:22], v[27:28], v[21:22]
	v_fma_f64 v[17:18], v[6:7], v[17:18], v[35:36]
	v_fma_f64 v[6:7], v[6:7], v[19:20], -v[8:9]
	v_add_f64 v[8:9], v[14:15], v[10:11]
	v_add_f64 v[10:11], v[21:22], v[12:13]
	ds_read_b128 v[30:33], v16 offset:512
	ds_read_b128 v[22:25], v16 offset:528
	v_add_f64 v[48:49], v[8:9], v[17:18]
	v_add_f64 v[50:51], v[10:11], v[6:7]
	ds_read_b128 v[10:13], v16 offset:544
	ds_read_b128 v[6:9], v16 offset:560
	ds_read_b128 v[26:29], v47
	ds_read_b128 v[18:21], v47 offset:528
	ds_read_b128 v[34:37], v34
	ds_read_b128 v[14:17], v47 offset:1056
	s_waitcnt lgkmcnt(0)
	s_barrier
	buffer_gl0_inv
	ds_write_b128 v46, v[48:51]
	s_waitcnt lgkmcnt(0)
	s_barrier
	buffer_gl0_inv
	s_and_saveexec_b32 s3, s2
	s_cbranch_execz .LBB54_139
; %bb.138:
	ds_read_b128 v[47:50], v45
	ds_read_b128 v[51:54], v45 offset:16
	s_waitcnt lgkmcnt(1)
	v_add_f64 v[2:3], v[2:3], v[47:48]
	v_add_f64 v[4:5], v[4:5], v[49:50]
	s_waitcnt lgkmcnt(0)
	v_add_f64 v[51:52], v[2:3], v[51:52]
	v_add_f64 v[53:54], v[4:5], v[53:54]
	ds_read_b128 v[2:5], v45 offset:32
	ds_read_b128 v[47:50], v45 offset:48
	s_waitcnt lgkmcnt(1)
	v_add_f64 v[2:3], v[51:52], v[2:3]
	v_add_f64 v[4:5], v[53:54], v[4:5]
	s_waitcnt lgkmcnt(0)
	v_add_f64 v[51:52], v[2:3], v[47:48]
	v_add_f64 v[53:54], v[4:5], v[49:50]
	ds_read_b128 v[2:5], v45 offset:64
	;; [unrolled: 8-line block ×3, first 2 shown]
	ds_read_b128 v[47:50], v45 offset:112
	s_waitcnt lgkmcnt(1)
	v_add_f64 v[2:3], v[51:52], v[2:3]
	v_add_f64 v[4:5], v[53:54], v[4:5]
	s_waitcnt lgkmcnt(0)
	v_add_f64 v[2:3], v[2:3], v[47:48]
	v_add_f64 v[4:5], v[4:5], v[49:50]
.LBB54_139:
	s_or_b32 exec_lo, exec_lo, s3
	v_mul_f64 v[47:48], v[32:33], v[36:37]
	v_mul_f64 v[36:37], v[30:31], v[36:37]
	;; [unrolled: 1-line block ×4, first 2 shown]
	s_barrier
	buffer_gl0_inv
	v_fma_f64 v[30:31], v[30:31], v[34:35], -v[47:48]
	v_fma_f64 v[32:33], v[32:33], v[34:35], v[36:37]
	v_mul_f64 v[34:35], v[12:13], v[20:21]
	v_mul_f64 v[20:21], v[10:11], v[20:21]
	v_fma_f64 v[22:23], v[22:23], v[26:27], -v[49:50]
	v_fma_f64 v[24:25], v[24:25], v[26:27], v[28:29]
	v_add_f64 v[26:27], v[30:31], 0
	v_add_f64 v[28:29], v[32:33], 0
	v_mul_f64 v[30:31], v[8:9], v[16:17]
	v_mul_f64 v[16:17], v[6:7], v[16:17]
	v_fma_f64 v[10:11], v[10:11], v[18:19], -v[34:35]
	v_fma_f64 v[12:13], v[12:13], v[18:19], v[20:21]
	v_add_f64 v[18:19], v[26:27], v[22:23]
	v_add_f64 v[20:21], v[28:29], v[24:25]
	v_fma_f64 v[6:7], v[6:7], v[14:15], -v[30:31]
	v_fma_f64 v[8:9], v[8:9], v[14:15], v[16:17]
	v_add_f64 v[10:11], v[18:19], v[10:11]
	v_add_f64 v[12:13], v[20:21], v[12:13]
	;; [unrolled: 1-line block ×4, first 2 shown]
	ds_write_b128 v46, v[6:9]
	s_waitcnt lgkmcnt(0)
	s_barrier
	buffer_gl0_inv
	s_and_saveexec_b32 s2, s1
	s_cbranch_execz .LBB54_141
; %bb.140:
	ds_read_b128 v[6:9], v45
	ds_read_b128 v[10:13], v45 offset:16
	s_waitcnt lgkmcnt(1)
	v_add_f64 v[2:3], v[2:3], v[6:7]
	v_add_f64 v[4:5], v[4:5], v[8:9]
	s_waitcnt lgkmcnt(0)
	v_add_f64 v[10:11], v[2:3], v[10:11]
	v_add_f64 v[12:13], v[4:5], v[12:13]
	ds_read_b128 v[2:5], v45 offset:32
	ds_read_b128 v[6:9], v45 offset:48
	s_waitcnt lgkmcnt(1)
	v_add_f64 v[2:3], v[10:11], v[2:3]
	v_add_f64 v[4:5], v[12:13], v[4:5]
	s_waitcnt lgkmcnt(0)
	v_add_f64 v[10:11], v[2:3], v[6:7]
	v_add_f64 v[12:13], v[4:5], v[8:9]
	ds_read_b128 v[2:5], v45 offset:64
	ds_read_b128 v[6:9], v45 offset:80
	s_waitcnt lgkmcnt(1)
	v_add_f64 v[2:3], v[10:11], v[2:3]
	v_add_f64 v[4:5], v[12:13], v[4:5]
	s_waitcnt lgkmcnt(0)
	v_add_f64 v[10:11], v[2:3], v[6:7]
	v_add_f64 v[12:13], v[4:5], v[8:9]
	ds_read_b128 v[2:5], v45 offset:96
	ds_read_b128 v[6:9], v45 offset:112
	s_waitcnt lgkmcnt(1)
	v_add_f64 v[2:3], v[10:11], v[2:3]
	v_add_f64 v[4:5], v[12:13], v[4:5]
	s_waitcnt lgkmcnt(0)
	v_add_f64 v[2:3], v[2:3], v[6:7]
	v_add_f64 v[4:5], v[4:5], v[8:9]
.LBB54_141:
	s_or_b32 exec_lo, exec_lo, s2
	s_load_dwordx2 s[2:3], s[4:5], 0x78
	s_mul_hi_u32 s1, s13, s12
	s_mul_i32 s28, s28, s12
	s_mul_i32 s4, s13, s12
	s_add_i32 s1, s1, s28
	s_mul_hi_u32 s5, s4, s24
	s_mul_i32 s1, s1, s24
	s_mul_i32 s4, s4, s24
	s_add_i32 s5, s5, s1
	s_mul_hi_i32 s9, s13, s6
	s_lshl_b64 s[4:5], s[4:5], 4
	s_mul_i32 s8, s13, s6
	v_lshlrev_b32_e32 v170, 4, v0
	s_waitcnt lgkmcnt(0)
	s_barrier
	buffer_gl0_inv
	s_add_u32 s1, s2, s4
	s_addc_u32 s4, s3, s5
	s_lshl_b64 s[2:3], s[8:9], 4
	s_add_u32 s7, s1, s2
	s_addc_u32 s11, s4, s3
	s_add_i32 s2, s6, 1
	s_cmp_ge_u32 s2, s24
	s_cbranch_scc1 .LBB54_199
; %bb.142:
	v_lshlrev_b32_e32 v171, 2, v1
	v_lshrrev_b32_e32 v8, 4, v44
	s_mul_i32 s4, s27, s16
	v_and_b32_e32 v9, 15, v0
	v_and_b32_e32 v11, 48, v0
	v_mad_u64_u32 v[6:7], null, s14, v171, v[0:1]
	v_lshlrev_b32_e32 v10, 6, v8
	s_ashr_i32 s5, s4, 31
	v_mul_i32_i24_e32 v12, 0xffffffd0, v8
	s_lshl_b64 s[4:5], s[4:5], 4
	s_lshl_b32 s12, s14, 4
	v_mad_u32_u24 v178, 0x430, v9, v10
	v_ashrrev_i32_e32 v7, 31, v6
	v_lshlrev_b32_e32 v10, 4, v11
	v_or_b32_e32 v11, 0xf0, v170
	v_sub_co_u32 v172, vcc_lo, v38, s4
	v_subrev_co_ci_u32_e64 v173, null, s5, v39, vcc_lo
	v_add_co_u32 v8, vcc_lo, s20, v6
	v_mad_u32_u24 v179, 0x430, v9, v10
	v_mad_u32_u24 v180, 0x430, v9, v11
	v_add_co_ci_u32_e64 v9, null, s21, v7, vcc_lo
	s_ashr_i32 s15, s14, 31
	v_lshlrev_b64 v[6:7], 4, v[6:7]
	s_lshl_b32 s23, s27, 6
	v_lshlrev_b64 v[8:9], 4, v[8:9]
	s_lshl_b32 s16, s14, 1
	s_mul_i32 s28, s14, 3
	s_mul_i32 s27, s27, s2
	s_lshl_b64 s[20:21], s[14:15], 5
	s_add_i32 s22, s24, -2
	v_mad_i64_i32 v[10:11], null, s12, 48, v[8:9]
	s_ashr_i32 s13, s12, 31
	s_ashr_i32 s17, s16, 31
	s_ashr_i32 s29, s28, 31
	s_lshl_b64 s[2:3], s[14:15], 4
	s_lshl_b32 s4, s27, 6
	v_sub_co_u32 v195, vcc_lo, 0, v40
	s_add_u32 s5, s20, s18
	v_sub_co_ci_u32_e64 v196, null, 0, v41, vcc_lo
	s_addc_u32 s27, s21, s19
	v_add_co_u32 v13, vcc_lo, s5, v6
	s_mul_i32 s30, s14, 0x300
	s_lshl_b64 s[14:15], s[28:29], 4
	s_lshl_b64 s[8:9], s[12:13], 6
	v_add_co_ci_u32_e64 v14, null, s27, v7, vcc_lo
	v_add_co_u32 v15, vcc_lo, v10, s14
	s_add_u32 s33, s2, s18
	v_add_co_ci_u32_e64 v16, null, s15, v11, vcc_lo
	s_addc_u32 s34, s3, s19
	v_add_co_u32 v17, vcc_lo, s33, v6
	s_lshl_b64 s[16:17], s[16:17], 4
	v_add_co_ci_u32_e64 v18, null, s34, v7, vcc_lo
	v_add_co_u32 v19, vcc_lo, v10, s16
	v_add_co_ci_u32_e64 v20, null, s17, v11, vcc_lo
	v_add_co_u32 v21, vcc_lo, s18, v6
	;; [unrolled: 2-line block ×3, first 2 shown]
	s_add_u32 s28, s18, s16
	v_add_co_ci_u32_e64 v198, null, v43, v11, vcc_lo
	s_addc_u32 s29, s19, s17
	v_add_co_u32 v23, vcc_lo, s28, v6
	v_add_co_ci_u32_e64 v24, null, s29, v7, vcc_lo
	v_add_co_u32 v10, vcc_lo, v10, s2
	s_add_u32 s35, s18, s14
	s_addc_u32 s36, s19, s15
	s_lshl_b64 s[28:29], s[12:13], 4
	v_add_co_ci_u32_e64 v11, null, s3, v11, vcc_lo
	v_add_co_u32 v25, vcc_lo, s35, v6
	s_add_u32 s35, s5, s28
	s_mul_hi_i32 s31, s12, 48
	v_add_co_ci_u32_e64 v26, null, s36, v7, vcc_lo
	s_addc_u32 s36, s27, s29
	v_add_co_u32 v27, vcc_lo, s35, v6
	s_add_u32 s20, s30, s20
	s_addc_u32 s21, s31, s21
	s_lshl_b64 s[12:13], s[12:13], 5
	v_add_co_ci_u32_e64 v28, null, s36, v7, vcc_lo
	v_add_co_u32 v8, vcc_lo, s20, v8
	s_add_u32 s20, s12, s18
	v_add_co_ci_u32_e64 v9, null, s21, v9, vcc_lo
	s_addc_u32 s21, s13, s19
	s_add_u32 s30, s20, s14
	s_addc_u32 s31, s21, s15
	v_add_co_u32 v29, vcc_lo, s30, v6
	s_add_u32 s30, s33, s28
	v_add_co_ci_u32_e64 v30, null, s31, v7, vcc_lo
	s_addc_u32 s31, s34, s29
	v_add_co_u32 v31, vcc_lo, s30, v6
	s_add_u32 s30, s20, s16
	v_add_co_ci_u32_e64 v32, null, s31, v7, vcc_lo
	;; [unrolled: 4-line block ×3, first 2 shown]
	s_addc_u32 s19, s19, s29
	v_add_co_u32 v35, vcc_lo, s18, v6
	v_add_co_ci_u32_e64 v36, null, s19, v7, vcc_lo
	v_add_co_u32 v37, vcc_lo, s20, v6
	s_add_u32 s16, s18, s16
	s_addc_u32 s17, s19, s17
	v_add_co_ci_u32_e64 v38, null, s21, v7, vcc_lo
	v_add_co_u32 v39, vcc_lo, s16, v6
	s_add_u32 s2, s20, s2
	v_add_co_ci_u32_e64 v40, null, s17, v7, vcc_lo
	s_addc_u32 s3, s21, s3
	v_add_co_u32 v41, vcc_lo, s2, v6
	s_add_u32 s2, s18, s14
	v_cmp_gt_u32_e64 s1, 64, v44
	v_add_co_ci_u32_e64 v44, null, s3, v7, vcc_lo
	s_addc_u32 s3, s19, s15
	v_add_co_u32 v45, vcc_lo, s2, v6
	s_add_u32 s2, s5, s12
	v_add_co_ci_u32_e64 v46, null, s3, v7, vcc_lo
	s_addc_u32 s3, s27, s13
	v_add_co_u32 v6, vcc_lo, s2, v6
	v_add_co_ci_u32_e64 v7, null, s3, v7, vcc_lo
	v_add_co_u32 v200, vcc_lo, v42, v13
	v_add_co_ci_u32_e64 v201, null, v43, v14, vcc_lo
	;; [unrolled: 2-line block ×19, first 2 shown]
	v_add_co_u32 v236, vcc_lo, v42, v6
	v_add_nc_u32_e32 v174, 0x4300, v170
	v_lshl_add_u32 v175, v1, 6, 0x4300
	v_add_nc_u32_e32 v176, 0x4700, v170
	v_mad_u32_u24 v177, 0x10c0, v1, v170
	v_or_b32_e32 v181, 1, v171
	v_or_b32_e32 v182, 2, v171
	;; [unrolled: 1-line block ×3, first 2 shown]
	v_add_nc_u32_e32 v184, 16, v171
	v_add_nc_u32_e32 v185, 17, v171
	;; [unrolled: 1-line block ×12, first 2 shown]
	v_add_co_ci_u32_e64 v237, null, v43, v7, vcc_lo
	v_add_nc_u32_e32 v168, 64, v167
	v_add_nc_u32_e32 v238, v178, v12
	v_mov_b32_e32 v6, 0
	s_cmp_eq_u32 s22, s6
	s_cselect_b32 s3, s25, 0
	s_and_saveexec_b32 s2, s0
	s_cbranch_execz .LBB54_148
	s_branch .LBB54_144
.LBB54_143:                             ;   in Loop: Header=BB54_148 Depth=1
	s_mov_b32 s6, s2
	s_cmp_eq_u32 s22, s6
	s_cselect_b32 s3, s25, 0
	s_and_saveexec_b32 s2, s0
	s_cbranch_execz .LBB54_148
.LBB54_144:
	v_cmp_le_i32_e32 vcc_lo, s3, v0
	s_cmp_lg_u32 s3, 0
	s_cselect_b32 s5, -1, 0
	s_and_b32 s5, s5, vcc_lo
	s_and_saveexec_b32 s12, s5
	s_xor_b32 s5, exec_lo, s12
	s_cbranch_execz .LBB54_146
; %bb.145:
	v_mov_b32_e32 v7, v6
	v_mov_b32_e32 v8, v6
	;; [unrolled: 1-line block ×3, first 2 shown]
	ds_write_b128 v174, v[6:9]
.LBB54_146:
	s_andn2_saveexec_b32 s5, s5
	s_cbranch_execz .LBB54_148
; %bb.147:
	s_ashr_i32 s5, s4, 31
	s_lshl_b64 s[12:13], s[4:5], 4
	v_add_co_u32 v7, vcc_lo, v172, s12
	v_add_co_ci_u32_e64 v8, null, s13, v173, vcc_lo
	flat_load_dwordx4 v[7:10], v[7:8]
	s_waitcnt vmcnt(0) lgkmcnt(0)
	ds_write2_b64 v174, v[7:8], v[9:10] offset1:1
.LBB54_148:                             ; =>This Inner Loop Header: Depth=1
	s_or_b32 exec_lo, exec_lo, s2
	s_cmp_eq_u32 s3, 0
	v_add_co_u32 v19, vcc_lo, v208, v195
	s_cselect_b32 s5, -1, 0
	s_cmp_lg_u32 s3, 0
	v_add_co_ci_u32_e64 v20, null, v209, v196, vcc_lo
	s_cselect_b32 s2, -1, 0
	s_waitcnt lgkmcnt(0)
	s_and_b32 vcc_lo, exec_lo, s2
	s_barrier
	buffer_gl0_inv
	s_cbranch_vccz .LBB54_156
; %bb.149:                              ;   in Loop: Header=BB54_148 Depth=1
	v_mov_b32_e32 v7, 0
	v_mov_b32_e32 v11, 0
	;; [unrolled: 1-line block ×6, first 2 shown]
	s_mov_b32 s12, exec_lo
	v_cmpx_gt_i32_e64 s3, v171
	s_cbranch_execz .LBB54_151
; %bb.150:                              ;   in Loop: Header=BB54_148 Depth=1
	flat_load_dwordx4 v[11:14], v[19:20]
.LBB54_151:                             ;   in Loop: Header=BB54_148 Depth=1
	s_or_b32 exec_lo, exec_lo, s12
	v_mov_b32_e32 v9, 0
	v_mov_b32_e32 v10, 0
	s_mov_b32 s12, exec_lo
	v_cmpx_gt_i32_e64 s3, v181
	s_cbranch_execz .LBB54_153
; %bb.152:                              ;   in Loop: Header=BB54_148 Depth=1
	v_add_co_u32 v7, vcc_lo, v204, v195
	v_add_co_ci_u32_e64 v8, null, v205, v196, vcc_lo
	flat_load_dwordx4 v[7:10], v[7:8]
.LBB54_153:                             ;   in Loop: Header=BB54_148 Depth=1
	s_or_b32 exec_lo, exec_lo, s12
	v_mov_b32_e32 v15, 0
	v_mov_b32_e32 v17, 0
	;; [unrolled: 1-line block ×4, first 2 shown]
	s_mov_b32 s12, exec_lo
	v_cmpx_gt_i32_e64 s3, v182
	s_cbranch_execz .LBB54_155
; %bb.154:                              ;   in Loop: Header=BB54_148 Depth=1
	v_add_co_u32 v15, vcc_lo, v210, v195
	v_add_co_ci_u32_e64 v16, null, v211, v196, vcc_lo
	flat_load_dwordx4 v[15:18], v[15:16]
.LBB54_155:                             ;   in Loop: Header=BB54_148 Depth=1
	s_or_b32 exec_lo, exec_lo, s12
	v_cmp_gt_i32_e64 s12, s3, v183
	s_branch .LBB54_158
.LBB54_156:                             ;   in Loop: Header=BB54_148 Depth=1
	s_mov_b32 s12, 0
                                        ; implicit-def: $vgpr17_vgpr18
                                        ; implicit-def: $vgpr9_vgpr10
                                        ; implicit-def: $vgpr13_vgpr14
	s_cbranch_execz .LBB54_158
; %bb.157:                              ;   in Loop: Header=BB54_148 Depth=1
	s_waitcnt vmcnt(0) lgkmcnt(0)
	v_add_co_u32 v7, vcc_lo, v204, v195
	v_add_co_ci_u32_e64 v8, null, v205, v196, vcc_lo
	v_add_co_u32 v15, vcc_lo, v200, v195
	v_add_co_ci_u32_e64 v16, null, v201, v196, vcc_lo
	flat_load_dwordx4 v[11:14], v[19:20]
	flat_load_dwordx4 v[7:10], v[7:8]
	;; [unrolled: 1-line block ×3, first 2 shown]
	s_or_b32 s12, s12, exec_lo
.LBB54_158:                             ;   in Loop: Header=BB54_148 Depth=1
	v_mov_b32_e32 v19, 0
	v_mov_b32_e32 v21, 0
	;; [unrolled: 1-line block ×4, first 2 shown]
	s_and_saveexec_b32 s13, s12
	s_cbranch_execz .LBB54_160
; %bb.159:                              ;   in Loop: Header=BB54_148 Depth=1
	v_add_co_u32 v19, vcc_lo, v214, v195
	v_add_co_ci_u32_e64 v20, null, v215, v196, vcc_lo
	flat_load_dwordx4 v[19:22], v[19:20]
.LBB54_160:                             ;   in Loop: Header=BB54_148 Depth=1
	s_or_b32 exec_lo, exec_lo, s13
	ds_read_b128 v[23:26], v176
	v_cndmask_b32_e64 v95, 0, 1, s2
	s_waitcnt vmcnt(0) lgkmcnt(0)
	v_mul_f64 v[27:28], v[13:14], v[25:26]
	v_mul_f64 v[29:30], v[13:14], v[23:24]
	;; [unrolled: 1-line block ×8, first 2 shown]
	v_fma_f64 v[39:40], v[11:12], v[23:24], v[27:28]
	v_fma_f64 v[41:42], v[11:12], v[25:26], -v[29:30]
	v_fma_f64 v[43:44], v[7:8], v[23:24], v[31:32]
	v_fma_f64 v[45:46], v[7:8], v[25:26], -v[33:34]
	;; [unrolled: 2-line block ×4, first 2 shown]
	ds_read_b128 v[35:38], v175
	ds_read_b128 v[31:34], v175 offset:16
	ds_read_b128 v[27:30], v175 offset:32
	;; [unrolled: 1-line block ×3, first 2 shown]
	ds_write_b128 v177, v[39:42]
	ds_write_b128 v177, v[43:46] offset:1072
	ds_write_b128 v177, v[47:50] offset:2144
	;; [unrolled: 1-line block ×3, first 2 shown]
	s_waitcnt lgkmcnt(0)
	s_barrier
	buffer_gl0_inv
	ds_read_b128 v[131:134], v178
	ds_read_b128 v[127:130], v178 offset:16
	ds_read_b128 v[123:126], v178 offset:32
	;; [unrolled: 1-line block ×3, first 2 shown]
	v_add_co_u32 v51, vcc_lo, v226, v195
	v_add_co_ci_u32_e64 v52, null, v227, v196, vcc_lo
	s_andn2_b32 vcc_lo, exec_lo, s2
	s_waitcnt lgkmcnt(0)
	s_barrier
	buffer_gl0_inv
	s_cbranch_vccnz .LBB54_168
; %bb.161:                              ;   in Loop: Header=BB54_148 Depth=1
	v_mov_b32_e32 v39, 0
	v_mov_b32_e32 v43, 0
	;; [unrolled: 1-line block ×6, first 2 shown]
	s_mov_b32 s2, exec_lo
	v_cmpx_gt_i32_e64 s3, v184
	s_cbranch_execz .LBB54_163
; %bb.162:                              ;   in Loop: Header=BB54_148 Depth=1
	flat_load_dwordx4 v[43:46], v[51:52]
.LBB54_163:                             ;   in Loop: Header=BB54_148 Depth=1
	s_or_b32 exec_lo, exec_lo, s2
	v_mov_b32_e32 v41, 0
	v_mov_b32_e32 v42, 0
	s_mov_b32 s2, exec_lo
	v_cmpx_gt_i32_e64 s3, v185
	s_cbranch_execz .LBB54_165
; %bb.164:                              ;   in Loop: Header=BB54_148 Depth=1
	v_add_co_u32 v39, vcc_lo, v222, v195
	v_add_co_ci_u32_e64 v40, null, v223, v196, vcc_lo
	flat_load_dwordx4 v[39:42], v[39:40]
.LBB54_165:                             ;   in Loop: Header=BB54_148 Depth=1
	s_or_b32 exec_lo, exec_lo, s2
	v_mov_b32_e32 v47, 0
	v_mov_b32_e32 v49, 0
	;; [unrolled: 1-line block ×4, first 2 shown]
	s_mov_b32 s2, exec_lo
	v_cmpx_gt_i32_e64 s3, v186
	s_cbranch_execz .LBB54_167
; %bb.166:                              ;   in Loop: Header=BB54_148 Depth=1
	v_add_co_u32 v47, vcc_lo, v230, v195
	v_add_co_ci_u32_e64 v48, null, v231, v196, vcc_lo
	flat_load_dwordx4 v[47:50], v[47:48]
.LBB54_167:                             ;   in Loop: Header=BB54_148 Depth=1
	s_or_b32 exec_lo, exec_lo, s2
	v_cmp_gt_i32_e64 s2, s3, v187
	s_branch .LBB54_170
.LBB54_168:                             ;   in Loop: Header=BB54_148 Depth=1
	s_mov_b32 s2, 0
                                        ; implicit-def: $vgpr49_vgpr50
                                        ; implicit-def: $vgpr41_vgpr42
                                        ; implicit-def: $vgpr45_vgpr46
	s_cbranch_execz .LBB54_170
; %bb.169:                              ;   in Loop: Header=BB54_148 Depth=1
	s_waitcnt vmcnt(0) lgkmcnt(0)
	v_add_co_u32 v39, vcc_lo, v222, v195
	v_add_co_ci_u32_e64 v40, null, v223, v196, vcc_lo
	v_add_co_u32 v47, vcc_lo, v216, v195
	v_add_co_ci_u32_e64 v48, null, v217, v196, vcc_lo
	flat_load_dwordx4 v[43:46], v[51:52]
	flat_load_dwordx4 v[39:42], v[39:40]
	;; [unrolled: 1-line block ×3, first 2 shown]
	s_or_b32 s2, s2, exec_lo
.LBB54_170:                             ;   in Loop: Header=BB54_148 Depth=1
	v_mov_b32_e32 v51, 0
	v_mov_b32_e32 v53, 0
	;; [unrolled: 1-line block ×4, first 2 shown]
	s_and_saveexec_b32 s12, s2
	s_cbranch_execz .LBB54_172
; %bb.171:                              ;   in Loop: Header=BB54_148 Depth=1
	v_add_co_u32 v51, vcc_lo, v234, v195
	v_add_co_ci_u32_e64 v52, null, v235, v196, vcc_lo
	flat_load_dwordx4 v[51:54], v[51:52]
.LBB54_172:                             ;   in Loop: Header=BB54_148 Depth=1
	s_or_b32 exec_lo, exec_lo, s12
	ds_read_b128 v[55:58], v176
	v_cmp_ne_u32_e32 vcc_lo, 1, v95
	s_and_b32 vcc_lo, exec_lo, vcc_lo
	s_waitcnt vmcnt(0) lgkmcnt(0)
	v_mul_f64 v[59:60], v[45:46], v[57:58]
	v_mul_f64 v[61:62], v[45:46], v[55:56]
	v_mul_f64 v[63:64], v[41:42], v[57:58]
	v_mul_f64 v[65:66], v[41:42], v[55:56]
	v_mul_f64 v[67:68], v[49:50], v[57:58]
	v_mul_f64 v[69:70], v[49:50], v[55:56]
	v_mul_f64 v[83:84], v[53:54], v[57:58]
	v_mul_f64 v[85:86], v[53:54], v[55:56]
	v_fma_f64 v[71:72], v[43:44], v[55:56], v[59:60]
	v_fma_f64 v[73:74], v[43:44], v[57:58], -v[61:62]
	v_fma_f64 v[75:76], v[39:40], v[55:56], v[63:64]
	v_fma_f64 v[77:78], v[39:40], v[57:58], -v[65:66]
	;; [unrolled: 2-line block ×4, first 2 shown]
	ds_read_b128 v[67:70], v175 offset:256
	ds_read_b128 v[63:66], v175 offset:272
	;; [unrolled: 1-line block ×4, first 2 shown]
	ds_write_b128 v177, v[71:74]
	ds_write_b128 v177, v[75:78] offset:1072
	ds_write_b128 v177, v[79:82] offset:2144
	;; [unrolled: 1-line block ×3, first 2 shown]
	s_waitcnt lgkmcnt(0)
	s_barrier
	buffer_gl0_inv
	ds_read_b128 v[147:150], v178
	ds_read_b128 v[143:146], v178 offset:16
	ds_read_b128 v[139:142], v178 offset:32
	;; [unrolled: 1-line block ×3, first 2 shown]
	v_add_co_u32 v83, s2, v228, v195
	v_add_co_ci_u32_e64 v84, null, v229, v196, s2
	s_waitcnt lgkmcnt(0)
	s_barrier
	buffer_gl0_inv
	s_cbranch_vccnz .LBB54_180
; %bb.173:                              ;   in Loop: Header=BB54_148 Depth=1
	v_mov_b32_e32 v71, 0
	v_mov_b32_e32 v75, 0
	;; [unrolled: 1-line block ×6, first 2 shown]
	s_mov_b32 s2, exec_lo
	v_cmpx_gt_i32_e64 s3, v188
	s_cbranch_execz .LBB54_175
; %bb.174:                              ;   in Loop: Header=BB54_148 Depth=1
	flat_load_dwordx4 v[75:78], v[83:84]
.LBB54_175:                             ;   in Loop: Header=BB54_148 Depth=1
	s_or_b32 exec_lo, exec_lo, s2
	v_mov_b32_e32 v73, 0
	v_mov_b32_e32 v74, 0
	s_mov_b32 s2, exec_lo
	v_cmpx_gt_i32_e64 s3, v189
	s_cbranch_execz .LBB54_177
; %bb.176:                              ;   in Loop: Header=BB54_148 Depth=1
	v_add_co_u32 v71, vcc_lo, v232, v195
	v_add_co_ci_u32_e64 v72, null, v233, v196, vcc_lo
	flat_load_dwordx4 v[71:74], v[71:72]
.LBB54_177:                             ;   in Loop: Header=BB54_148 Depth=1
	s_or_b32 exec_lo, exec_lo, s2
	v_mov_b32_e32 v79, 0
	v_mov_b32_e32 v81, 0
	;; [unrolled: 1-line block ×4, first 2 shown]
	s_mov_b32 s2, exec_lo
	v_cmpx_gt_i32_e64 s3, v190
	s_cbranch_execz .LBB54_179
; %bb.178:                              ;   in Loop: Header=BB54_148 Depth=1
	v_add_co_u32 v79, vcc_lo, v224, v195
	v_add_co_ci_u32_e64 v80, null, v225, v196, vcc_lo
	flat_load_dwordx4 v[79:82], v[79:80]
.LBB54_179:                             ;   in Loop: Header=BB54_148 Depth=1
	s_or_b32 exec_lo, exec_lo, s2
	v_cmp_gt_i32_e64 s2, s3, v191
	s_branch .LBB54_182
.LBB54_180:                             ;   in Loop: Header=BB54_148 Depth=1
	s_mov_b32 s2, 0
                                        ; implicit-def: $vgpr81_vgpr82
                                        ; implicit-def: $vgpr73_vgpr74
                                        ; implicit-def: $vgpr77_vgpr78
	s_cbranch_execz .LBB54_182
; %bb.181:                              ;   in Loop: Header=BB54_148 Depth=1
	s_waitcnt vmcnt(0) lgkmcnt(0)
	v_add_co_u32 v71, vcc_lo, v232, v195
	v_add_co_ci_u32_e64 v72, null, v233, v196, vcc_lo
	v_add_co_u32 v79, vcc_lo, v236, v195
	v_add_co_ci_u32_e64 v80, null, v237, v196, vcc_lo
	flat_load_dwordx4 v[75:78], v[83:84]
	flat_load_dwordx4 v[71:74], v[71:72]
	;; [unrolled: 1-line block ×3, first 2 shown]
	s_or_b32 s2, s2, exec_lo
.LBB54_182:                             ;   in Loop: Header=BB54_148 Depth=1
	v_mov_b32_e32 v83, 0
	v_mov_b32_e32 v85, 0
	;; [unrolled: 1-line block ×4, first 2 shown]
	s_and_saveexec_b32 s12, s2
	s_cbranch_execz .LBB54_184
; %bb.183:                              ;   in Loop: Header=BB54_148 Depth=1
	v_add_co_u32 v83, vcc_lo, v220, v195
	v_add_co_ci_u32_e64 v84, null, v221, v196, vcc_lo
	flat_load_dwordx4 v[83:86], v[83:84]
.LBB54_184:                             ;   in Loop: Header=BB54_148 Depth=1
	s_or_b32 exec_lo, exec_lo, s12
	ds_read_b128 v[87:90], v176
	v_cmp_ne_u32_e32 vcc_lo, 1, v95
	s_and_b32 vcc_lo, exec_lo, vcc_lo
	s_waitcnt vmcnt(0) lgkmcnt(0)
	v_mul_f64 v[91:92], v[77:78], v[89:90]
	v_mul_f64 v[93:94], v[77:78], v[87:88]
	;; [unrolled: 1-line block ×8, first 2 shown]
	v_fma_f64 v[107:108], v[75:76], v[87:88], v[91:92]
	v_fma_f64 v[109:110], v[75:76], v[89:90], -v[93:94]
	v_fma_f64 v[111:112], v[71:72], v[87:88], v[96:97]
	v_fma_f64 v[113:114], v[71:72], v[89:90], -v[98:99]
	;; [unrolled: 2-line block ×4, first 2 shown]
	ds_read_b128 v[103:106], v175 offset:512
	ds_read_b128 v[99:102], v175 offset:528
	;; [unrolled: 1-line block ×4, first 2 shown]
	ds_write_b128 v177, v[107:110]
	ds_write_b128 v177, v[111:114] offset:1072
	ds_write_b128 v177, v[115:118] offset:2144
	;; [unrolled: 1-line block ×3, first 2 shown]
	s_waitcnt lgkmcnt(0)
	s_barrier
	buffer_gl0_inv
	ds_read_b128 v[163:166], v178
	ds_read_b128 v[159:162], v178 offset:16
	ds_read_b128 v[155:158], v178 offset:32
	;; [unrolled: 1-line block ×3, first 2 shown]
	v_add_co_u32 v115, s2, v197, v195
	v_add_co_ci_u32_e64 v116, null, v198, v196, s2
	s_waitcnt lgkmcnt(0)
	s_barrier
	buffer_gl0_inv
	s_cbranch_vccnz .LBB54_192
; %bb.185:                              ;   in Loop: Header=BB54_148 Depth=1
	v_mov_b32_e32 v95, 0
	v_mov_b32_e32 v107, 0
	v_mov_b32_e32 v109, 0
	v_mov_b32_e32 v96, 0
	v_mov_b32_e32 v108, 0
	v_mov_b32_e32 v110, 0
	s_mov_b32 s2, exec_lo
	v_cmpx_gt_i32_e64 s3, v192
	s_cbranch_execz .LBB54_187
; %bb.186:                              ;   in Loop: Header=BB54_148 Depth=1
	flat_load_dwordx4 v[107:110], v[115:116]
.LBB54_187:                             ;   in Loop: Header=BB54_148 Depth=1
	s_or_b32 exec_lo, exec_lo, s2
	v_mov_b32_e32 v97, 0
	v_mov_b32_e32 v98, 0
	s_mov_b32 s2, exec_lo
	v_cmpx_gt_i32_e64 s3, v193
	s_cbranch_execz .LBB54_189
; %bb.188:                              ;   in Loop: Header=BB54_148 Depth=1
	v_add_co_u32 v95, vcc_lo, v212, v195
	v_add_co_ci_u32_e64 v96, null, v213, v196, vcc_lo
	flat_load_dwordx4 v[95:98], v[95:96]
.LBB54_189:                             ;   in Loop: Header=BB54_148 Depth=1
	s_or_b32 exec_lo, exec_lo, s2
	v_mov_b32_e32 v111, 0
	v_mov_b32_e32 v113, 0
	;; [unrolled: 1-line block ×4, first 2 shown]
	s_mov_b32 s2, exec_lo
	v_cmpx_gt_i32_e64 s3, v194
	s_cbranch_execz .LBB54_191
; %bb.190:                              ;   in Loop: Header=BB54_148 Depth=1
	v_add_co_u32 v111, vcc_lo, v206, v195
	v_add_co_ci_u32_e64 v112, null, v207, v196, vcc_lo
	flat_load_dwordx4 v[111:114], v[111:112]
.LBB54_191:                             ;   in Loop: Header=BB54_148 Depth=1
	s_or_b32 exec_lo, exec_lo, s2
	v_cmp_gt_i32_e64 s2, s3, v199
	s_branch .LBB54_194
.LBB54_192:                             ;   in Loop: Header=BB54_148 Depth=1
	s_mov_b32 s2, 0
                                        ; implicit-def: $vgpr113_vgpr114
                                        ; implicit-def: $vgpr97_vgpr98
                                        ; implicit-def: $vgpr109_vgpr110
	s_cbranch_execz .LBB54_194
; %bb.193:                              ;   in Loop: Header=BB54_148 Depth=1
	s_waitcnt vmcnt(0) lgkmcnt(0)
	v_add_co_u32 v95, vcc_lo, v212, v195
	v_add_co_ci_u32_e64 v96, null, v213, v196, vcc_lo
	v_add_co_u32 v111, vcc_lo, v218, v195
	v_add_co_ci_u32_e64 v112, null, v219, v196, vcc_lo
	flat_load_dwordx4 v[107:110], v[115:116]
	flat_load_dwordx4 v[95:98], v[95:96]
	;; [unrolled: 1-line block ×3, first 2 shown]
	s_or_b32 s2, s2, exec_lo
.LBB54_194:                             ;   in Loop: Header=BB54_148 Depth=1
	v_mov_b32_e32 v115, 0
	v_mov_b32_e32 v117, 0
	;; [unrolled: 1-line block ×4, first 2 shown]
	s_and_saveexec_b32 s12, s2
	s_cbranch_execz .LBB54_196
; %bb.195:                              ;   in Loop: Header=BB54_148 Depth=1
	v_add_co_u32 v115, vcc_lo, v202, v195
	v_add_co_ci_u32_e64 v116, null, v203, v196, vcc_lo
	flat_load_dwordx4 v[115:118], v[115:116]
.LBB54_196:                             ;   in Loop: Header=BB54_148 Depth=1
	s_or_b32 exec_lo, exec_lo, s12
	v_add_f64 v[147:148], v[147:148], 0
	v_add_f64 v[149:150], v[149:150], 0
	;; [unrolled: 1-line block ×6, first 2 shown]
	v_cmp_gt_i32_e32 vcc_lo, s3, v0
	s_or_b32 s2, s5, vcc_lo
	s_and_b32 s3, s1, s2
	v_add_f64 v[143:144], v[147:148], v[143:144]
	v_add_f64 v[145:146], v[149:150], v[145:146]
	;; [unrolled: 1-line block ×16, first 2 shown]
	ds_read_b128 v[143:146], v176
	ds_read_b128 v[131:134], v175 offset:768
	ds_read_b128 v[127:130], v175 offset:784
	;; [unrolled: 1-line block ×4, first 2 shown]
	v_add_f64 v[151:152], v[155:156], v[151:152]
	v_add_f64 v[153:154], v[157:158], v[153:154]
	s_waitcnt vmcnt(0) lgkmcnt(4)
	v_mul_f64 v[147:148], v[109:110], v[145:146]
	v_mul_f64 v[149:150], v[109:110], v[143:144]
	v_fma_f64 v[147:148], v[107:108], v[143:144], v[147:148]
	v_fma_f64 v[149:150], v[107:108], v[145:146], -v[149:150]
	ds_write_b128 v177, v[147:150]
	v_mul_f64 v[147:148], v[97:98], v[145:146]
	v_mul_f64 v[149:150], v[97:98], v[143:144]
	v_fma_f64 v[147:148], v[95:96], v[143:144], v[147:148]
	v_fma_f64 v[149:150], v[95:96], v[145:146], -v[149:150]
	ds_write_b128 v177, v[147:150] offset:1072
	v_mul_f64 v[147:148], v[113:114], v[145:146]
	v_mul_f64 v[149:150], v[113:114], v[143:144]
	v_fma_f64 v[147:148], v[111:112], v[143:144], v[147:148]
	v_fma_f64 v[149:150], v[111:112], v[145:146], -v[149:150]
	ds_write_b128 v177, v[147:150] offset:2144
	v_mul_f64 v[147:148], v[117:118], v[145:146]
	v_fma_f64 v[147:148], v[115:116], v[143:144], v[147:148]
	v_mul_f64 v[143:144], v[117:118], v[143:144]
	v_fma_f64 v[149:150], v[115:116], v[145:146], -v[143:144]
	ds_write_b128 v177, v[147:150] offset:3216
	s_waitcnt lgkmcnt(0)
	s_barrier
	buffer_gl0_inv
	ds_read_b128 v[143:146], v178
	ds_read_b128 v[147:150], v178 offset:16
	ds_read_b128 v[155:158], v178 offset:32
	;; [unrolled: 1-line block ×3, first 2 shown]
	s_waitcnt lgkmcnt(0)
	s_barrier
	buffer_gl0_inv
	v_add_f64 v[143:144], v[143:144], 0
	v_add_f64 v[145:146], v[145:146], 0
	v_add_f64 v[143:144], v[143:144], v[147:148]
	v_add_f64 v[145:146], v[145:146], v[149:150]
	v_add_f64 v[143:144], v[143:144], v[155:156]
	v_add_f64 v[145:146], v[145:146], v[157:158]
	v_add_f64 v[143:144], v[143:144], v[159:160]
	v_add_f64 v[145:146], v[145:146], v[161:162]
	ds_write_b128 v238, v[139:142]
	ds_write_b128 v238, v[135:138] offset:256
	ds_write_b128 v238, v[151:154] offset:512
	;; [unrolled: 1-line block ×3, first 2 shown]
	s_waitcnt lgkmcnt(0)
	s_barrier
	buffer_gl0_inv
	s_and_saveexec_b32 s2, s3
	s_cbranch_execz .LBB54_198
; %bb.197:                              ;   in Loop: Header=BB54_148 Depth=1
	ds_read_b128 v[135:138], v179
	ds_read_b128 v[139:142], v179 offset:16
	v_ashrrev_i32_e32 v169, 31, v168
	s_waitcnt lgkmcnt(0)
	v_add_f64 v[143:144], v[139:140], v[135:136]
	v_add_f64 v[145:146], v[141:142], v[137:138]
	ds_read_b128 v[135:138], v179 offset:32
	ds_read_b128 v[139:142], v179 offset:48
	s_waitcnt lgkmcnt(1)
	v_add_f64 v[135:136], v[143:144], v[135:136]
	v_add_f64 v[137:138], v[145:146], v[137:138]
	s_waitcnt lgkmcnt(0)
	v_add_f64 v[143:144], v[135:136], v[139:140]
	v_add_f64 v[145:146], v[137:138], v[141:142]
	ds_read_b128 v[135:138], v179 offset:64
	ds_read_b128 v[139:142], v179 offset:80
	s_waitcnt lgkmcnt(1)
	v_add_f64 v[135:136], v[143:144], v[135:136]
	v_add_f64 v[137:138], v[145:146], v[137:138]
	;; [unrolled: 8-line block ×6, first 2 shown]
	s_waitcnt lgkmcnt(0)
	v_add_f64 v[143:144], v[135:136], v[139:140]
	v_add_f64 v[145:146], v[137:138], v[141:142]
	ds_read_b128 v[135:138], v179 offset:224
	ds_read_b128 v[139:142], v180
	s_waitcnt lgkmcnt(1)
	v_add_f64 v[135:136], v[143:144], v[135:136]
	v_add_f64 v[137:138], v[145:146], v[137:138]
	s_waitcnt lgkmcnt(0)
	v_add_f64 v[135:136], v[135:136], v[139:140]
	v_add_f64 v[137:138], v[137:138], v[141:142]
	v_lshlrev_b64 v[139:140], 4, v[168:169]
	v_add_co_u32 v139, vcc_lo, s7, v139
	v_add_co_ci_u32_e64 v140, null, s11, v140, vcc_lo
	global_store_dwordx4 v[139:140], v[135:138], off
.LBB54_198:                             ;   in Loop: Header=BB54_148 Depth=1
	s_or_b32 exec_lo, exec_lo, s2
	v_mul_f64 v[135:136], v[13:14], v[37:38]
	v_mul_f64 v[37:38], v[11:12], v[37:38]
	;; [unrolled: 1-line block ×4, first 2 shown]
	v_add_co_u32 v200, vcc_lo, v200, s8
	v_add_co_ci_u32_e64 v201, null, s9, v201, vcc_lo
	v_add_co_u32 v202, vcc_lo, v202, s8
	v_add_co_ci_u32_e64 v203, null, s9, v203, vcc_lo
	;; [unrolled: 2-line block ×4, first 2 shown]
	v_add_co_u32 v208, vcc_lo, v208, s8
	v_fma_f64 v[11:12], v[11:12], v[35:36], -v[135:136]
	v_fma_f64 v[13:14], v[13:14], v[35:36], v[37:38]
	v_mul_f64 v[35:36], v[17:18], v[29:30]
	v_mul_f64 v[29:30], v[15:16], v[29:30]
	v_fma_f64 v[7:8], v[7:8], v[31:32], -v[137:138]
	v_fma_f64 v[9:10], v[9:10], v[31:32], v[33:34]
	v_add_co_ci_u32_e64 v209, null, s9, v209, vcc_lo
	v_add_co_u32 v197, vcc_lo, v197, s8
	v_add_co_ci_u32_e64 v198, null, s9, v198, vcc_lo
	v_add_co_u32 v210, vcc_lo, v210, s8
	;; [unrolled: 2-line block ×4, first 2 shown]
	v_add_f64 v[2:3], v[2:3], v[11:12]
	v_add_f64 v[4:5], v[4:5], v[13:14]
	v_mul_f64 v[11:12], v[21:22], v[25:26]
	v_mul_f64 v[13:14], v[19:20], v[25:26]
	v_fma_f64 v[15:16], v[15:16], v[27:28], -v[35:36]
	v_fma_f64 v[17:18], v[17:18], v[27:28], v[29:30]
	v_add_co_ci_u32_e64 v215, null, s9, v215, vcc_lo
	v_add_co_u32 v216, vcc_lo, v216, s8
	v_add_co_ci_u32_e64 v217, null, s9, v217, vcc_lo
	v_add_co_u32 v218, vcc_lo, v218, s8
	;; [unrolled: 2-line block ×4, first 2 shown]
	v_add_f64 v[2:3], v[2:3], v[7:8]
	v_add_f64 v[4:5], v[4:5], v[9:10]
	v_mul_f64 v[7:8], v[45:46], v[69:70]
	v_mul_f64 v[9:10], v[43:44], v[69:70]
	v_fma_f64 v[11:12], v[19:20], v[23:24], -v[11:12]
	v_fma_f64 v[13:14], v[21:22], v[23:24], v[13:14]
	v_mul_f64 v[19:20], v[117:118], v[121:122]
	v_mul_f64 v[21:22], v[115:116], v[121:122]
	v_add_co_ci_u32_e64 v223, null, s9, v223, vcc_lo
	v_add_co_u32 v224, vcc_lo, v224, s8
	v_add_co_ci_u32_e64 v225, null, s9, v225, vcc_lo
	v_add_co_u32 v226, vcc_lo, v226, s8
	;; [unrolled: 2-line block ×3, first 2 shown]
	v_add_co_ci_u32_e64 v229, null, s9, v229, vcc_lo
	v_add_f64 v[2:3], v[2:3], v[15:16]
	v_add_f64 v[4:5], v[4:5], v[17:18]
	v_mul_f64 v[15:16], v[41:42], v[65:66]
	v_mul_f64 v[17:18], v[39:40], v[65:66]
	v_fma_f64 v[7:8], v[43:44], v[67:68], -v[7:8]
	v_fma_f64 v[9:10], v[45:46], v[67:68], v[9:10]
	v_add_co_u32 v230, vcc_lo, v230, s8
	v_add_co_ci_u32_e64 v231, null, s9, v231, vcc_lo
	v_add_co_u32 v232, vcc_lo, v232, s8
	v_add_co_ci_u32_e64 v233, null, s9, v233, vcc_lo
	;; [unrolled: 2-line block ×3, first 2 shown]
	v_add_co_u32 v236, vcc_lo, v236, s8
	v_add_nc_u32_e32 v168, 64, v168
	v_add_co_ci_u32_e64 v237, null, s9, v237, vcc_lo
	v_add_f64 v[2:3], v[2:3], v[11:12]
	v_add_f64 v[4:5], v[4:5], v[13:14]
	v_mul_f64 v[11:12], v[49:50], v[61:62]
	v_mul_f64 v[13:14], v[47:48], v[61:62]
	v_fma_f64 v[15:16], v[39:40], v[63:64], -v[15:16]
	v_fma_f64 v[17:18], v[41:42], v[63:64], v[17:18]
	s_add_i32 s3, s6, 2
	s_add_i32 s2, s6, 1
	;; [unrolled: 1-line block ×3, first 2 shown]
	s_cmp_ge_u32 s3, s24
	s_waitcnt_vscnt null, 0x0
	s_barrier
	buffer_gl0_inv
	v_add_f64 v[2:3], v[2:3], v[7:8]
	v_add_f64 v[4:5], v[4:5], v[9:10]
	v_mul_f64 v[7:8], v[53:54], v[57:58]
	v_mul_f64 v[9:10], v[51:52], v[57:58]
	v_fma_f64 v[11:12], v[47:48], v[59:60], -v[11:12]
	v_fma_f64 v[13:14], v[49:50], v[59:60], v[13:14]
	v_add_f64 v[2:3], v[2:3], v[15:16]
	v_add_f64 v[4:5], v[4:5], v[17:18]
	v_mul_f64 v[15:16], v[77:78], v[105:106]
	v_mul_f64 v[17:18], v[75:76], v[105:106]
	v_fma_f64 v[7:8], v[51:52], v[55:56], -v[7:8]
	v_fma_f64 v[9:10], v[53:54], v[55:56], v[9:10]
	;; [unrolled: 6-line block ×8, first 2 shown]
	v_add_f64 v[2:3], v[2:3], v[11:12]
	v_add_f64 v[4:5], v[4:5], v[13:14]
	v_fma_f64 v[11:12], v[111:112], v[123:124], -v[15:16]
	v_fma_f64 v[13:14], v[113:114], v[123:124], v[17:18]
	v_add_f64 v[2:3], v[2:3], v[7:8]
	v_add_f64 v[4:5], v[4:5], v[9:10]
	v_fma_f64 v[7:8], v[115:116], v[119:120], -v[19:20]
	v_fma_f64 v[9:10], v[117:118], v[119:120], v[21:22]
	v_add_f64 v[2:3], v[2:3], v[11:12]
	v_add_f64 v[4:5], v[4:5], v[13:14]
	;; [unrolled: 1-line block ×4, first 2 shown]
	s_cbranch_scc0 .LBB54_143
.LBB54_199:
	v_cmp_gt_i32_e32 vcc_lo, s10, v0
	v_mad_u32_u24 v1, 0x430, v1, v170
	s_or_b32 s1, s26, vcc_lo
	ds_write_b128 v1, v[2:5]
	s_and_b32 s0, s0, s1
	s_waitcnt lgkmcnt(0)
	s_barrier
	buffer_gl0_inv
	s_and_saveexec_b32 s1, s0
	s_cbranch_execz .LBB54_201
; %bb.200:
	ds_read_b128 v[0:3], v170 offset:1072
	ds_read_b128 v[4:7], v170
	v_ashrrev_i32_e32 v168, 31, v167
	s_waitcnt lgkmcnt(0)
	v_add_f64 v[8:9], v[0:1], v[4:5]
	v_add_f64 v[10:11], v[2:3], v[6:7]
	ds_read_b128 v[0:3], v170 offset:2144
	ds_read_b128 v[4:7], v170 offset:3216
	s_waitcnt lgkmcnt(1)
	v_add_f64 v[0:1], v[8:9], v[0:1]
	v_add_f64 v[2:3], v[10:11], v[2:3]
	s_waitcnt lgkmcnt(0)
	v_add_f64 v[0:1], v[0:1], v[4:5]
	v_add_f64 v[2:3], v[2:3], v[6:7]
	v_lshlrev_b64 v[4:5], 4, v[167:168]
	v_add_co_u32 v4, vcc_lo, s7, v4
	v_add_co_ci_u32_e64 v5, null, s11, v5, vcc_lo
	global_store_dwordx4 v[4:5], v[0:3], off
.LBB54_201:
	s_endpgm
	.section	.rodata,"a",@progbits
	.p2align	6, 0x0
	.amdhsa_kernel _ZL26rocblas_hemvn_kernel_upperILb1ELi64ELi4ELi33ELi32ELi16Ei19rocblas_complex_numIdEPKPKS1_PS1_EviT6_lT7_lT5_lS8_lS9_lS7_lT8_i
		.amdhsa_group_segment_fixed_size 19200
		.amdhsa_private_segment_fixed_size 0
		.amdhsa_kernarg_size 392
		.amdhsa_user_sgpr_count 6
		.amdhsa_user_sgpr_private_segment_buffer 1
		.amdhsa_user_sgpr_dispatch_ptr 0
		.amdhsa_user_sgpr_queue_ptr 0
		.amdhsa_user_sgpr_kernarg_segment_ptr 1
		.amdhsa_user_sgpr_dispatch_id 0
		.amdhsa_user_sgpr_flat_scratch_init 0
		.amdhsa_user_sgpr_private_segment_size 0
		.amdhsa_wavefront_size32 1
		.amdhsa_uses_dynamic_stack 0
		.amdhsa_system_sgpr_private_segment_wavefront_offset 0
		.amdhsa_system_sgpr_workgroup_id_x 1
		.amdhsa_system_sgpr_workgroup_id_y 0
		.amdhsa_system_sgpr_workgroup_id_z 1
		.amdhsa_system_sgpr_workgroup_info 0
		.amdhsa_system_vgpr_workitem_id 1
		.amdhsa_next_free_vgpr 239
		.amdhsa_next_free_sgpr 37
		.amdhsa_reserve_vcc 1
		.amdhsa_reserve_flat_scratch 0
		.amdhsa_float_round_mode_32 0
		.amdhsa_float_round_mode_16_64 0
		.amdhsa_float_denorm_mode_32 3
		.amdhsa_float_denorm_mode_16_64 3
		.amdhsa_dx10_clamp 1
		.amdhsa_ieee_mode 1
		.amdhsa_fp16_overflow 0
		.amdhsa_workgroup_processor_mode 1
		.amdhsa_memory_ordered 1
		.amdhsa_forward_progress 1
		.amdhsa_shared_vgpr_count 0
		.amdhsa_exception_fp_ieee_invalid_op 0
		.amdhsa_exception_fp_denorm_src 0
		.amdhsa_exception_fp_ieee_div_zero 0
		.amdhsa_exception_fp_ieee_overflow 0
		.amdhsa_exception_fp_ieee_underflow 0
		.amdhsa_exception_fp_ieee_inexact 0
		.amdhsa_exception_int_div_zero 0
	.end_amdhsa_kernel
	.section	.text._ZL26rocblas_hemvn_kernel_upperILb1ELi64ELi4ELi33ELi32ELi16Ei19rocblas_complex_numIdEPKPKS1_PS1_EviT6_lT7_lT5_lS8_lS9_lS7_lT8_i,"axG",@progbits,_ZL26rocblas_hemvn_kernel_upperILb1ELi64ELi4ELi33ELi32ELi16Ei19rocblas_complex_numIdEPKPKS1_PS1_EviT6_lT7_lT5_lS8_lS9_lS7_lT8_i,comdat
.Lfunc_end54:
	.size	_ZL26rocblas_hemvn_kernel_upperILb1ELi64ELi4ELi33ELi32ELi16Ei19rocblas_complex_numIdEPKPKS1_PS1_EviT6_lT7_lT5_lS8_lS9_lS7_lT8_i, .Lfunc_end54-_ZL26rocblas_hemvn_kernel_upperILb1ELi64ELi4ELi33ELi32ELi16Ei19rocblas_complex_numIdEPKPKS1_PS1_EviT6_lT7_lT5_lS8_lS9_lS7_lT8_i
                                        ; -- End function
	.set _ZL26rocblas_hemvn_kernel_upperILb1ELi64ELi4ELi33ELi32ELi16Ei19rocblas_complex_numIdEPKPKS1_PS1_EviT6_lT7_lT5_lS8_lS9_lS7_lT8_i.num_vgpr, 239
	.set _ZL26rocblas_hemvn_kernel_upperILb1ELi64ELi4ELi33ELi32ELi16Ei19rocblas_complex_numIdEPKPKS1_PS1_EviT6_lT7_lT5_lS8_lS9_lS7_lT8_i.num_agpr, 0
	.set _ZL26rocblas_hemvn_kernel_upperILb1ELi64ELi4ELi33ELi32ELi16Ei19rocblas_complex_numIdEPKPKS1_PS1_EviT6_lT7_lT5_lS8_lS9_lS7_lT8_i.numbered_sgpr, 37
	.set _ZL26rocblas_hemvn_kernel_upperILb1ELi64ELi4ELi33ELi32ELi16Ei19rocblas_complex_numIdEPKPKS1_PS1_EviT6_lT7_lT5_lS8_lS9_lS7_lT8_i.num_named_barrier, 0
	.set _ZL26rocblas_hemvn_kernel_upperILb1ELi64ELi4ELi33ELi32ELi16Ei19rocblas_complex_numIdEPKPKS1_PS1_EviT6_lT7_lT5_lS8_lS9_lS7_lT8_i.private_seg_size, 0
	.set _ZL26rocblas_hemvn_kernel_upperILb1ELi64ELi4ELi33ELi32ELi16Ei19rocblas_complex_numIdEPKPKS1_PS1_EviT6_lT7_lT5_lS8_lS9_lS7_lT8_i.uses_vcc, 1
	.set _ZL26rocblas_hemvn_kernel_upperILb1ELi64ELi4ELi33ELi32ELi16Ei19rocblas_complex_numIdEPKPKS1_PS1_EviT6_lT7_lT5_lS8_lS9_lS7_lT8_i.uses_flat_scratch, 0
	.set _ZL26rocblas_hemvn_kernel_upperILb1ELi64ELi4ELi33ELi32ELi16Ei19rocblas_complex_numIdEPKPKS1_PS1_EviT6_lT7_lT5_lS8_lS9_lS7_lT8_i.has_dyn_sized_stack, 0
	.set _ZL26rocblas_hemvn_kernel_upperILb1ELi64ELi4ELi33ELi32ELi16Ei19rocblas_complex_numIdEPKPKS1_PS1_EviT6_lT7_lT5_lS8_lS9_lS7_lT8_i.has_recursion, 0
	.set _ZL26rocblas_hemvn_kernel_upperILb1ELi64ELi4ELi33ELi32ELi16Ei19rocblas_complex_numIdEPKPKS1_PS1_EviT6_lT7_lT5_lS8_lS9_lS7_lT8_i.has_indirect_call, 0
	.section	.AMDGPU.csdata,"",@progbits
; Kernel info:
; codeLenInByte = 12436
; TotalNumSgprs: 39
; NumVgprs: 239
; ScratchSize: 0
; MemoryBound: 1
; FloatMode: 240
; IeeeMode: 1
; LDSByteSize: 19200 bytes/workgroup (compile time only)
; SGPRBlocks: 0
; VGPRBlocks: 29
; NumSGPRsForWavesPerEU: 39
; NumVGPRsForWavesPerEU: 239
; Occupancy: 4
; WaveLimiterHint : 0
; COMPUTE_PGM_RSRC2:SCRATCH_EN: 0
; COMPUTE_PGM_RSRC2:USER_SGPR: 6
; COMPUTE_PGM_RSRC2:TRAP_HANDLER: 0
; COMPUTE_PGM_RSRC2:TGID_X_EN: 1
; COMPUTE_PGM_RSRC2:TGID_Y_EN: 0
; COMPUTE_PGM_RSRC2:TGID_Z_EN: 1
; COMPUTE_PGM_RSRC2:TIDIG_COMP_CNT: 1
	.section	.text._ZL36rocblas_hemvn_kernel_upper_block_sumILi64Ei19rocblas_complex_numIdEPKPS1_S1_EviT1_lS5_lT2_lT0_lPT3_i,"axG",@progbits,_ZL36rocblas_hemvn_kernel_upper_block_sumILi64Ei19rocblas_complex_numIdEPKPS1_S1_EviT1_lS5_lT2_lT0_lPT3_i,comdat
	.globl	_ZL36rocblas_hemvn_kernel_upper_block_sumILi64Ei19rocblas_complex_numIdEPKPS1_S1_EviT1_lS5_lT2_lT0_lPT3_i ; -- Begin function _ZL36rocblas_hemvn_kernel_upper_block_sumILi64Ei19rocblas_complex_numIdEPKPS1_S1_EviT1_lS5_lT2_lT0_lPT3_i
	.p2align	8
	.type	_ZL36rocblas_hemvn_kernel_upper_block_sumILi64Ei19rocblas_complex_numIdEPKPS1_S1_EviT1_lS5_lT2_lT0_lPT3_i,@function
_ZL36rocblas_hemvn_kernel_upper_block_sumILi64Ei19rocblas_complex_numIdEPKPS1_S1_EviT1_lS5_lT2_lT0_lPT3_i: ; @_ZL36rocblas_hemvn_kernel_upper_block_sumILi64Ei19rocblas_complex_numIdEPKPS1_S1_EviT1_lS5_lT2_lT0_lPT3_i
; %bb.0:
	s_clause 0x1
	s_load_dwordx4 s[12:15], s[4:5], 0x8
	s_load_dwordx4 s[8:11], s[4:5], 0x20
	s_mov_b32 s2, s7
	s_waitcnt lgkmcnt(0)
	v_cmp_neq_f64_e64 s0, s[12:13], 0
	v_cmp_neq_f64_e64 s1, s[14:15], 0
	s_or_b32 s0, s0, s1
	s_mov_b32 s1, -1
	s_and_b32 vcc_lo, exec_lo, s0
	s_cbranch_vccnz .LBB55_2
; %bb.1:
	v_cmp_neq_f64_e64 s1, s[8:9], 1.0
	v_cmp_neq_f64_e64 s3, s[10:11], 0
	s_or_b32 s1, s1, s3
.LBB55_2:
	s_andn2_b32 vcc_lo, exec_lo, s1
	s_cbranch_vccnz .LBB55_22
; %bb.3:
	s_load_dwordx4 s[20:23], s[4:5], 0x38
	s_mov_b32 s3, 0
	s_xor_b32 s17, s0, -1
	s_lshl_b64 s[0:1], s[2:3], 3
	s_clause 0x1
	s_load_dword s19, s[4:5], 0x48
	s_load_dword s16, s[4:5], 0x0
	v_lshl_or_b32 v4, s6, 6, v0
	s_waitcnt lgkmcnt(0)
	s_add_u32 s0, s20, s0
	s_addc_u32 s1, s21, s1
	s_lshl_b64 s[22:23], s[22:23], 4
	s_load_dwordx2 s[20:21], s[0:1], 0x0
	v_cmp_gt_i32_e64 s0, s16, v4
	s_waitcnt lgkmcnt(0)
	s_add_u32 s7, s20, s22
	s_addc_u32 s18, s21, s23
	s_andn2_b32 vcc_lo, exec_lo, s17
	s_cbranch_vccnz .LBB55_8
; %bb.4:
	s_mov_b32 s1, 0
                                        ; implicit-def: $vgpr2_vgpr3
                                        ; implicit-def: $vgpr5_vgpr6
	s_and_saveexec_b32 s17, s0
	s_cbranch_execz .LBB55_9
; %bb.5:
	v_cmp_neq_f64_e64 s0, s[8:9], 0
	v_cmp_neq_f64_e64 s3, s[10:11], 0
	v_mul_lo_u32 v5, s19, v4
	v_mov_b32_e32 v2, 0
	v_mov_b32_e32 v0, 0
	;; [unrolled: 1-line block ×4, first 2 shown]
	v_ashrrev_i32_e32 v6, 31, v5
	s_or_b32 s0, s0, s3
	s_andn2_b32 vcc_lo, exec_lo, s0
	s_cbranch_vccnz .LBB55_7
; %bb.6:
	v_lshlrev_b64 v[0:1], 4, v[5:6]
	v_add_co_u32 v0, vcc_lo, s7, v0
	v_add_co_ci_u32_e64 v1, null, s18, v1, vcc_lo
	flat_load_dwordx4 v[7:10], v[0:1]
	s_waitcnt vmcnt(0) lgkmcnt(0)
	v_mul_f64 v[0:1], s[10:11], v[9:10]
	v_mul_f64 v[2:3], s[8:9], v[9:10]
	v_fma_f64 v[0:1], s[8:9], v[7:8], -v[0:1]
	v_fma_f64 v[2:3], s[10:11], v[7:8], v[2:3]
.LBB55_7:
	s_mov_b32 s3, exec_lo
	s_or_b32 exec_lo, exec_lo, s17
	s_and_b32 vcc_lo, exec_lo, s1
	s_cbranch_vccnz .LBB55_10
	s_branch .LBB55_20
.LBB55_8:
                                        ; implicit-def: $vgpr2_vgpr3
                                        ; implicit-def: $vgpr5_vgpr6
	s_cbranch_execnz .LBB55_10
	s_branch .LBB55_20
.LBB55_9:
	s_or_b32 exec_lo, exec_lo, s17
	s_and_b32 vcc_lo, exec_lo, s1
	s_cbranch_vccz .LBB55_20
.LBB55_10:
	s_mov_b32 s20, exec_lo
                                        ; implicit-def: $vgpr2_vgpr3
                                        ; implicit-def: $vgpr5_vgpr6
	v_cmpx_gt_i32_e64 s16, v4
	s_cbranch_execz .LBB55_19
; %bb.11:
	v_mov_b32_e32 v0, 0
	v_mov_b32_e32 v2, 0
	;; [unrolled: 1-line block ×4, first 2 shown]
	s_cmp_lt_i32 s6, 0
	s_cbranch_scc1 .LBB55_14
; %bb.12:
	s_clause 0x1
	s_load_dword s21, s[4:5], 0x68
	s_load_dwordx2 s[0:1], s[4:5], 0x58
	s_ashr_i32 s17, s16, 31
	s_mul_hi_u32 s5, s16, s2
	s_mul_i32 s22, s17, s2
	v_mov_b32_e32 v5, 0
	s_add_i32 s5, s5, s22
	s_mul_i32 s2, s16, s2
	s_add_i32 s4, s6, 1
	v_mov_b32_e32 v0, 0
	v_lshlrev_b64 v[2:3], 4, v[4:5]
	v_mov_b32_e32 v1, 0
	s_waitcnt lgkmcnt(0)
	s_mul_i32 s5, s5, s21
	s_mul_hi_u32 s6, s2, s21
	s_mul_i32 s22, s2, s21
	s_add_i32 s23, s6, s5
	s_lshl_b64 s[22:23], s[22:23], 4
	s_add_u32 s0, s0, s22
	s_addc_u32 s1, s1, s23
	v_add_co_u32 v5, vcc_lo, s0, v2
	v_add_co_ci_u32_e64 v6, null, s1, v3, vcc_lo
	v_mov_b32_e32 v2, 0
	v_add_co_u32 v5, vcc_lo, v5, 8
	v_mov_b32_e32 v3, 0
	v_add_co_ci_u32_e64 v6, null, 0, v6, vcc_lo
	s_lshl_b64 s[0:1], s[16:17], 4
.LBB55_13:                              ; =>This Inner Loop Header: Depth=1
	global_load_dwordx4 v[7:10], v[5:6], off offset:-8
	v_add_co_u32 v5, vcc_lo, v5, s0
	v_add_co_ci_u32_e64 v6, null, s1, v6, vcc_lo
	s_add_i32 s4, s4, -1
	s_cmp_eq_u32 s4, 0
	s_waitcnt vmcnt(0)
	v_add_f64 v[2:3], v[2:3], v[7:8]
	v_add_f64 v[0:1], v[0:1], v[9:10]
	s_cbranch_scc0 .LBB55_13
.LBB55_14:
	v_mul_f64 v[5:6], s[14:15], v[0:1]
	v_mul_f64 v[7:8], s[12:13], v[0:1]
	v_cmp_neq_f64_e64 s0, s[8:9], 0
	v_cmp_neq_f64_e64 s1, s[10:11], 0
	v_fma_f64 v[0:1], s[12:13], v[2:3], -v[5:6]
	v_fma_f64 v[2:3], s[14:15], v[2:3], v[7:8]
	v_mul_lo_u32 v5, s19, v4
	s_or_b32 s0, s0, s1
	s_andn2_b32 vcc_lo, exec_lo, s0
	v_ashrrev_i32_e32 v6, 31, v5
	s_cbranch_vccz .LBB55_16
; %bb.15:
	s_cbranch_execz .LBB55_17
	s_branch .LBB55_18
.LBB55_16:
.LBB55_17:
	v_lshlrev_b64 v[7:8], 4, v[5:6]
	v_add_co_u32 v7, vcc_lo, s7, v7
	v_add_co_ci_u32_e64 v8, null, s18, v8, vcc_lo
	flat_load_dwordx4 v[7:10], v[7:8]
	s_waitcnt vmcnt(0) lgkmcnt(0)
	v_mul_f64 v[11:12], s[10:11], v[9:10]
	v_mul_f64 v[9:10], s[8:9], v[9:10]
	v_fma_f64 v[11:12], s[8:9], v[7:8], -v[11:12]
	v_fma_f64 v[7:8], s[10:11], v[7:8], v[9:10]
	v_add_f64 v[0:1], v[0:1], v[11:12]
	v_add_f64 v[2:3], v[2:3], v[7:8]
.LBB55_18:
	s_or_b32 s3, s3, exec_lo
.LBB55_19:
	s_or_b32 exec_lo, exec_lo, s20
.LBB55_20:
	s_and_saveexec_b32 s0, s3
	s_cbranch_execz .LBB55_22
; %bb.21:
	v_lshlrev_b64 v[4:5], 4, v[5:6]
	v_add_co_u32 v4, vcc_lo, s7, v4
	v_add_co_ci_u32_e64 v5, null, s18, v5, vcc_lo
	flat_store_dwordx4 v[4:5], v[0:3]
.LBB55_22:
	s_endpgm
	.section	.rodata,"a",@progbits
	.p2align	6, 0x0
	.amdhsa_kernel _ZL36rocblas_hemvn_kernel_upper_block_sumILi64Ei19rocblas_complex_numIdEPKPS1_S1_EviT1_lS5_lT2_lT0_lPT3_i
		.amdhsa_group_segment_fixed_size 0
		.amdhsa_private_segment_fixed_size 0
		.amdhsa_kernarg_size 360
		.amdhsa_user_sgpr_count 6
		.amdhsa_user_sgpr_private_segment_buffer 1
		.amdhsa_user_sgpr_dispatch_ptr 0
		.amdhsa_user_sgpr_queue_ptr 0
		.amdhsa_user_sgpr_kernarg_segment_ptr 1
		.amdhsa_user_sgpr_dispatch_id 0
		.amdhsa_user_sgpr_flat_scratch_init 0
		.amdhsa_user_sgpr_private_segment_size 0
		.amdhsa_wavefront_size32 1
		.amdhsa_uses_dynamic_stack 0
		.amdhsa_system_sgpr_private_segment_wavefront_offset 0
		.amdhsa_system_sgpr_workgroup_id_x 1
		.amdhsa_system_sgpr_workgroup_id_y 0
		.amdhsa_system_sgpr_workgroup_id_z 1
		.amdhsa_system_sgpr_workgroup_info 0
		.amdhsa_system_vgpr_workitem_id 0
		.amdhsa_next_free_vgpr 13
		.amdhsa_next_free_sgpr 24
		.amdhsa_reserve_vcc 1
		.amdhsa_reserve_flat_scratch 0
		.amdhsa_float_round_mode_32 0
		.amdhsa_float_round_mode_16_64 0
		.amdhsa_float_denorm_mode_32 3
		.amdhsa_float_denorm_mode_16_64 3
		.amdhsa_dx10_clamp 1
		.amdhsa_ieee_mode 1
		.amdhsa_fp16_overflow 0
		.amdhsa_workgroup_processor_mode 1
		.amdhsa_memory_ordered 1
		.amdhsa_forward_progress 1
		.amdhsa_shared_vgpr_count 0
		.amdhsa_exception_fp_ieee_invalid_op 0
		.amdhsa_exception_fp_denorm_src 0
		.amdhsa_exception_fp_ieee_div_zero 0
		.amdhsa_exception_fp_ieee_overflow 0
		.amdhsa_exception_fp_ieee_underflow 0
		.amdhsa_exception_fp_ieee_inexact 0
		.amdhsa_exception_int_div_zero 0
	.end_amdhsa_kernel
	.section	.text._ZL36rocblas_hemvn_kernel_upper_block_sumILi64Ei19rocblas_complex_numIdEPKPS1_S1_EviT1_lS5_lT2_lT0_lPT3_i,"axG",@progbits,_ZL36rocblas_hemvn_kernel_upper_block_sumILi64Ei19rocblas_complex_numIdEPKPS1_S1_EviT1_lS5_lT2_lT0_lPT3_i,comdat
.Lfunc_end55:
	.size	_ZL36rocblas_hemvn_kernel_upper_block_sumILi64Ei19rocblas_complex_numIdEPKPS1_S1_EviT1_lS5_lT2_lT0_lPT3_i, .Lfunc_end55-_ZL36rocblas_hemvn_kernel_upper_block_sumILi64Ei19rocblas_complex_numIdEPKPS1_S1_EviT1_lS5_lT2_lT0_lPT3_i
                                        ; -- End function
	.set _ZL36rocblas_hemvn_kernel_upper_block_sumILi64Ei19rocblas_complex_numIdEPKPS1_S1_EviT1_lS5_lT2_lT0_lPT3_i.num_vgpr, 13
	.set _ZL36rocblas_hemvn_kernel_upper_block_sumILi64Ei19rocblas_complex_numIdEPKPS1_S1_EviT1_lS5_lT2_lT0_lPT3_i.num_agpr, 0
	.set _ZL36rocblas_hemvn_kernel_upper_block_sumILi64Ei19rocblas_complex_numIdEPKPS1_S1_EviT1_lS5_lT2_lT0_lPT3_i.numbered_sgpr, 24
	.set _ZL36rocblas_hemvn_kernel_upper_block_sumILi64Ei19rocblas_complex_numIdEPKPS1_S1_EviT1_lS5_lT2_lT0_lPT3_i.num_named_barrier, 0
	.set _ZL36rocblas_hemvn_kernel_upper_block_sumILi64Ei19rocblas_complex_numIdEPKPS1_S1_EviT1_lS5_lT2_lT0_lPT3_i.private_seg_size, 0
	.set _ZL36rocblas_hemvn_kernel_upper_block_sumILi64Ei19rocblas_complex_numIdEPKPS1_S1_EviT1_lS5_lT2_lT0_lPT3_i.uses_vcc, 1
	.set _ZL36rocblas_hemvn_kernel_upper_block_sumILi64Ei19rocblas_complex_numIdEPKPS1_S1_EviT1_lS5_lT2_lT0_lPT3_i.uses_flat_scratch, 0
	.set _ZL36rocblas_hemvn_kernel_upper_block_sumILi64Ei19rocblas_complex_numIdEPKPS1_S1_EviT1_lS5_lT2_lT0_lPT3_i.has_dyn_sized_stack, 0
	.set _ZL36rocblas_hemvn_kernel_upper_block_sumILi64Ei19rocblas_complex_numIdEPKPS1_S1_EviT1_lS5_lT2_lT0_lPT3_i.has_recursion, 0
	.set _ZL36rocblas_hemvn_kernel_upper_block_sumILi64Ei19rocblas_complex_numIdEPKPS1_S1_EviT1_lS5_lT2_lT0_lPT3_i.has_indirect_call, 0
	.section	.AMDGPU.csdata,"",@progbits
; Kernel info:
; codeLenInByte = 816
; TotalNumSgprs: 26
; NumVgprs: 13
; ScratchSize: 0
; MemoryBound: 0
; FloatMode: 240
; IeeeMode: 1
; LDSByteSize: 0 bytes/workgroup (compile time only)
; SGPRBlocks: 0
; VGPRBlocks: 1
; NumSGPRsForWavesPerEU: 26
; NumVGPRsForWavesPerEU: 13
; Occupancy: 16
; WaveLimiterHint : 1
; COMPUTE_PGM_RSRC2:SCRATCH_EN: 0
; COMPUTE_PGM_RSRC2:USER_SGPR: 6
; COMPUTE_PGM_RSRC2:TRAP_HANDLER: 0
; COMPUTE_PGM_RSRC2:TGID_X_EN: 1
; COMPUTE_PGM_RSRC2:TGID_Y_EN: 0
; COMPUTE_PGM_RSRC2:TGID_Z_EN: 1
; COMPUTE_PGM_RSRC2:TIDIG_COMP_CNT: 0
	.section	.text._ZL26rocblas_hemvn_kernel_lowerILb1ELi64ELi4ELi33ELi32ELi16ElPK19rocblas_complex_numIdEPKS3_PS1_EviT6_lT7_lT5_lS8_lS9_lS7_lT8_i,"axG",@progbits,_ZL26rocblas_hemvn_kernel_lowerILb1ELi64ELi4ELi33ELi32ELi16ElPK19rocblas_complex_numIdEPKS3_PS1_EviT6_lT7_lT5_lS8_lS9_lS7_lT8_i,comdat
	.globl	_ZL26rocblas_hemvn_kernel_lowerILb1ELi64ELi4ELi33ELi32ELi16ElPK19rocblas_complex_numIdEPKS3_PS1_EviT6_lT7_lT5_lS8_lS9_lS7_lT8_i ; -- Begin function _ZL26rocblas_hemvn_kernel_lowerILb1ELi64ELi4ELi33ELi32ELi16ElPK19rocblas_complex_numIdEPKS3_PS1_EviT6_lT7_lT5_lS8_lS9_lS7_lT8_i
	.p2align	8
	.type	_ZL26rocblas_hemvn_kernel_lowerILb1ELi64ELi4ELi33ELi32ELi16ElPK19rocblas_complex_numIdEPKS3_PS1_EviT6_lT7_lT5_lS8_lS9_lS7_lT8_i,@function
_ZL26rocblas_hemvn_kernel_lowerILb1ELi64ELi4ELi33ELi32ELi16ElPK19rocblas_complex_numIdEPKS3_PS1_EviT6_lT7_lT5_lS8_lS9_lS7_lT8_i: ; @_ZL26rocblas_hemvn_kernel_lowerILb1ELi64ELi4ELi33ELi32ELi16ElPK19rocblas_complex_numIdEPKS3_PS1_EviT6_lT7_lT5_lS8_lS9_lS7_lT8_i
; %bb.0:
	s_load_dwordx2 s[0:1], s[4:5], 0x84
	s_add_u32 s22, s4, 0x78
	s_addc_u32 s23, s5, 0
	s_waitcnt lgkmcnt(0)
	s_lshr_b32 s2, s0, 16
	s_and_b32 s0, s0, 0xffff
	s_and_b32 s1, s1, 0xffff
	s_mul_i32 s0, s2, s0
	s_mul_i32 s0, s0, s1
	s_cmpk_lg_i32 s0, 0x100
	s_cbranch_scc1 .LBB56_150
; %bb.1:
	s_load_dwordx8 s[8:15], s[4:5], 0x8
	s_mov_b32 s16, s7
	s_mov_b32 s17, 0
	s_waitcnt lgkmcnt(0)
	s_mul_i32 s1, s11, s7
	s_mul_hi_u32 s2, s10, s7
	s_mul_i32 s0, s10, s7
	s_add_i32 s1, s2, s1
	s_lshl_b64 s[0:1], s[0:1], 4
	s_add_u32 s0, s8, s0
	s_addc_u32 s1, s9, s1
	s_load_dwordx4 s[0:3], s[0:1], 0x0
	s_waitcnt lgkmcnt(0)
	v_cmp_neq_f64_e64 s7, s[0:1], 0
	v_cmp_neq_f64_e64 s8, s[2:3], 0
	s_clause 0x1
	s_load_dwordx2 s[18:19], s[4:5], 0x68
	s_load_dwordx4 s[0:3], s[4:5], 0x58
	s_or_b32 s7, s7, s8
	s_and_b32 vcc_lo, exec_lo, s7
	s_mov_b32 s7, -1
	s_cbranch_vccnz .LBB56_3
; %bb.2:
	s_waitcnt lgkmcnt(0)
	s_mul_i32 s3, s3, s16
	s_mul_hi_u32 s7, s2, s16
	s_mul_i32 s2, s2, s16
	s_add_i32 s3, s7, s3
	s_mov_b32 s7, 0
	s_lshl_b64 s[2:3], s[2:3], 4
	s_add_u32 s0, s0, s2
	s_addc_u32 s1, s1, s3
	s_load_dwordx4 s[0:3], s[0:1], 0x0
	s_waitcnt lgkmcnt(0)
	v_cmp_eq_f64_e64 s0, s[0:1], 1.0
	v_cmp_eq_f64_e64 s1, s[2:3], 0
	s_and_b32 s0, s0, s1
	s_andn2_b32 vcc_lo, exec_lo, s0
.LBB56_3:
	s_andn2_b32 vcc_lo, exec_lo, s7
	s_cbranch_vccnz .LBB56_150
; %bb.4:
	s_waitcnt lgkmcnt(0)
	s_load_dwordx4 s[0:3], s[4:5], 0x38
	s_lshl_b64 s[8:9], s[16:17], 3
	s_load_dword s17, s[4:5], 0x0
	s_add_u32 s24, s12, s8
	s_addc_u32 s25, s13, s9
	s_load_dwordx2 s[10:11], s[4:5], 0x48
	s_load_dword s26, s[22:23], 0x0
	s_waitcnt lgkmcnt(0)
	s_add_u32 s0, s0, s8
	s_addc_u32 s1, s1, s9
	s_lshl_b64 s[2:3], s[2:3], 4
	s_load_dwordx2 s[0:1], s[0:1], 0x0
	s_waitcnt lgkmcnt(0)
	s_add_u32 s7, s0, s2
	s_addc_u32 s1, s1, s3
	s_lshl_b32 s20, s6, 6
	s_load_dwordx2 s[12:13], s[4:5], 0x28
	s_load_dwordx2 s[2:3], s[24:25], 0x0
	v_add_nc_u32_e32 v138, s20, v0
	s_ashr_i32 s27, s17, 31
	s_add_i32 s5, s26, -1
	s_lshr_b32 s0, s27, 26
	v_ashrrev_i32_e32 v139, 31, v138
	v_mul_lo_u32 v4, s11, v138
	v_mad_u64_u32 v[2:3], null, s10, v138, 0
	s_add_i32 s4, s17, s0
	v_mul_lo_u32 v5, s10, v139
	s_andn2_b32 s4, s4, 63
	v_cmp_ne_u32_e64 s0, 0, v1
	s_sub_i32 s8, s17, s4
	s_cmp_eq_u32 s6, s5
	s_mov_b32 s4, -1
	s_cselect_b32 s22, s8, 0
	v_add3_u32 v3, v3, v5, v4
	v_lshlrev_b64 v[2:3], 4, v[2:3]
	v_add_co_u32 v38, vcc_lo, s7, v2
	v_add_co_ci_u32_e64 v39, null, s1, v3, vcc_lo
	v_cmp_eq_u32_e64 s1, 0, v1
	s_and_saveexec_b32 s5, s1
	s_cbranch_execz .LBB56_9
; %bb.5:
	v_cmp_le_i32_e32 vcc_lo, s22, v0
	s_cmp_lg_u32 s22, 0
	v_lshl_add_u32 v2, v0, 4, 0x4700
	s_cselect_b32 s7, -1, 0
	s_and_b32 s7, s7, vcc_lo
	s_and_saveexec_b32 s8, s7
	s_xor_b32 s7, exec_lo, s8
	s_cbranch_execz .LBB56_7
; %bb.6:
	v_mov_b32_e32 v3, 0
	v_mov_b32_e32 v4, v3
	;; [unrolled: 1-line block ×4, first 2 shown]
	ds_write_b128 v2, v[3:6]
                                        ; implicit-def: $vgpr2
.LBB56_7:
	s_andn2_saveexec_b32 s7, s7
	s_cbranch_execz .LBB56_9
; %bb.8:
	flat_load_dwordx4 v[3:6], v[38:39]
	s_waitcnt vmcnt(0) lgkmcnt(0)
	ds_write2_b64 v2, v[3:4], v[5:6] offset1:1
.LBB56_9:
	s_or_b32 exec_lo, exec_lo, s5
	v_lshl_add_u32 v44, v1, 6, v0
	v_and_b32_e32 v10, 31, v0
	v_mov_b32_e32 v11, 0
	s_lshl_b64 s[8:9], s[14:15], 4
	s_waitcnt lgkmcnt(0)
	s_mul_hi_u32 s5, s12, s20
	v_lshrrev_b32_e32 v13, 5, v44
	s_add_u32 s7, s2, s8
	s_addc_u32 s8, s3, s9
	s_ashr_i32 s21, s20, 31
	s_mul_i32 s9, s13, s20
	v_mad_u64_u32 v[2:3], null, s12, v13, v[10:11]
	s_lshl_b64 s[2:3], s[20:21], 4
	s_mul_i32 s14, s12, s21
	s_add_u32 s7, s7, s2
	s_addc_u32 s8, s8, s3
	s_add_i32 s3, s5, s14
	s_mul_i32 s2, s12, s20
	v_mad_u64_u32 v[3:4], null, s13, v13, v[3:4]
	s_add_i32 s3, s3, s9
	s_lshl_b64 s[14:15], s[2:3], 4
	s_cmp_lg_u32 s22, 0
	s_cselect_b32 s28, -1, 0
	v_lshlrev_b64 v[40:41], 4, v[2:3]
	s_cmp_eq_u32 s22, 0
	v_add_co_u32 v2, vcc_lo, s7, v40
	v_add_co_ci_u32_e64 v3, null, s8, v41, vcc_lo
	s_cselect_b32 s8, -1, 0
	v_add_co_u32 v6, vcc_lo, v2, s14
	v_add_co_ci_u32_e64 v7, null, s15, v3, vcc_lo
	s_and_b32 vcc_lo, exec_lo, s28
	s_cbranch_vccnz .LBB56_11
; %bb.10:
	flat_load_dwordx4 v[2:5], v[6:7]
	v_mul_u32_u24_e32 v8, 0x210, v13
	s_lshl_b64 s[2:3], s[12:13], 7
	s_mov_b32 s4, 0
	v_lshl_add_u32 v11, v10, 4, v8
	v_add_co_u32 v8, vcc_lo, v6, s2
	v_add_co_ci_u32_e64 v9, null, s3, v7, vcc_lo
	v_add_nc_u32_e32 v12, 0x1080, v11
	s_waitcnt vmcnt(0) lgkmcnt(0)
	ds_write2_b64 v11, v[2:3], v[4:5] offset1:1
	flat_load_dwordx4 v[2:5], v[8:9]
	v_add_co_u32 v8, vcc_lo, v8, s2
	v_add_co_ci_u32_e64 v9, null, s3, v9, vcc_lo
	s_waitcnt vmcnt(0) lgkmcnt(0)
	ds_write2_b64 v12, v[2:3], v[4:5] offset1:1
	flat_load_dwordx4 v[2:5], v[8:9]
	v_add_co_u32 v8, vcc_lo, v8, s2
	v_add_nc_u32_e32 v12, 0x2100, v11
	v_add_co_ci_u32_e64 v9, null, s3, v9, vcc_lo
	s_waitcnt vmcnt(0) lgkmcnt(0)
	ds_write2_b64 v12, v[2:3], v[4:5] offset1:1
	flat_load_dwordx4 v[2:5], v[8:9]
	v_add_nc_u32_e32 v8, 0x3180, v11
	s_waitcnt vmcnt(0) lgkmcnt(0)
	ds_write2_b64 v8, v[2:3], v[4:5] offset1:1
.LBB56_11:
	v_lshlrev_b32_e32 v14, 4, v10
	s_andn2_b32 vcc_lo, exec_lo, s4
	s_cbranch_vccnz .LBB56_29
; %bb.12:
	v_lshlrev_b32_e32 v4, 4, v10
	s_ashr_i32 s23, s22, 31
	v_cmp_le_i32_e64 s2, s22, v13
	s_lshl_b64 s[4:5], s[22:23], 4
	v_mad_u32_u24 v5, 0x210, v13, v14
	v_sub_co_u32 v2, vcc_lo, v6, v4
	v_subrev_co_ci_u32_e64 v3, null, 0, v7, vcc_lo
	v_add_co_u32 v2, vcc_lo, v2, s4
	v_add_co_ci_u32_e64 v3, null, s5, v3, vcc_lo
	v_add_co_u32 v2, vcc_lo, v2, -16
	v_add_co_ci_u32_e64 v3, null, -1, v3, vcc_lo
	v_cmp_gt_i32_e32 vcc_lo, s22, v10
	v_cndmask_b32_e32 v3, v3, v7, vcc_lo
	v_cndmask_b32_e32 v2, v2, v6, vcc_lo
	s_and_saveexec_b32 s3, s2
	s_xor_b32 s2, exec_lo, s3
	s_cbranch_execz .LBB56_14
; %bb.13:
	v_mov_b32_e32 v15, 0
	v_mov_b32_e32 v16, v15
	v_mov_b32_e32 v17, v15
	v_mov_b32_e32 v18, v15
	ds_write_b128 v5, v[15:18]
                                        ; implicit-def: $vgpr5
.LBB56_14:
	s_andn2_saveexec_b32 s2, s2
	s_cbranch_execz .LBB56_16
; %bb.15:
	flat_load_dwordx4 v[15:18], v[2:3]
	s_waitcnt vmcnt(0) lgkmcnt(0)
	ds_write2_b64 v5, v[15:16], v[17:18] offset1:1
.LBB56_16:
	s_or_b32 exec_lo, exec_lo, s2
	v_add_nc_u32_e32 v8, 8, v13
	v_mul_u32_u24_e32 v5, 0x210, v13
	v_cmp_le_i32_e64 s2, s22, v8
	s_and_saveexec_b32 s3, s2
	s_xor_b32 s2, exec_lo, s3
	s_cbranch_execz .LBB56_18
; %bb.17:
	v_mov_b32_e32 v15, 0
	v_add_nc_u32_e32 v8, v5, v14
	v_mov_b32_e32 v16, v15
	v_mov_b32_e32 v17, v15
	;; [unrolled: 1-line block ×3, first 2 shown]
	ds_write_b128 v8, v[15:18] offset:4224
.LBB56_18:
	s_andn2_saveexec_b32 s3, s2
	s_cbranch_execz .LBB56_20
; %bb.19:
	s_lshl_b64 s[24:25], s[12:13], 7
	v_add_co_u32 v8, s2, v2, s24
	v_add_co_ci_u32_e64 v9, null, s25, v3, s2
	flat_load_dwordx4 v[15:18], v[8:9]
	v_add3_u32 v8, v5, v14, 0x1080
	s_waitcnt vmcnt(0) lgkmcnt(0)
	ds_write2_b64 v8, v[15:16], v[17:18] offset1:1
.LBB56_20:
	s_or_b32 exec_lo, exec_lo, s3
	v_add_nc_u32_e32 v8, 16, v13
	v_cmp_le_i32_e64 s2, s22, v8
	s_and_saveexec_b32 s3, s2
	s_xor_b32 s2, exec_lo, s3
	s_cbranch_execz .LBB56_22
; %bb.21:
	v_mov_b32_e32 v15, 0
	v_add_nc_u32_e32 v8, v5, v14
	v_mov_b32_e32 v16, v15
	v_mov_b32_e32 v17, v15
	;; [unrolled: 1-line block ×3, first 2 shown]
	ds_write_b128 v8, v[15:18] offset:8448
.LBB56_22:
	s_andn2_saveexec_b32 s3, s2
	s_cbranch_execz .LBB56_24
; %bb.23:
	s_lshl_b64 s[24:25], s[12:13], 8
	v_add_co_u32 v8, s2, v2, s24
	v_add_co_ci_u32_e64 v9, null, s25, v3, s2
	flat_load_dwordx4 v[15:18], v[8:9]
	v_add3_u32 v8, v5, v14, 0x2100
	s_waitcnt vmcnt(0) lgkmcnt(0)
	ds_write2_b64 v8, v[15:16], v[17:18] offset1:1
.LBB56_24:
	s_or_b32 exec_lo, exec_lo, s3
	v_add_nc_u32_e32 v8, 24, v13
	v_cmp_le_i32_e64 s2, s22, v8
	s_and_saveexec_b32 s3, s2
	s_xor_b32 s2, exec_lo, s3
	s_cbranch_execz .LBB56_26
; %bb.25:
	v_mov_b32_e32 v15, 0
	v_add_nc_u32_e32 v5, v5, v14
	v_mov_b32_e32 v16, v15
	v_mov_b32_e32 v17, v15
	;; [unrolled: 1-line block ×3, first 2 shown]
	ds_write_b128 v5, v[15:18] offset:12672
                                        ; implicit-def: $vgpr5
.LBB56_26:
	s_andn2_saveexec_b32 s2, s2
	s_cbranch_execz .LBB56_28
; %bb.27:
	v_mad_u64_u32 v[8:9], null, 0x180, s12, v[2:3]
	v_add3_u32 v5, v5, v14, 0x3180
	v_mad_u64_u32 v[11:12], null, 0x180, s13, v[9:10]
	v_mov_b32_e32 v9, v11
	flat_load_dwordx4 v[15:18], v[8:9]
	s_waitcnt vmcnt(0) lgkmcnt(0)
	ds_write2_b64 v5, v[15:16], v[17:18] offset1:1
.LBB56_28:
	s_or_b32 exec_lo, exec_lo, s2
	v_add_co_u32 v2, s2, v2, v4
	v_add_co_ci_u32_e64 v3, null, 0, v3, s2
	v_sub_co_u32 v2, s2, v2, s4
	v_subrev_co_ci_u32_e64 v3, null, s5, v3, s2
	v_add_co_u32 v2, s2, v2, 16
	v_add_co_ci_u32_e64 v3, null, 0, v3, s2
	v_cndmask_b32_e32 v6, v2, v6, vcc_lo
	v_cndmask_b32_e32 v7, v3, v7, vcc_lo
.LBB56_29:
	v_lshlrev_b32_e32 v15, 2, v13
	v_mul_u32_u24_e32 v17, 0x210, v10
	s_mov_b32 s2, 0
	s_waitcnt lgkmcnt(0)
	s_barrier
	v_cmp_ge_u32_e64 s3, v15, v10
	buffer_gl0_inv
                                        ; implicit-def: $vgpr11
	s_and_saveexec_b32 s4, s3
	s_xor_b32 s4, exec_lo, s4
	s_cbranch_execz .LBB56_33
; %bb.30:
	s_mov_b32 s5, exec_lo
                                        ; implicit-def: $vgpr11
	v_cmpx_eq_u32_e64 v15, v10
	s_xor_b32 s5, exec_lo, s5
; %bb.31:
	v_add_nc_u32_e32 v11, v14, v17
	s_mov_b32 s2, exec_lo
; %bb.32:
	s_or_b32 exec_lo, exec_lo, s5
	s_and_b32 s2, s2, exec_lo
.LBB56_33:
	s_or_saveexec_b32 s4, s4
	v_mov_b32_e32 v4, 0
	v_lshl_or_b32 v8, v10, 9, v14
	v_mov_b32_e32 v5, 0
	v_mad_u32_u24 v9, 0x840, v13, v14
	s_xor_b32 exec_lo, exec_lo, s4
	s_cbranch_execz .LBB56_35
; %bb.34:
	ds_read_b128 v[2:5], v9
	v_lshl_add_u32 v11, v15, 4, v8
	s_or_b32 s2, s2, exec_lo
	s_waitcnt lgkmcnt(0)
	v_xor_b32_e32 v5, 0x80000000, v5
	ds_write_b64 v11, v[2:3]
.LBB56_35:
	s_or_b32 exec_lo, exec_lo, s4
	s_and_saveexec_b32 s4, s2
; %bb.36:
	ds_write_b64 v11, v[4:5] offset:8
; %bb.37:
	s_or_b32 exec_lo, exec_lo, s4
	v_or_b32_e32 v19, 1, v15
	s_mov_b32 s2, 0
                                        ; implicit-def: $vgpr12
	v_cmp_ge_u32_e64 s4, v19, v10
	s_and_saveexec_b32 s5, s4
	s_xor_b32 s5, exec_lo, s5
	s_cbranch_execz .LBB56_41
; %bb.38:
	s_mov_b32 s7, exec_lo
                                        ; implicit-def: $vgpr12
	v_cmpx_eq_u32_e64 v19, v10
; %bb.39:
	v_add_nc_u32_e32 v12, v14, v17
	s_mov_b32 s2, exec_lo
; %bb.40:
	s_or_b32 exec_lo, exec_lo, s7
	s_and_b32 s2, s2, exec_lo
.LBB56_41:
	s_or_saveexec_b32 s5, s5
	v_mov_b32_e32 v4, 0
	v_mov_b32_e32 v5, 0
	v_mad_u32_u24 v11, 0x210, v19, v14
	s_xor_b32 exec_lo, exec_lo, s5
	s_cbranch_execz .LBB56_43
; %bb.42:
	ds_read_b128 v[2:5], v11
	v_lshl_add_u32 v16, v15, 4, v8
	s_or_b32 s2, s2, exec_lo
	v_add_nc_u32_e32 v12, 16, v16
	s_waitcnt lgkmcnt(0)
	v_xor_b32_e32 v5, 0x80000000, v5
	ds_write_b64 v16, v[2:3] offset:16
.LBB56_43:
	s_or_b32 exec_lo, exec_lo, s5
	s_and_saveexec_b32 s5, s2
; %bb.44:
	ds_write_b64 v12, v[4:5] offset:8
; %bb.45:
	s_or_b32 exec_lo, exec_lo, s5
	v_or_b32_e32 v20, 2, v15
	s_mov_b32 s2, 0
                                        ; implicit-def: $vgpr12
	v_cmp_ge_u32_e64 s5, v20, v10
	s_and_saveexec_b32 s7, s5
	s_xor_b32 s7, exec_lo, s7
	s_cbranch_execz .LBB56_49
; %bb.46:
	s_mov_b32 s9, exec_lo
                                        ; implicit-def: $vgpr12
	v_cmpx_eq_u32_e64 v20, v10
; %bb.47:
	v_add_nc_u32_e32 v12, v14, v17
	s_mov_b32 s2, exec_lo
; %bb.48:
	s_or_b32 exec_lo, exec_lo, s9
	s_and_b32 s2, s2, exec_lo
.LBB56_49:
	s_or_saveexec_b32 s7, s7
	v_mov_b32_e32 v4, 0
	v_mov_b32_e32 v5, 0
	s_xor_b32 exec_lo, exec_lo, s7
	s_cbranch_execz .LBB56_51
; %bb.50:
	v_mad_u32_u24 v2, 0x210, v20, v14
	v_lshl_add_u32 v16, v15, 4, v8
	s_or_b32 s2, s2, exec_lo
	ds_read_b128 v[2:5], v2
	v_add_nc_u32_e32 v12, 32, v16
	s_waitcnt lgkmcnt(0)
	v_xor_b32_e32 v5, 0x80000000, v5
	ds_write_b64 v16, v[2:3] offset:32
.LBB56_51:
	s_or_b32 exec_lo, exec_lo, s7
	s_and_saveexec_b32 s7, s2
; %bb.52:
	ds_write_b64 v12, v[4:5] offset:8
; %bb.53:
	s_or_b32 exec_lo, exec_lo, s7
	v_or_b32_e32 v21, 3, v15
	s_mov_b32 s2, 0
                                        ; implicit-def: $vgpr12
	v_cmp_ge_u32_e64 s7, v21, v10
	s_and_saveexec_b32 s9, s7
	s_xor_b32 s9, exec_lo, s9
	s_cbranch_execz .LBB56_57
; %bb.54:
	s_mov_b32 s23, exec_lo
                                        ; implicit-def: $vgpr12
	v_cmpx_eq_u32_e64 v21, v10
; %bb.55:
	v_add_nc_u32_e32 v12, v14, v17
	s_mov_b32 s2, exec_lo
; %bb.56:
	s_or_b32 exec_lo, exec_lo, s23
	s_and_b32 s2, s2, exec_lo
                                        ; implicit-def: $vgpr8
.LBB56_57:
	s_or_saveexec_b32 s9, s9
	v_mov_b32_e32 v4, 0
	v_mov_b32_e32 v5, 0
	s_xor_b32 exec_lo, exec_lo, s9
	s_cbranch_execz .LBB56_59
; %bb.58:
	v_mad_u32_u24 v2, 0x210, v21, v14
	v_lshl_add_u32 v8, v15, 4, v8
	s_or_b32 s2, s2, exec_lo
	ds_read_b128 v[2:5], v2
	v_add_nc_u32_e32 v12, 48, v8
	s_waitcnt lgkmcnt(0)
	v_xor_b32_e32 v5, 0x80000000, v5
	ds_write_b64 v8, v[2:3] offset:48
.LBB56_59:
	s_or_b32 exec_lo, exec_lo, s9
	s_and_saveexec_b32 s9, s2
; %bb.60:
	ds_write_b64 v12, v[4:5] offset:8
; %bb.61:
	s_or_b32 exec_lo, exec_lo, s9
	v_lshlrev_b32_e32 v8, 4, v15
	s_waitcnt lgkmcnt(0)
	s_barrier
	buffer_gl0_inv
	ds_read_b128 v[2:5], v9
	ds_read_b128 v[22:25], v8 offset:18176
	ds_read_b128 v[26:29], v11
	ds_read_b128 v[30:33], v11 offset:1056
	ds_read_b128 v[34:37], v8 offset:18192
	;; [unrolled: 1-line block ×4, first 2 shown]
	v_cmp_gt_u32_e64 s2, 32, v44
	s_waitcnt lgkmcnt(5)
	v_mul_f64 v[42:43], v[24:25], v[4:5]
	v_mul_f64 v[4:5], v[22:23], v[4:5]
	s_waitcnt lgkmcnt(2)
	v_mul_f64 v[11:12], v[36:37], v[28:29]
	v_mul_f64 v[28:29], v[34:35], v[28:29]
	v_fma_f64 v[22:23], v[22:23], v[2:3], -v[42:43]
	v_fma_f64 v[24:25], v[24:25], v[2:3], v[4:5]
	s_waitcnt lgkmcnt(0)
	v_mul_f64 v[42:43], v[51:52], v[47:48]
	v_mul_f64 v[47:48], v[49:50], v[47:48]
	v_fma_f64 v[11:12], v[34:35], v[26:27], -v[11:12]
	v_fma_f64 v[26:27], v[36:37], v[26:27], v[28:29]
	ds_read_b128 v[2:5], v8 offset:18224
	s_waitcnt lgkmcnt(0)
	s_barrier
	buffer_gl0_inv
	v_add_f64 v[22:23], v[22:23], 0
	v_add_f64 v[24:25], v[24:25], 0
	v_fma_f64 v[34:35], v[49:50], v[45:46], -v[42:43]
	v_fma_f64 v[36:37], v[51:52], v[45:46], v[47:48]
	v_mul_f64 v[28:29], v[4:5], v[32:33]
	v_mul_f64 v[32:33], v[2:3], v[32:33]
	v_add_f64 v[11:12], v[22:23], v[11:12]
	v_add_f64 v[22:23], v[24:25], v[26:27]
	v_fma_f64 v[2:3], v[2:3], v[30:31], -v[28:29]
	v_fma_f64 v[4:5], v[4:5], v[30:31], v[32:33]
	v_add_f64 v[11:12], v[11:12], v[34:35]
	v_add_f64 v[24:25], v[22:23], v[36:37]
	;; [unrolled: 1-line block ×4, first 2 shown]
	v_mul_u32_u24_e32 v2, 33, v10
	v_mov_b32_e32 v4, 0
	v_mov_b32_e32 v5, 0
	v_lshlrev_b32_e32 v45, 4, v2
	v_mov_b32_e32 v2, 0
	v_mov_b32_e32 v3, 0
	v_lshl_add_u32 v46, v13, 4, v45
	ds_write_b128 v46, v[22:25]
	s_waitcnt lgkmcnt(0)
	s_barrier
	buffer_gl0_inv
	s_and_saveexec_b32 s9, s2
	s_cbranch_execz .LBB56_63
; %bb.62:
	ds_read_b128 v[2:5], v45
	ds_read_b128 v[22:25], v45 offset:16
	s_waitcnt lgkmcnt(0)
	v_add_f64 v[11:12], v[22:23], v[2:3]
	v_add_f64 v[26:27], v[24:25], v[4:5]
	ds_read_b128 v[2:5], v45 offset:32
	ds_read_b128 v[22:25], v45 offset:48
	s_waitcnt lgkmcnt(1)
	v_add_f64 v[2:3], v[11:12], v[2:3]
	v_add_f64 v[4:5], v[26:27], v[4:5]
	s_waitcnt lgkmcnt(0)
	v_add_f64 v[11:12], v[2:3], v[22:23]
	v_add_f64 v[26:27], v[4:5], v[24:25]
	ds_read_b128 v[2:5], v45 offset:64
	ds_read_b128 v[22:25], v45 offset:80
	s_waitcnt lgkmcnt(1)
	v_add_f64 v[2:3], v[11:12], v[2:3]
	v_add_f64 v[4:5], v[26:27], v[4:5]
	s_waitcnt lgkmcnt(0)
	v_add_f64 v[11:12], v[2:3], v[22:23]
	v_add_f64 v[26:27], v[4:5], v[24:25]
	ds_read_b128 v[2:5], v45 offset:96
	ds_read_b128 v[22:25], v45 offset:112
	s_waitcnt lgkmcnt(1)
	v_add_f64 v[2:3], v[11:12], v[2:3]
	v_add_f64 v[4:5], v[26:27], v[4:5]
	s_waitcnt lgkmcnt(0)
	v_add_f64 v[2:3], v[2:3], v[22:23]
	v_add_f64 v[4:5], v[4:5], v[24:25]
.LBB56_63:
	s_or_b32 exec_lo, exec_lo, s9
	s_lshl_b64 s[24:25], s[12:13], 9
	v_cndmask_b32_e64 v22, 0, 1, s8
	v_add_co_u32 v6, vcc_lo, v6, s24
	v_add_co_ci_u32_e64 v7, null, s25, v7, vcc_lo
	v_mad_u32_u24 v16, 0x210, v13, v14
	v_add_co_u32 v11, vcc_lo, 0x200, v6
	v_add_co_ci_u32_e64 v12, null, 0, v7, vcc_lo
	s_andn2_b32 vcc_lo, exec_lo, s8
	s_mov_b32 s8, -1
	s_barrier
	buffer_gl0_inv
	s_cbranch_vccnz .LBB56_65
; %bb.64:
	flat_load_dwordx4 v[23:26], v[11:12]
	s_lshl_b64 s[8:9], s[12:13], 7
	v_add_nc_u32_e32 v9, 0x1080, v16
	v_add_co_u32 v27, vcc_lo, v6, s8
	v_add_co_ci_u32_e64 v28, null, s9, v7, vcc_lo
	s_waitcnt vmcnt(0) lgkmcnt(0)
	ds_write2_b64 v16, v[23:24], v[25:26] offset1:1
	flat_load_dwordx4 v[23:26], v[27:28] offset:512
	v_add_co_u32 v27, vcc_lo, v27, s8
	v_add_co_ci_u32_e64 v28, null, s9, v28, vcc_lo
	s_waitcnt vmcnt(0) lgkmcnt(0)
	ds_write2_b64 v9, v[23:24], v[25:26] offset1:1
	flat_load_dwordx4 v[23:26], v[27:28] offset:512
	v_add_co_u32 v27, vcc_lo, v27, s8
	v_add_nc_u32_e32 v9, 0x2100, v16
	v_add_co_ci_u32_e64 v28, null, s9, v28, vcc_lo
	s_mov_b32 s8, 0
	s_waitcnt vmcnt(0) lgkmcnt(0)
	ds_write2_b64 v9, v[23:24], v[25:26] offset1:1
	flat_load_dwordx4 v[23:26], v[27:28] offset:512
	v_add_nc_u32_e32 v9, 0x3180, v16
	s_waitcnt vmcnt(0) lgkmcnt(0)
	ds_write2_b64 v9, v[23:24], v[25:26] offset1:1
.LBB56_65:
	s_andn2_b32 vcc_lo, exec_lo, s8
	s_cbranch_vccnz .LBB56_83
; %bb.66:
	v_lshlrev_b32_e32 v9, 4, v10
	s_ashr_i32 s23, s22, 31
	v_or_b32_e32 v18, 32, v10
	s_lshl_b64 s[24:25], s[22:23], 4
	s_sub_i32 s9, s22, 32
	v_sub_co_u32 v6, vcc_lo, v6, v9
	v_subrev_co_ci_u32_e64 v7, null, 0, v7, vcc_lo
	v_cmp_le_i32_e64 s8, s9, v13
	v_add_co_u32 v6, vcc_lo, v6, s24
	v_add_co_ci_u32_e64 v7, null, s25, v7, vcc_lo
	v_add_co_u32 v6, vcc_lo, v6, -16
	v_add_co_ci_u32_e64 v7, null, -1, v7, vcc_lo
	v_cmp_gt_i32_e32 vcc_lo, s22, v18
	v_cndmask_b32_e32 v7, v7, v12, vcc_lo
	v_cndmask_b32_e32 v6, v6, v11, vcc_lo
	s_and_saveexec_b32 s23, s8
	s_xor_b32 s8, exec_lo, s23
	s_cbranch_execz .LBB56_68
; %bb.67:
	v_mov_b32_e32 v23, 0
	v_mov_b32_e32 v24, v23
	;; [unrolled: 1-line block ×4, first 2 shown]
	ds_write_b128 v16, v[23:26]
.LBB56_68:
	s_andn2_saveexec_b32 s8, s8
	s_cbranch_execz .LBB56_70
; %bb.69:
	flat_load_dwordx4 v[23:26], v[6:7]
	s_waitcnt vmcnt(0) lgkmcnt(0)
	ds_write2_b64 v16, v[23:24], v[25:26] offset1:1
.LBB56_70:
	s_or_b32 exec_lo, exec_lo, s8
	v_add_nc_u32_e32 v23, 8, v13
	v_mul_u32_u24_e32 v18, 0x210, v13
	v_cmp_le_i32_e64 s8, s9, v23
	s_and_saveexec_b32 s23, s8
	s_xor_b32 s8, exec_lo, s23
	s_cbranch_execz .LBB56_72
; %bb.71:
	v_mov_b32_e32 v23, 0
	v_add_nc_u32_e32 v27, v18, v14
	v_mov_b32_e32 v24, v23
	v_mov_b32_e32 v25, v23
	;; [unrolled: 1-line block ×3, first 2 shown]
	ds_write_b128 v27, v[23:26] offset:4224
.LBB56_72:
	s_andn2_saveexec_b32 s23, s8
	s_cbranch_execz .LBB56_74
; %bb.73:
	s_lshl_b64 s[30:31], s[12:13], 7
	v_add3_u32 v27, v18, v14, 0x1080
	v_add_co_u32 v23, s8, v6, s30
	v_add_co_ci_u32_e64 v24, null, s31, v7, s8
	flat_load_dwordx4 v[23:26], v[23:24]
	s_waitcnt vmcnt(0) lgkmcnt(0)
	ds_write2_b64 v27, v[23:24], v[25:26] offset1:1
.LBB56_74:
	s_or_b32 exec_lo, exec_lo, s23
	v_add_nc_u32_e32 v23, 16, v13
	v_cmp_le_i32_e64 s8, s9, v23
	s_and_saveexec_b32 s23, s8
	s_xor_b32 s8, exec_lo, s23
	s_cbranch_execz .LBB56_76
; %bb.75:
	v_mov_b32_e32 v23, 0
	v_add_nc_u32_e32 v27, v18, v14
	v_mov_b32_e32 v24, v23
	v_mov_b32_e32 v25, v23
	;; [unrolled: 1-line block ×3, first 2 shown]
	ds_write_b128 v27, v[23:26] offset:8448
.LBB56_76:
	s_andn2_saveexec_b32 s23, s8
	s_cbranch_execz .LBB56_78
; %bb.77:
	s_lshl_b64 s[30:31], s[12:13], 8
	v_add3_u32 v27, v18, v14, 0x2100
	v_add_co_u32 v23, s8, v6, s30
	v_add_co_ci_u32_e64 v24, null, s31, v7, s8
	flat_load_dwordx4 v[23:26], v[23:24]
	s_waitcnt vmcnt(0) lgkmcnt(0)
	ds_write2_b64 v27, v[23:24], v[25:26] offset1:1
.LBB56_78:
	s_or_b32 exec_lo, exec_lo, s23
	v_add_nc_u32_e32 v23, 24, v13
	v_cmp_le_i32_e64 s8, s9, v23
	s_and_saveexec_b32 s9, s8
	s_xor_b32 s8, exec_lo, s9
	s_cbranch_execz .LBB56_80
; %bb.79:
	v_mov_b32_e32 v23, 0
	v_add_nc_u32_e32 v18, v18, v14
	v_mov_b32_e32 v24, v23
	v_mov_b32_e32 v25, v23
	;; [unrolled: 1-line block ×3, first 2 shown]
	ds_write_b128 v18, v[23:26] offset:12672
                                        ; implicit-def: $vgpr18
.LBB56_80:
	s_andn2_saveexec_b32 s8, s8
	s_cbranch_execz .LBB56_82
; %bb.81:
	v_mad_u64_u32 v[23:24], null, 0x180, s12, v[6:7]
	v_add3_u32 v18, v18, v14, 0x3180
	v_mad_u64_u32 v[24:25], null, 0x180, s13, v[24:25]
	flat_load_dwordx4 v[23:26], v[23:24]
	s_waitcnt vmcnt(0) lgkmcnt(0)
	ds_write2_b64 v18, v[23:24], v[25:26] offset1:1
.LBB56_82:
	s_or_b32 exec_lo, exec_lo, s8
	v_add_co_u32 v6, s8, v6, v9
	v_add_co_ci_u32_e64 v7, null, 0, v7, s8
	v_sub_co_u32 v6, s8, v6, s24
	v_subrev_co_ci_u32_e64 v7, null, s25, v7, s8
	v_add_co_u32 v6, s8, 0x210, v6
	v_add_co_ci_u32_e64 v7, null, 0, v7, s8
	v_cndmask_b32_e32 v11, v6, v11, vcc_lo
	v_cndmask_b32_e32 v12, v7, v12, vcc_lo
.LBB56_83:
	v_mul_u32_u24_e32 v6, 0x840, v13
	v_add_nc_u32_e32 v18, 0x4700, v8
	v_mul_u32_u24_e32 v24, 0x210, v19
	s_lshl_b64 s[8:9], s[12:13], 5
	s_mov_b32 s23, 0
	s_waitcnt lgkmcnt(0)
	s_barrier
	buffer_gl0_inv
                                        ; implicit-def: $vgpr25
	s_and_saveexec_b32 s24, s3
	s_xor_b32 s3, exec_lo, s24
	s_cbranch_execz .LBB56_87
; %bb.84:
	s_mov_b32 s24, exec_lo
                                        ; implicit-def: $vgpr25
	v_cmpx_eq_u32_e64 v15, v10
	s_xor_b32 s24, exec_lo, s24
; %bb.85:
	s_mov_b32 s23, exec_lo
	v_add_nc_u32_e32 v25, v14, v17
; %bb.86:
	s_or_b32 exec_lo, exec_lo, s24
	s_and_b32 s23, s23, exec_lo
.LBB56_87:
	s_or_saveexec_b32 s3, s3
	v_mov_b32_e32 v8, 0
	v_mov_b32_e32 v9, 0
	v_add_nc_u32_e32 v23, v14, v6
	s_xor_b32 exec_lo, exec_lo, s3
	s_cbranch_execz .LBB56_89
; %bb.88:
	ds_read_b128 v[6:9], v23
	v_lshl_add_u32 v25, v15, 4, v45
	s_or_b32 s23, s23, exec_lo
	s_waitcnt lgkmcnt(0)
	v_xor_b32_e32 v9, 0x80000000, v9
	ds_write_b64 v25, v[6:7]
.LBB56_89:
	s_or_b32 exec_lo, exec_lo, s3
	s_and_saveexec_b32 s3, s23
; %bb.90:
	ds_write_b64 v25, v[8:9] offset:8
; %bb.91:
	s_or_b32 exec_lo, exec_lo, s3
	s_mov_b32 s3, 0
                                        ; implicit-def: $vgpr25
	s_and_saveexec_b32 s23, s4
	s_xor_b32 s4, exec_lo, s23
	s_cbranch_execz .LBB56_95
; %bb.92:
	s_mov_b32 s23, exec_lo
                                        ; implicit-def: $vgpr25
	v_cmpx_eq_u32_e64 v19, v10
; %bb.93:
	v_add_nc_u32_e32 v25, v14, v17
	s_mov_b32 s3, exec_lo
; %bb.94:
	s_or_b32 exec_lo, exec_lo, s23
	s_and_b32 s3, s3, exec_lo
.LBB56_95:
	s_or_saveexec_b32 s4, s4
	v_mov_b32_e32 v8, 0
	v_mov_b32_e32 v9, 0
	v_add_nc_u32_e32 v19, v14, v24
	s_xor_b32 exec_lo, exec_lo, s4
	s_cbranch_execz .LBB56_97
; %bb.96:
	ds_read_b128 v[6:9], v19
	v_lshl_add_u32 v24, v15, 4, v45
	s_or_b32 s3, s3, exec_lo
	v_add_nc_u32_e32 v25, 16, v24
	s_waitcnt lgkmcnt(0)
	v_xor_b32_e32 v9, 0x80000000, v9
	ds_write_b64 v24, v[6:7] offset:16
.LBB56_97:
	s_or_b32 exec_lo, exec_lo, s4
	s_and_saveexec_b32 s4, s3
; %bb.98:
	ds_write_b64 v25, v[8:9] offset:8
; %bb.99:
	s_or_b32 exec_lo, exec_lo, s4
	s_mov_b32 s3, 0
                                        ; implicit-def: $vgpr24
	s_and_saveexec_b32 s4, s5
	s_xor_b32 s4, exec_lo, s4
	s_cbranch_execz .LBB56_103
; %bb.100:
	s_mov_b32 s5, exec_lo
                                        ; implicit-def: $vgpr24
	v_cmpx_eq_u32_e64 v20, v10
; %bb.101:
	v_add_nc_u32_e32 v24, v14, v17
	s_mov_b32 s3, exec_lo
; %bb.102:
	s_or_b32 exec_lo, exec_lo, s5
	s_and_b32 s3, s3, exec_lo
.LBB56_103:
	s_or_saveexec_b32 s4, s4
	v_mov_b32_e32 v8, 0
	v_mov_b32_e32 v9, 0
	s_xor_b32 exec_lo, exec_lo, s4
	s_cbranch_execz .LBB56_105
; %bb.104:
	ds_read_b128 v[6:9], v19 offset:528
	v_lshl_add_u32 v20, v15, 4, v45
	s_or_b32 s3, s3, exec_lo
	v_add_nc_u32_e32 v24, 32, v20
	s_waitcnt lgkmcnt(0)
	v_xor_b32_e32 v9, 0x80000000, v9
	ds_write_b64 v20, v[6:7] offset:32
.LBB56_105:
	s_or_b32 exec_lo, exec_lo, s4
	s_and_saveexec_b32 s4, s3
; %bb.106:
	ds_write_b64 v24, v[8:9] offset:8
; %bb.107:
	s_or_b32 exec_lo, exec_lo, s4
	s_mov_b32 s3, 0
                                        ; implicit-def: $vgpr20
	s_and_saveexec_b32 s4, s7
	s_xor_b32 s4, exec_lo, s4
	s_cbranch_execz .LBB56_111
; %bb.108:
	s_mov_b32 s5, exec_lo
                                        ; implicit-def: $vgpr20
	v_cmpx_eq_u32_e64 v21, v10
; %bb.109:
	v_add_nc_u32_e32 v20, v14, v17
	s_mov_b32 s3, exec_lo
; %bb.110:
	s_or_b32 exec_lo, exec_lo, s5
	s_and_b32 s3, s3, exec_lo
.LBB56_111:
	s_or_saveexec_b32 s4, s4
	v_mov_b32_e32 v8, 0
	v_mov_b32_e32 v9, 0
	s_xor_b32 exec_lo, exec_lo, s4
	s_cbranch_execz .LBB56_113
; %bb.112:
	ds_read_b128 v[6:9], v19 offset:1056
	v_lshl_add_u32 v17, v15, 4, v45
	s_or_b32 s3, s3, exec_lo
	v_add_nc_u32_e32 v20, 48, v17
	s_waitcnt lgkmcnt(0)
	v_xor_b32_e32 v9, 0x80000000, v9
	ds_write_b64 v17, v[6:7] offset:48
.LBB56_113:
	s_or_b32 exec_lo, exec_lo, s4
	s_and_saveexec_b32 s4, s3
; %bb.114:
	ds_write_b64 v20, v[8:9] offset:8
; %bb.115:
	s_or_b32 exec_lo, exec_lo, s4
	s_waitcnt lgkmcnt(0)
	s_barrier
	buffer_gl0_inv
	ds_read_b128 v[6:9], v23
	ds_read_b128 v[23:26], v18 offset:512
	ds_read_b128 v[27:30], v18 offset:528
	ds_read_b128 v[31:34], v19
	ds_read_b128 v[47:50], v19 offset:1056
	ds_read_b128 v[51:54], v18 offset:544
	;; [unrolled: 1-line block ×3, first 2 shown]
	v_cmp_eq_u32_e64 s3, 1, v13
	s_waitcnt lgkmcnt(5)
	v_mul_f64 v[20:21], v[25:26], v[8:9]
	v_mul_f64 v[8:9], v[23:24], v[8:9]
	s_waitcnt lgkmcnt(3)
	v_mul_f64 v[35:36], v[29:30], v[33:34]
	v_mul_f64 v[33:34], v[27:28], v[33:34]
	s_waitcnt lgkmcnt(0)
	v_mul_f64 v[42:43], v[51:52], v[57:58]
	v_fma_f64 v[19:20], v[23:24], v[6:7], -v[20:21]
	v_fma_f64 v[23:24], v[25:26], v[6:7], v[8:9]
	v_mul_f64 v[25:26], v[53:54], v[57:58]
	v_fma_f64 v[27:28], v[27:28], v[31:32], -v[35:36]
	v_fma_f64 v[29:30], v[29:30], v[31:32], v[33:34]
	ds_read_b128 v[6:9], v18 offset:560
	v_fma_f64 v[35:36], v[53:54], v[55:56], v[42:43]
	s_waitcnt lgkmcnt(0)
	s_barrier
	buffer_gl0_inv
	v_add_f64 v[19:20], v[19:20], 0
	v_add_f64 v[23:24], v[23:24], 0
	v_fma_f64 v[25:26], v[51:52], v[55:56], -v[25:26]
	v_mul_f64 v[31:32], v[8:9], v[49:50]
	v_mul_f64 v[33:34], v[6:7], v[49:50]
	v_add_f64 v[19:20], v[19:20], v[27:28]
	v_add_f64 v[23:24], v[23:24], v[29:30]
	v_fma_f64 v[6:7], v[6:7], v[47:48], -v[31:32]
	v_fma_f64 v[8:9], v[8:9], v[47:48], v[33:34]
	v_add_f64 v[19:20], v[19:20], v[25:26]
	v_add_f64 v[23:24], v[23:24], v[35:36]
	;; [unrolled: 1-line block ×4, first 2 shown]
	ds_write_b128 v46, v[6:9]
	s_waitcnt lgkmcnt(0)
	s_barrier
	buffer_gl0_inv
	s_and_saveexec_b32 s4, s3
	s_cbranch_execz .LBB56_117
; %bb.116:
	ds_read_b128 v[2:5], v45
	ds_read_b128 v[6:9], v45 offset:16
	s_waitcnt lgkmcnt(0)
	v_add_f64 v[19:20], v[6:7], v[2:3]
	v_add_f64 v[23:24], v[8:9], v[4:5]
	ds_read_b128 v[2:5], v45 offset:32
	ds_read_b128 v[6:9], v45 offset:48
	s_waitcnt lgkmcnt(1)
	v_add_f64 v[2:3], v[19:20], v[2:3]
	v_add_f64 v[4:5], v[23:24], v[4:5]
	s_waitcnt lgkmcnt(0)
	v_add_f64 v[19:20], v[2:3], v[6:7]
	v_add_f64 v[23:24], v[4:5], v[8:9]
	ds_read_b128 v[2:5], v45 offset:64
	ds_read_b128 v[6:9], v45 offset:80
	s_waitcnt lgkmcnt(1)
	v_add_f64 v[2:3], v[19:20], v[2:3]
	v_add_f64 v[4:5], v[23:24], v[4:5]
	;; [unrolled: 8-line block ×3, first 2 shown]
	s_waitcnt lgkmcnt(0)
	v_add_f64 v[2:3], v[2:3], v[6:7]
	v_add_f64 v[4:5], v[4:5], v[8:9]
.LBB56_117:
	s_or_b32 exec_lo, exec_lo, s4
	s_lshl_b64 s[4:5], s[8:9], 4
	v_cmp_ne_u32_e32 vcc_lo, 1, v22
	v_sub_co_u32 v42, s4, v11, s4
	v_subrev_co_ci_u32_e64 v43, null, s5, v12, s4
	s_barrier
	buffer_gl0_inv
	s_cbranch_vccnz .LBB56_119
; %bb.118:
	flat_load_dwordx4 v[6:9], v[42:43]
	s_lshl_b64 s[4:5], s[12:13], 7
	s_movk_i32 s7, 0x1080
	v_add_co_u32 v11, vcc_lo, v42, s4
	v_add_co_ci_u32_e64 v12, null, s5, v43, vcc_lo
	s_waitcnt vmcnt(0) lgkmcnt(0)
	ds_write2_b64 v16, v[6:7], v[8:9] offset1:1
	flat_load_dwordx4 v[19:22], v[11:12]
	v_add_nc_u32_e32 v8, 8, v13
	v_add_co_u32 v11, vcc_lo, v11, s4
	v_add_co_ci_u32_e64 v12, null, s5, v12, vcc_lo
	v_mad_u32_u24 v6, 0x210, v8, v14
	v_add_nc_u32_e32 v9, 16, v13
	s_waitcnt vmcnt(0) lgkmcnt(0)
	ds_write2_b64 v6, v[19:20], v[21:22] offset1:1
	flat_load_dwordx4 v[19:22], v[11:12]
	v_mad_u32_u24 v6, 0x210, v8, s7
	v_add_co_u32 v11, vcc_lo, v11, s4
	v_add_co_ci_u32_e64 v12, null, s5, v12, vcc_lo
	v_add_nc_u32_e32 v7, v14, v6
	s_movk_i32 s4, 0x2100
	s_waitcnt vmcnt(0) lgkmcnt(0)
	ds_write2_b64 v7, v[19:20], v[21:22] offset1:1
	flat_load_dwordx4 v[19:22], v[11:12]
	v_mad_u32_u24 v12, 0x210, v8, s4
	v_mul_u32_u24_e32 v7, 0x210, v8
	v_add_nc_u32_e32 v11, 24, v13
	v_add_nc_u32_e32 v17, v14, v12
	s_waitcnt vmcnt(0) lgkmcnt(0)
	ds_write2_b64 v17, v[19:20], v[21:22] offset1:1
	s_cbranch_execz .LBB56_120
	s_branch .LBB56_137
.LBB56_119:
                                        ; implicit-def: $vgpr8
                                        ; implicit-def: $vgpr7
                                        ; implicit-def: $vgpr9
                                        ; implicit-def: $vgpr6
                                        ; implicit-def: $vgpr11
                                        ; implicit-def: $vgpr12
.LBB56_120:
	v_or_b32_e32 v6, 32, v10
	s_ashr_i32 s23, s22, 31
	v_cmp_le_i32_e64 s4, s22, v13
	s_lshl_b64 s[8:9], s[22:23], 4
	v_lshlrev_b32_e32 v7, 4, v6
	v_sub_co_u32 v7, vcc_lo, v42, v7
	v_subrev_co_ci_u32_e64 v8, null, 0, v43, vcc_lo
	v_add_co_u32 v7, vcc_lo, v7, s8
	v_add_co_ci_u32_e64 v8, null, s9, v8, vcc_lo
	v_add_co_u32 v9, vcc_lo, v7, -16
	v_add_co_ci_u32_e64 v7, null, -1, v8, vcc_lo
	v_cmp_gt_i32_e32 vcc_lo, s22, v6
	v_cndmask_b32_e32 v7, v7, v43, vcc_lo
	v_cndmask_b32_e32 v6, v9, v42, vcc_lo
	s_and_saveexec_b32 s5, s4
	s_xor_b32 s4, exec_lo, s5
	s_cbranch_execz .LBB56_122
; %bb.121:
	v_mov_b32_e32 v19, 0
	v_mov_b32_e32 v20, v19
	;; [unrolled: 1-line block ×4, first 2 shown]
	ds_write_b128 v16, v[19:22]
.LBB56_122:
	s_andn2_saveexec_b32 s4, s4
	s_cbranch_execz .LBB56_124
; %bb.123:
	flat_load_dwordx4 v[19:22], v[6:7]
	s_waitcnt vmcnt(0) lgkmcnt(0)
	ds_write2_b64 v16, v[19:20], v[21:22] offset1:1
.LBB56_124:
	s_or_b32 exec_lo, exec_lo, s4
	v_add_nc_u32_e32 v8, 8, v13
	v_cmp_le_i32_e64 s4, s22, v8
	s_and_saveexec_b32 s5, s4
	s_xor_b32 s4, exec_lo, s5
	s_cbranch_execz .LBB56_126
; %bb.125:
	v_mov_b32_e32 v19, 0
	v_mad_u32_u24 v9, 0x210, v8, v14
	v_mov_b32_e32 v20, v19
	v_mov_b32_e32 v21, v19
	;; [unrolled: 1-line block ×3, first 2 shown]
	ds_write_b128 v9, v[19:22]
.LBB56_126:
	s_andn2_saveexec_b32 s5, s4
	s_cbranch_execz .LBB56_128
; %bb.127:
	s_lshl_b64 s[24:25], s[12:13], 7
	v_mad_u32_u24 v9, 0x210, v8, v14
	v_add_co_u32 v11, s4, v6, s24
	v_add_co_ci_u32_e64 v12, null, s25, v7, s4
	flat_load_dwordx4 v[19:22], v[11:12]
	s_waitcnt vmcnt(0) lgkmcnt(0)
	ds_write2_b64 v9, v[19:20], v[21:22] offset1:1
.LBB56_128:
	s_or_b32 exec_lo, exec_lo, s5
	v_add_nc_u32_e32 v9, 16, v13
	v_cmp_le_i32_e64 s4, s22, v9
	s_and_saveexec_b32 s5, s4
	s_xor_b32 s4, exec_lo, s5
	s_cbranch_execz .LBB56_130
; %bb.129:
	v_mov_b32_e32 v19, 0
	v_mad_u32_u24 v11, 0x210, v9, v14
	v_mov_b32_e32 v20, v19
	v_mov_b32_e32 v21, v19
	v_mov_b32_e32 v22, v19
	ds_write_b128 v11, v[19:22]
.LBB56_130:
	s_andn2_saveexec_b32 s5, s4
	s_cbranch_execz .LBB56_132
; %bb.131:
	s_lshl_b64 s[24:25], s[12:13], 8
	v_add_co_u32 v11, s4, v6, s24
	v_add_co_ci_u32_e64 v12, null, s25, v7, s4
	flat_load_dwordx4 v[19:22], v[11:12]
	v_mad_u32_u24 v11, 0x210, v9, v14
	s_waitcnt vmcnt(0) lgkmcnt(0)
	ds_write2_b64 v11, v[19:20], v[21:22] offset1:1
.LBB56_132:
	s_or_b32 exec_lo, exec_lo, s5
	v_add_nc_u32_e32 v11, 24, v13
                                        ; implicit-def: $vgpr12
	v_cmp_le_i32_e64 s4, s22, v11
	s_and_saveexec_b32 s5, s4
	s_xor_b32 s4, exec_lo, s5
	s_cbranch_execz .LBB56_134
; %bb.133:
	v_mov_b32_e32 v19, 0
	v_mad_u32_u24 v17, 0x210, v11, v14
	v_mul_u32_u24_e32 v12, 0x210, v11
	v_mov_b32_e32 v20, v19
	v_mov_b32_e32 v21, v19
	;; [unrolled: 1-line block ×3, first 2 shown]
	ds_write_b128 v17, v[19:22]
.LBB56_134:
	s_andn2_saveexec_b32 s4, s4
	s_cbranch_execz .LBB56_136
; %bb.135:
	v_mad_u64_u32 v[19:20], null, 0x180, s12, v[6:7]
	v_mad_u32_u24 v17, 0x210, v11, v14
	v_mov_b32_e32 v12, v20
	v_mad_u64_u32 v[20:21], null, 0x180, s13, v[12:13]
	v_mul_u32_u24_e32 v12, 0x210, v11
	flat_load_dwordx4 v[19:22], v[19:20]
	s_waitcnt vmcnt(0) lgkmcnt(0)
	ds_write2_b64 v17, v[19:20], v[21:22] offset1:1
.LBB56_136:
	s_or_b32 exec_lo, exec_lo, s4
	v_lshlrev_b32_e32 v10, 4, v10
	v_add_co_u32 v6, s4, v6, v10
	v_add_co_ci_u32_e64 v7, null, 0, v7, s4
	v_sub_co_u32 v6, s4, v6, s8
	v_subrev_co_ci_u32_e64 v7, null, s9, v7, s4
	v_add_co_u32 v6, s4, 0x210, v6
	v_add_co_ci_u32_e64 v10, null, 0, v7, s4
	s_movk_i32 s4, 0x1080
	v_mul_u32_u24_e32 v7, 0x210, v8
	v_cndmask_b32_e32 v42, v6, v42, vcc_lo
	v_cndmask_b32_e32 v43, v10, v43, vcc_lo
	v_mad_u32_u24 v6, 0x210, v8, s4
.LBB56_137:
	v_lshlrev_b32_e32 v10, 4, v13
	s_waitcnt lgkmcnt(0)
	s_barrier
	buffer_gl0_inv
	v_lshlrev_b32_e32 v8, 4, v8
	ds_read_b128 v[19:22], v10 offset:18176
	ds_read_b128 v[23:26], v16
	v_add_nc_u32_e32 v7, v14, v7
	ds_read_b128 v[27:30], v8 offset:18176
	ds_read_b128 v[31:34], v7
	v_lshlrev_b32_e32 v7, 4, v9
	v_add_nc_u32_e32 v10, v14, v6
	ds_read_b128 v[6:9], v7 offset:18176
	ds_read_b128 v[47:50], v10
	v_lshlrev_b32_e32 v10, 4, v11
	v_add_nc_u32_e32 v14, v14, v12
	s_waitcnt lgkmcnt(4)
	v_mul_f64 v[16:17], v[21:22], v[25:26]
	v_mul_f64 v[25:26], v[19:20], v[25:26]
	s_waitcnt lgkmcnt(2)
	v_mul_f64 v[35:36], v[29:30], v[33:34]
	v_mul_f64 v[33:34], v[27:28], v[33:34]
	v_fma_f64 v[16:17], v[19:20], v[23:24], -v[16:17]
	v_fma_f64 v[23:24], v[21:22], v[23:24], v[25:26]
	s_waitcnt lgkmcnt(0)
	v_mul_f64 v[25:26], v[8:9], v[49:50]
	v_mul_f64 v[49:50], v[6:7], v[49:50]
	ds_read_b128 v[10:13], v10 offset:18176
	ds_read2_b64 v[19:22], v14 offset1:1
	v_fma_f64 v[27:28], v[27:28], v[31:32], -v[35:36]
	v_fma_f64 v[29:30], v[29:30], v[31:32], v[33:34]
	v_lshl_add_u32 v14, v15, 4, v45
	v_add_f64 v[16:17], v[16:17], 0
	v_add_f64 v[23:24], v[23:24], 0
	s_waitcnt lgkmcnt(0)
	v_mul_f64 v[31:32], v[12:13], v[21:22]
	v_mul_f64 v[21:22], v[10:11], v[21:22]
	v_fma_f64 v[6:7], v[6:7], v[47:48], -v[25:26]
	v_fma_f64 v[8:9], v[8:9], v[47:48], v[49:50]
	v_add_f64 v[16:17], v[16:17], v[27:28]
	v_add_f64 v[23:24], v[23:24], v[29:30]
	v_fma_f64 v[10:11], v[10:11], v[19:20], -v[31:32]
	v_fma_f64 v[12:13], v[12:13], v[19:20], v[21:22]
	v_add_f64 v[6:7], v[16:17], v[6:7]
	v_add_f64 v[8:9], v[23:24], v[8:9]
	ds_read_b128 v[30:33], v18 offset:512
	ds_read_b128 v[22:25], v18 offset:528
	v_add_f64 v[47:48], v[6:7], v[10:11]
	v_add_f64 v[49:50], v[8:9], v[12:13]
	ds_read_b128 v[10:13], v18 offset:544
	ds_read_b128 v[6:9], v18 offset:560
	ds_read_b128 v[34:37], v14
	ds_read_b128 v[26:29], v14 offset:16
	ds_read_b128 v[18:21], v14 offset:32
	;; [unrolled: 1-line block ×3, first 2 shown]
	s_waitcnt lgkmcnt(0)
	s_barrier
	buffer_gl0_inv
	ds_write_b128 v46, v[47:50]
	s_waitcnt lgkmcnt(0)
	s_barrier
	buffer_gl0_inv
	s_and_saveexec_b32 s4, s3
	s_cbranch_execz .LBB56_139
; %bb.138:
	ds_read_b128 v[47:50], v45
	ds_read_b128 v[51:54], v45 offset:16
	s_waitcnt lgkmcnt(1)
	v_add_f64 v[2:3], v[2:3], v[47:48]
	v_add_f64 v[4:5], v[4:5], v[49:50]
	s_waitcnt lgkmcnt(0)
	v_add_f64 v[51:52], v[2:3], v[51:52]
	v_add_f64 v[53:54], v[4:5], v[53:54]
	ds_read_b128 v[2:5], v45 offset:32
	ds_read_b128 v[47:50], v45 offset:48
	s_waitcnt lgkmcnt(1)
	v_add_f64 v[2:3], v[51:52], v[2:3]
	v_add_f64 v[4:5], v[53:54], v[4:5]
	s_waitcnt lgkmcnt(0)
	v_add_f64 v[51:52], v[2:3], v[47:48]
	v_add_f64 v[53:54], v[4:5], v[49:50]
	ds_read_b128 v[2:5], v45 offset:64
	;; [unrolled: 8-line block ×3, first 2 shown]
	ds_read_b128 v[47:50], v45 offset:112
	s_waitcnt lgkmcnt(1)
	v_add_f64 v[2:3], v[51:52], v[2:3]
	v_add_f64 v[4:5], v[53:54], v[4:5]
	s_waitcnt lgkmcnt(0)
	v_add_f64 v[2:3], v[2:3], v[47:48]
	v_add_f64 v[4:5], v[4:5], v[49:50]
.LBB56_139:
	s_or_b32 exec_lo, exec_lo, s4
	v_mul_f64 v[47:48], v[36:37], v[32:33]
	v_mul_f64 v[36:37], v[36:37], v[30:31]
	;; [unrolled: 1-line block ×4, first 2 shown]
	s_barrier
	buffer_gl0_inv
	v_fma_f64 v[30:31], v[34:35], v[30:31], v[47:48]
	v_fma_f64 v[32:33], v[34:35], v[32:33], -v[36:37]
	v_mul_f64 v[34:35], v[20:21], v[12:13]
	v_mul_f64 v[20:21], v[20:21], v[10:11]
	v_fma_f64 v[22:23], v[26:27], v[22:23], v[49:50]
	v_fma_f64 v[24:25], v[26:27], v[24:25], -v[28:29]
	v_add_f64 v[26:27], v[30:31], 0
	v_add_f64 v[28:29], v[32:33], 0
	v_mul_f64 v[30:31], v[16:17], v[8:9]
	v_mul_f64 v[16:17], v[16:17], v[6:7]
	v_fma_f64 v[10:11], v[18:19], v[10:11], v[34:35]
	v_fma_f64 v[12:13], v[18:19], v[12:13], -v[20:21]
	v_add_f64 v[18:19], v[26:27], v[22:23]
	v_add_f64 v[20:21], v[28:29], v[24:25]
	v_fma_f64 v[6:7], v[14:15], v[6:7], v[30:31]
	v_fma_f64 v[8:9], v[14:15], v[8:9], -v[16:17]
	v_add_f64 v[10:11], v[18:19], v[10:11]
	v_add_f64 v[12:13], v[20:21], v[12:13]
	;; [unrolled: 1-line block ×4, first 2 shown]
	ds_write_b128 v46, v[6:9]
	s_waitcnt lgkmcnt(0)
	s_barrier
	buffer_gl0_inv
	s_and_saveexec_b32 s3, s2
	s_cbranch_execz .LBB56_141
; %bb.140:
	ds_read_b128 v[6:9], v45
	ds_read_b128 v[10:13], v45 offset:16
	s_waitcnt lgkmcnt(1)
	v_add_f64 v[2:3], v[2:3], v[6:7]
	v_add_f64 v[4:5], v[4:5], v[8:9]
	s_waitcnt lgkmcnt(0)
	v_add_f64 v[10:11], v[2:3], v[10:11]
	v_add_f64 v[12:13], v[4:5], v[12:13]
	ds_read_b128 v[2:5], v45 offset:32
	ds_read_b128 v[6:9], v45 offset:48
	s_waitcnt lgkmcnt(1)
	v_add_f64 v[2:3], v[10:11], v[2:3]
	v_add_f64 v[4:5], v[12:13], v[4:5]
	s_waitcnt lgkmcnt(0)
	v_add_f64 v[10:11], v[2:3], v[6:7]
	v_add_f64 v[12:13], v[4:5], v[8:9]
	ds_read_b128 v[2:5], v45 offset:64
	;; [unrolled: 8-line block ×3, first 2 shown]
	ds_read_b128 v[6:9], v45 offset:112
	s_waitcnt lgkmcnt(1)
	v_add_f64 v[2:3], v[10:11], v[2:3]
	v_add_f64 v[4:5], v[12:13], v[4:5]
	s_waitcnt lgkmcnt(0)
	v_add_f64 v[2:3], v[2:3], v[6:7]
	v_add_f64 v[4:5], v[4:5], v[8:9]
.LBB56_141:
	s_or_b32 exec_lo, exec_lo, s3
	s_mul_hi_u32 s2, s17, s16
	s_mul_i32 s27, s27, s16
	s_mul_i32 s3, s17, s16
	s_add_i32 s2, s2, s27
	s_mul_hi_u32 s5, s3, s26
	s_mul_i32 s4, s2, s26
	s_mul_i32 s2, s3, s26
	s_add_i32 s3, s5, s4
	s_mul_i32 s4, s17, s6
	s_lshl_b64 s[2:3], s[2:3], 4
	v_cmp_le_i32_e32 vcc_lo, s22, v0
	s_add_u32 s7, s18, s2
	s_addc_u32 s8, s19, s3
	s_ashr_i32 s5, s4, 31
	v_lshlrev_b32_e32 v144, 4, v0
	s_lshl_b64 s[2:3], s[4:5], 4
	s_add_u32 s7, s7, s2
	s_addc_u32 s8, s8, s3
	s_and_b32 vcc_lo, s28, vcc_lo
	s_cmp_lt_i32 s6, 1
	s_barrier
	buffer_gl0_inv
	s_cbranch_scc1 .LBB56_148
; %bb.142:
	v_lshlrev_b32_e32 v8, 2, v1
	s_ashr_i32 s23, s22, 31
	v_lshrrev_b32_e32 v9, 4, v44
	s_mul_i32 s3, s10, s21
	s_mul_hi_u32 s5, s10, s20
	v_mad_u64_u32 v[6:7], null, s12, v8, 0
	v_and_b32_e32 v10, 15, v0
	s_mul_i32 s9, s11, s20
	s_add_i32 s3, s5, s3
	s_mul_i32 s4, s10, s20
	s_add_i32 s5, s3, s9
	v_or_b32_e32 v12, 0xf0, v144
	v_mad_u64_u32 v[7:8], null, s13, v8, v[7:8]
	v_sub_co_u32 v8, s2, v42, s14
	v_subrev_co_ci_u32_e64 v11, null, s15, v43, s2
	s_lshl_b64 s[14:15], s[22:23], 4
	v_add_co_u32 v8, s2, 0xfffffe00, v8
	v_add_co_ci_u32_e64 v11, null, -1, v11, s2
	v_lshlrev_b64 v[6:7], 4, v[6:7]
	v_sub_co_u32 v8, s2, v8, v40
	v_sub_co_ci_u32_e64 v11, null, v11, v41, s2
	s_lshl_b64 s[4:5], s[4:5], 4
	v_add_co_u32 v6, s2, v8, v6
	v_add_co_ci_u32_e64 v7, null, v11, v7, s2
	v_mov_b32_e32 v141, 0
	v_add_co_u32 v8, s2, v6, s14
	v_add_co_ci_u32_e64 v11, null, s15, v7, s2
	v_add_co_u32 v6, s2, v6, v144
	v_add_co_ci_u32_e64 v7, null, 0, v7, s2
	v_add_co_u32 v8, s2, v8, -16
	v_add_co_ci_u32_e64 v11, null, -1, v11, s2
	v_sub_co_u32 v145, s2, v38, s4
	v_cndmask_b32_e32 v6, v6, v8, vcc_lo
	v_cndmask_b32_e32 v7, v7, v11, vcc_lo
	v_and_b32_e32 v8, 48, v0
	v_lshlrev_b32_e32 v11, 6, v9
	v_mul_i32_i24_e32 v9, 0xffffffd0, v9
	v_subrev_co_ci_u32_e64 v146, null, s5, v39, s2
	v_lshlrev_b32_e32 v8, 4, v8
	v_mad_u32_u24 v151, 0x430, v10, v11
	v_add_nc_u32_e32 v147, 0x4300, v144
	v_lshl_add_u32 v148, v1, 6, 0x4300
	v_add_nc_u32_e32 v149, 0x4700, v144
	v_mad_u32_u24 v150, 0x10c0, v1, v144
	v_cmp_gt_u32_e64 s2, 64, v44
	v_mad_u32_u24 v152, 0x430, v10, v8
	v_mad_u32_u24 v153, 0x430, v10, v12
	v_add_nc_u32_e32 v154, v151, v9
	s_mul_i32 s3, s13, 0xd0
	s_mul_hi_u32 s9, s12, 0xd0
	s_lshl_b64 s[4:5], s[12:13], 4
	s_add_i32 s9, s9, s3
	s_mulk_i32 s12, 0xd0
	s_mov_b32 s13, 0
	s_branch .LBB56_144
.LBB56_143:                             ;   in Loop: Header=BB56_144 Depth=1
	s_or_b32 exec_lo, exec_lo, s14
	v_mul_f64 v[86:87], v[16:17], v[28:29]
	v_mul_f64 v[28:29], v[14:15], v[28:29]
	;; [unrolled: 1-line block ×4, first 2 shown]
	s_add_i32 s6, s6, -1
	s_add_i32 s13, s13, 64
	s_cmp_eq_u32 s6, 0
	s_waitcnt_vscnt null, 0x0
	s_barrier
	buffer_gl0_inv
	v_fma_f64 v[14:15], v[14:15], v[26:27], -v[86:87]
	v_fma_f64 v[16:17], v[16:17], v[26:27], v[28:29]
	v_mul_f64 v[26:27], v[12:13], v[32:33]
	v_mul_f64 v[28:29], v[10:11], v[32:33]
	v_fma_f64 v[18:19], v[18:19], v[22:23], -v[88:89]
	v_fma_f64 v[20:21], v[20:21], v[22:23], v[24:25]
	v_add_f64 v[2:3], v[2:3], v[14:15]
	v_add_f64 v[4:5], v[4:5], v[16:17]
	v_mul_f64 v[14:15], v[8:9], v[48:49]
	v_mul_f64 v[16:17], v[6:7], v[48:49]
	v_fma_f64 v[10:11], v[10:11], v[30:31], -v[26:27]
	v_fma_f64 v[12:13], v[12:13], v[30:31], v[28:29]
	v_add_f64 v[2:3], v[2:3], v[18:19]
	v_add_f64 v[4:5], v[4:5], v[20:21]
	;; [unrolled: 6-line block ×14, first 2 shown]
	v_fma_f64 v[6:7], v[102:103], v[122:123], -v[6:7]
	v_fma_f64 v[8:9], v[104:105], v[122:123], v[8:9]
	v_add_f64 v[2:3], v[2:3], v[10:11]
	v_add_f64 v[4:5], v[4:5], v[12:13]
	;; [unrolled: 1-line block ×4, first 2 shown]
	v_add_co_u32 v6, s3, v142, s12
	v_add_co_ci_u32_e64 v7, null, s9, v143, s3
	s_cbranch_scc1 .LBB56_148
.LBB56_144:                             ; =>This Inner Loop Header: Depth=1
	s_and_saveexec_b32 s14, s1
	s_cbranch_execz .LBB56_146
; %bb.145:                              ;   in Loop: Header=BB56_144 Depth=1
	s_mul_i32 s3, s11, s13
	s_mul_hi_u32 s15, s10, s13
	s_mul_i32 s16, s10, s13
	s_add_i32 s17, s15, s3
	s_lshl_b64 s[16:17], s[16:17], 4
	v_add_co_u32 v8, s3, v145, s16
	v_add_co_ci_u32_e64 v9, null, s17, v146, s3
	flat_load_dwordx4 v[8:11], v[8:9]
	s_waitcnt vmcnt(0) lgkmcnt(0)
	ds_write2_b64 v147, v[8:9], v[10:11] offset1:1
.LBB56_146:                             ;   in Loop: Header=BB56_144 Depth=1
	s_or_b32 exec_lo, exec_lo, s14
	v_add_co_u32 v8, s3, v6, s4
	v_add_co_ci_u32_e64 v9, null, s5, v7, s3
	s_waitcnt lgkmcnt(0)
	v_add_co_u32 v10, s3, v8, s4
	v_add_co_ci_u32_e64 v11, null, s5, v9, s3
	s_barrier
	v_add_co_u32 v26, s3, v10, s4
	buffer_gl0_inv
	flat_load_dwordx4 v[14:17], v[6:7]
	v_add_co_ci_u32_e64 v27, null, s5, v11, s3
	s_clause 0x2
	flat_load_dwordx4 v[18:21], v[8:9]
	flat_load_dwordx4 v[10:13], v[10:11]
	;; [unrolled: 1-line block ×3, first 2 shown]
	ds_read_b128 v[22:25], v149
	v_add_co_u32 v54, s3, v26, s12
	v_add_co_ci_u32_e64 v55, null, s9, v27, s3
	v_add_co_u32 v56, s3, v54, s4
	v_add_co_ci_u32_e64 v57, null, s5, v55, s3
	v_add_co_u32 v58, s3, v56, s4
	v_add_co_ci_u32_e64 v59, null, s5, v57, s3
	v_add_co_u32 v70, s3, v58, s4
	v_add_co_ci_u32_e64 v71, null, s5, v59, s3
	v_add_co_u32 v90, s3, v70, s12
	v_add_co_ci_u32_e64 v91, null, s9, v71, s3
	v_add_co_u32 v92, s3, v90, s4
	v_add_co_ci_u32_e64 v93, null, s5, v91, s3
	v_add_co_u32 v94, s3, v92, s4
	v_add_co_ci_u32_e64 v95, null, s5, v93, s3
	v_add_co_u32 v106, s3, v94, s4
	v_add_co_ci_u32_e64 v107, null, s5, v95, s3
	v_add_co_u32 v126, s3, v106, s12
	v_add_co_ci_u32_e64 v127, null, s9, v107, s3
	v_add_co_u32 v128, s3, v126, s4
	v_add_co_ci_u32_e64 v129, null, s5, v127, s3
	v_add_co_u32 v130, s3, v128, s4
	v_add_co_ci_u32_e64 v131, null, s5, v129, s3
	v_add_co_u32 v142, s3, v130, s4
	v_add_co_ci_u32_e64 v143, null, s5, v131, s3
	s_waitcnt vmcnt(3) lgkmcnt(0)
	v_mul_f64 v[28:29], v[16:17], v[24:25]
	v_mul_f64 v[30:31], v[16:17], v[22:23]
	s_waitcnt vmcnt(2)
	v_mul_f64 v[32:33], v[20:21], v[24:25]
	v_mul_f64 v[40:41], v[20:21], v[22:23]
	s_waitcnt vmcnt(1)
	;; [unrolled: 3-line block ×3, first 2 shown]
	v_mul_f64 v[46:47], v[8:9], v[24:25]
	v_mul_f64 v[48:49], v[8:9], v[22:23]
	v_fma_f64 v[34:35], v[14:15], v[22:23], v[28:29]
	v_fma_f64 v[36:37], v[14:15], v[24:25], -v[30:31]
	v_fma_f64 v[38:39], v[18:19], v[22:23], v[32:33]
	v_fma_f64 v[40:41], v[18:19], v[24:25], -v[40:41]
	;; [unrolled: 2-line block ×4, first 2 shown]
	ds_read_b128 v[26:29], v148
	ds_read_b128 v[22:25], v148 offset:16
	ds_read_b128 v[30:33], v148 offset:32
	;; [unrolled: 1-line block ×3, first 2 shown]
	ds_write_b128 v150, v[34:37]
	ds_write_b128 v150, v[38:41] offset:1072
	ds_write_b128 v150, v[42:45] offset:2144
	ds_write_b128 v150, v[50:53] offset:3216
	s_waitcnt lgkmcnt(0)
	s_barrier
	buffer_gl0_inv
	ds_read_b128 v[122:125], v151
	ds_read_b128 v[155:158], v151 offset:16
	ds_read_b128 v[159:162], v151 offset:32
	;; [unrolled: 1-line block ×3, first 2 shown]
	s_waitcnt lgkmcnt(0)
	s_barrier
	buffer_gl0_inv
	s_clause 0x3
	flat_load_dwordx4 v[50:53], v[54:55]
	flat_load_dwordx4 v[42:45], v[56:57]
	;; [unrolled: 1-line block ×4, first 2 shown]
	ds_read_b128 v[54:57], v149
	v_add_f64 v[207:208], v[122:123], 0
	v_add_f64 v[209:210], v[124:125], 0
	s_waitcnt vmcnt(2) lgkmcnt(0)
	v_mul_f64 v[62:63], v[44:45], v[56:57]
	v_mul_f64 v[58:59], v[52:53], v[56:57]
	;; [unrolled: 1-line block ×4, first 2 shown]
	s_waitcnt vmcnt(1)
	v_mul_f64 v[66:67], v[40:41], v[56:57]
	v_mul_f64 v[68:69], v[40:41], v[54:55]
	s_waitcnt vmcnt(0)
	v_mul_f64 v[72:73], v[36:37], v[56:57]
	v_mul_f64 v[74:75], v[36:37], v[54:55]
	v_fma_f64 v[62:63], v[42:43], v[54:55], v[62:63]
	v_fma_f64 v[58:59], v[50:51], v[54:55], v[58:59]
	v_fma_f64 v[60:61], v[50:51], v[56:57], -v[60:61]
	v_fma_f64 v[64:65], v[42:43], v[56:57], -v[64:65]
	v_fma_f64 v[66:67], v[38:39], v[54:55], v[66:67]
	v_fma_f64 v[68:69], v[38:39], v[56:57], -v[68:69]
	v_fma_f64 v[54:55], v[34:35], v[54:55], v[72:73]
	v_fma_f64 v[56:57], v[34:35], v[56:57], -v[74:75]
	ds_read_b128 v[82:85], v148 offset:256
	ds_read_b128 v[78:81], v148 offset:272
	;; [unrolled: 1-line block ×4, first 2 shown]
	ds_write_b128 v150, v[58:61]
	ds_write_b128 v150, v[62:65] offset:1072
	ds_write_b128 v150, v[66:69] offset:2144
	;; [unrolled: 1-line block ×3, first 2 shown]
	s_waitcnt lgkmcnt(0)
	s_barrier
	buffer_gl0_inv
	ds_read_b128 v[163:166], v151
	ds_read_b128 v[167:170], v151 offset:16
	ds_read_b128 v[171:174], v151 offset:32
	;; [unrolled: 1-line block ×3, first 2 shown]
	s_waitcnt lgkmcnt(0)
	s_barrier
	buffer_gl0_inv
	s_clause 0x2
	flat_load_dwordx4 v[66:69], v[90:91]
	flat_load_dwordx4 v[62:65], v[92:93]
	;; [unrolled: 1-line block ×4, first 2 shown]
	ds_read_b128 v[90:93], v149
	v_add_f64 v[163:164], v[163:164], 0
	v_add_f64 v[165:166], v[165:166], 0
	;; [unrolled: 1-line block ×6, first 2 shown]
	s_waitcnt vmcnt(2) lgkmcnt(0)
	v_mul_f64 v[98:99], v[64:65], v[92:93]
	v_mul_f64 v[94:95], v[68:69], v[92:93]
	v_mul_f64 v[96:97], v[68:69], v[90:91]
	v_mul_f64 v[100:101], v[64:65], v[90:91]
	s_waitcnt vmcnt(1)
	v_mul_f64 v[102:103], v[60:61], v[92:93]
	v_mul_f64 v[104:105], v[60:61], v[90:91]
	s_waitcnt vmcnt(0)
	v_mul_f64 v[108:109], v[56:57], v[92:93]
	v_mul_f64 v[110:111], v[56:57], v[90:91]
	v_fma_f64 v[98:99], v[62:63], v[90:91], v[98:99]
	v_fma_f64 v[94:95], v[66:67], v[90:91], v[94:95]
	v_fma_f64 v[96:97], v[66:67], v[92:93], -v[96:97]
	v_fma_f64 v[100:101], v[62:63], v[92:93], -v[100:101]
	v_fma_f64 v[102:103], v[58:59], v[90:91], v[102:103]
	v_fma_f64 v[104:105], v[58:59], v[92:93], -v[104:105]
	v_fma_f64 v[90:91], v[54:55], v[90:91], v[108:109]
	v_fma_f64 v[92:93], v[54:55], v[92:93], -v[110:111]
	ds_read_b128 v[118:121], v148 offset:512
	ds_read_b128 v[114:117], v148 offset:528
	ds_read_b128 v[110:113], v148 offset:544
	ds_read_b128 v[106:109], v148 offset:560
	ds_write_b128 v150, v[94:97]
	ds_write_b128 v150, v[98:101] offset:1072
	ds_write_b128 v150, v[102:105] offset:2144
	;; [unrolled: 1-line block ×3, first 2 shown]
	s_waitcnt lgkmcnt(0)
	s_barrier
	buffer_gl0_inv
	ds_read_b128 v[179:182], v151
	ds_read_b128 v[183:186], v151 offset:16
	ds_read_b128 v[187:190], v151 offset:32
	;; [unrolled: 1-line block ×3, first 2 shown]
	s_waitcnt lgkmcnt(0)
	s_barrier
	buffer_gl0_inv
	flat_load_dwordx4 v[98:101], v[126:127]
	flat_load_dwordx4 v[94:97], v[128:129]
	;; [unrolled: 1-line block ×4, first 2 shown]
	ds_read_b128 v[126:129], v149
	v_add_f64 v[179:180], v[179:180], 0
	v_add_f64 v[181:182], v[181:182], 0
	;; [unrolled: 1-line block ×6, first 2 shown]
	s_waitcnt vmcnt(3) lgkmcnt(0)
	v_mul_f64 v[130:131], v[100:101], v[128:129]
	s_waitcnt vmcnt(2)
	v_mul_f64 v[134:135], v[96:97], v[128:129]
	v_mul_f64 v[132:133], v[100:101], v[126:127]
	;; [unrolled: 1-line block ×3, first 2 shown]
	s_waitcnt vmcnt(1)
	v_mul_f64 v[199:200], v[92:93], v[128:129]
	v_mul_f64 v[201:202], v[92:93], v[126:127]
	s_waitcnt vmcnt(0)
	v_mul_f64 v[203:204], v[104:105], v[128:129]
	v_fma_f64 v[130:131], v[98:99], v[126:127], v[130:131]
	v_fma_f64 v[195:196], v[94:95], v[126:127], v[134:135]
	v_mul_f64 v[134:135], v[104:105], v[126:127]
	v_fma_f64 v[132:133], v[98:99], v[128:129], -v[132:133]
	v_fma_f64 v[197:198], v[94:95], v[128:129], -v[136:137]
	v_fma_f64 v[199:200], v[90:91], v[126:127], v[199:200]
	v_fma_f64 v[201:202], v[90:91], v[128:129], -v[201:202]
	v_fma_f64 v[203:204], v[102:103], v[126:127], v[203:204]
	v_fma_f64 v[205:206], v[102:103], v[128:129], -v[134:135]
	ds_write_b128 v150, v[130:133]
	ds_read_b128 v[134:137], v148 offset:768
	ds_read_b128 v[130:133], v148 offset:784
	ds_write_b128 v150, v[195:198] offset:1072
	ds_write_b128 v150, v[199:202] offset:2144
	ds_read_b128 v[126:129], v148 offset:800
	ds_read_b128 v[122:125], v148 offset:816
	v_add_f64 v[199:200], v[207:208], v[155:156]
	v_add_f64 v[201:202], v[209:210], v[157:158]
	ds_write_b128 v150, v[203:206] offset:3216
	s_waitcnt lgkmcnt(0)
	s_barrier
	buffer_gl0_inv
	ds_read_b128 v[195:198], v151
	ds_read_b128 v[155:158], v151 offset:16
	v_add_f64 v[183:184], v[199:200], v[159:160]
	v_add_f64 v[185:186], v[201:202], v[161:162]
	ds_read_b128 v[159:162], v151 offset:48
	s_waitcnt lgkmcnt(2)
	v_add_f64 v[195:196], v[195:196], 0
	v_add_f64 v[197:198], v[197:198], 0
	;; [unrolled: 1-line block ×4, first 2 shown]
	s_waitcnt lgkmcnt(1)
	v_add_f64 v[179:180], v[195:196], v[155:156]
	v_add_f64 v[181:182], v[197:198], v[157:158]
	ds_read_b128 v[155:158], v151 offset:32
	s_waitcnt lgkmcnt(0)
	s_barrier
	buffer_gl0_inv
	v_add_f64 v[171:172], v[179:180], v[155:156]
	v_add_f64 v[173:174], v[181:182], v[157:158]
	;; [unrolled: 1-line block ×8, first 2 shown]
	ds_write_b128 v154, v[86:89]
	ds_write_b128 v154, v[155:158] offset:256
	ds_write_b128 v154, v[163:166] offset:512
	;; [unrolled: 1-line block ×3, first 2 shown]
	s_waitcnt lgkmcnt(0)
	s_barrier
	buffer_gl0_inv
	s_and_saveexec_b32 s14, s2
	s_cbranch_execz .LBB56_143
; %bb.147:                              ;   in Loop: Header=BB56_144 Depth=1
	ds_read_b128 v[86:89], v152
	ds_read_b128 v[155:158], v152 offset:16
	v_add_nc_u32_e32 v140, s13, v0
	s_waitcnt lgkmcnt(0)
	v_add_f64 v[159:160], v[155:156], v[86:87]
	v_add_f64 v[161:162], v[157:158], v[88:89]
	ds_read_b128 v[86:89], v152 offset:32
	ds_read_b128 v[155:158], v152 offset:48
	s_waitcnt lgkmcnt(1)
	v_add_f64 v[86:87], v[159:160], v[86:87]
	v_add_f64 v[88:89], v[161:162], v[88:89]
	s_waitcnt lgkmcnt(0)
	v_add_f64 v[159:160], v[86:87], v[155:156]
	v_add_f64 v[161:162], v[88:89], v[157:158]
	ds_read_b128 v[86:89], v152 offset:64
	ds_read_b128 v[155:158], v152 offset:80
	s_waitcnt lgkmcnt(1)
	v_add_f64 v[86:87], v[159:160], v[86:87]
	v_add_f64 v[88:89], v[161:162], v[88:89]
	s_waitcnt lgkmcnt(0)
	v_add_f64 v[159:160], v[86:87], v[155:156]
	v_add_f64 v[161:162], v[88:89], v[157:158]
	ds_read_b128 v[86:89], v152 offset:96
	ds_read_b128 v[155:158], v152 offset:112
	s_waitcnt lgkmcnt(1)
	v_add_f64 v[86:87], v[159:160], v[86:87]
	v_add_f64 v[88:89], v[161:162], v[88:89]
	s_waitcnt lgkmcnt(0)
	v_add_f64 v[159:160], v[86:87], v[155:156]
	v_add_f64 v[161:162], v[88:89], v[157:158]
	ds_read_b128 v[86:89], v152 offset:128
	ds_read_b128 v[155:158], v152 offset:144
	s_waitcnt lgkmcnt(1)
	v_add_f64 v[86:87], v[159:160], v[86:87]
	v_add_f64 v[88:89], v[161:162], v[88:89]
	s_waitcnt lgkmcnt(0)
	v_add_f64 v[159:160], v[86:87], v[155:156]
	v_add_f64 v[161:162], v[88:89], v[157:158]
	ds_read_b128 v[86:89], v152 offset:160
	ds_read_b128 v[155:158], v152 offset:176
	s_waitcnt lgkmcnt(1)
	v_add_f64 v[86:87], v[159:160], v[86:87]
	v_add_f64 v[88:89], v[161:162], v[88:89]
	s_waitcnt lgkmcnt(0)
	v_add_f64 v[159:160], v[86:87], v[155:156]
	v_add_f64 v[161:162], v[88:89], v[157:158]
	ds_read_b128 v[86:89], v152 offset:192
	ds_read_b128 v[155:158], v152 offset:208
	s_waitcnt lgkmcnt(1)
	v_add_f64 v[86:87], v[159:160], v[86:87]
	v_add_f64 v[88:89], v[161:162], v[88:89]
	s_waitcnt lgkmcnt(0)
	v_add_f64 v[159:160], v[86:87], v[155:156]
	v_add_f64 v[161:162], v[88:89], v[157:158]
	ds_read_b128 v[86:89], v152 offset:224
	ds_read_b128 v[155:158], v153
	s_waitcnt lgkmcnt(1)
	v_add_f64 v[86:87], v[159:160], v[86:87]
	v_add_f64 v[88:89], v[161:162], v[88:89]
	s_waitcnt lgkmcnt(0)
	v_add_f64 v[86:87], v[86:87], v[155:156]
	v_add_f64 v[88:89], v[88:89], v[157:158]
	v_lshlrev_b64 v[155:156], 4, v[140:141]
	v_add_co_u32 v155, s3, s7, v155
	v_add_co_ci_u32_e64 v156, null, s8, v156, s3
	global_store_dwordx4 v[155:156], v[86:89], off
	s_branch .LBB56_143
.LBB56_148:
	v_mad_u32_u24 v0, 0x430, v1, v144
	s_nor_b32 s0, s0, vcc_lo
	ds_write_b128 v0, v[2:5]
	s_waitcnt lgkmcnt(0)
	s_barrier
	buffer_gl0_inv
	s_and_saveexec_b32 s1, s0
	s_cbranch_execz .LBB56_150
; %bb.149:
	ds_read_b128 v[0:3], v144 offset:1072
	ds_read_b128 v[4:7], v144
	s_waitcnt lgkmcnt(0)
	v_add_f64 v[8:9], v[0:1], v[4:5]
	v_add_f64 v[10:11], v[2:3], v[6:7]
	ds_read_b128 v[0:3], v144 offset:2144
	ds_read_b128 v[4:7], v144 offset:3216
	s_waitcnt lgkmcnt(1)
	v_add_f64 v[0:1], v[8:9], v[0:1]
	v_add_f64 v[2:3], v[10:11], v[2:3]
	s_waitcnt lgkmcnt(0)
	v_add_f64 v[0:1], v[0:1], v[4:5]
	v_add_f64 v[2:3], v[2:3], v[6:7]
	v_lshlrev_b64 v[4:5], 4, v[138:139]
	v_add_co_u32 v4, vcc_lo, s7, v4
	v_add_co_ci_u32_e64 v5, null, s8, v5, vcc_lo
	global_store_dwordx4 v[4:5], v[0:3], off
.LBB56_150:
	s_endpgm
	.section	.rodata,"a",@progbits
	.p2align	6, 0x0
	.amdhsa_kernel _ZL26rocblas_hemvn_kernel_lowerILb1ELi64ELi4ELi33ELi32ELi16ElPK19rocblas_complex_numIdEPKS3_PS1_EviT6_lT7_lT5_lS8_lS9_lS7_lT8_i
		.amdhsa_group_segment_fixed_size 19200
		.amdhsa_private_segment_fixed_size 0
		.amdhsa_kernarg_size 376
		.amdhsa_user_sgpr_count 6
		.amdhsa_user_sgpr_private_segment_buffer 1
		.amdhsa_user_sgpr_dispatch_ptr 0
		.amdhsa_user_sgpr_queue_ptr 0
		.amdhsa_user_sgpr_kernarg_segment_ptr 1
		.amdhsa_user_sgpr_dispatch_id 0
		.amdhsa_user_sgpr_flat_scratch_init 0
		.amdhsa_user_sgpr_private_segment_size 0
		.amdhsa_wavefront_size32 1
		.amdhsa_uses_dynamic_stack 0
		.amdhsa_system_sgpr_private_segment_wavefront_offset 0
		.amdhsa_system_sgpr_workgroup_id_x 1
		.amdhsa_system_sgpr_workgroup_id_y 0
		.amdhsa_system_sgpr_workgroup_id_z 1
		.amdhsa_system_sgpr_workgroup_info 0
		.amdhsa_system_vgpr_workitem_id 1
		.amdhsa_next_free_vgpr 211
		.amdhsa_next_free_sgpr 32
		.amdhsa_reserve_vcc 1
		.amdhsa_reserve_flat_scratch 1
		.amdhsa_float_round_mode_32 0
		.amdhsa_float_round_mode_16_64 0
		.amdhsa_float_denorm_mode_32 3
		.amdhsa_float_denorm_mode_16_64 3
		.amdhsa_dx10_clamp 1
		.amdhsa_ieee_mode 1
		.amdhsa_fp16_overflow 0
		.amdhsa_workgroup_processor_mode 1
		.amdhsa_memory_ordered 1
		.amdhsa_forward_progress 1
		.amdhsa_shared_vgpr_count 0
		.amdhsa_exception_fp_ieee_invalid_op 0
		.amdhsa_exception_fp_denorm_src 0
		.amdhsa_exception_fp_ieee_div_zero 0
		.amdhsa_exception_fp_ieee_overflow 0
		.amdhsa_exception_fp_ieee_underflow 0
		.amdhsa_exception_fp_ieee_inexact 0
		.amdhsa_exception_int_div_zero 0
	.end_amdhsa_kernel
	.section	.text._ZL26rocblas_hemvn_kernel_lowerILb1ELi64ELi4ELi33ELi32ELi16ElPK19rocblas_complex_numIdEPKS3_PS1_EviT6_lT7_lT5_lS8_lS9_lS7_lT8_i,"axG",@progbits,_ZL26rocblas_hemvn_kernel_lowerILb1ELi64ELi4ELi33ELi32ELi16ElPK19rocblas_complex_numIdEPKS3_PS1_EviT6_lT7_lT5_lS8_lS9_lS7_lT8_i,comdat
.Lfunc_end56:
	.size	_ZL26rocblas_hemvn_kernel_lowerILb1ELi64ELi4ELi33ELi32ELi16ElPK19rocblas_complex_numIdEPKS3_PS1_EviT6_lT7_lT5_lS8_lS9_lS7_lT8_i, .Lfunc_end56-_ZL26rocblas_hemvn_kernel_lowerILb1ELi64ELi4ELi33ELi32ELi16ElPK19rocblas_complex_numIdEPKS3_PS1_EviT6_lT7_lT5_lS8_lS9_lS7_lT8_i
                                        ; -- End function
	.set _ZL26rocblas_hemvn_kernel_lowerILb1ELi64ELi4ELi33ELi32ELi16ElPK19rocblas_complex_numIdEPKS3_PS1_EviT6_lT7_lT5_lS8_lS9_lS7_lT8_i.num_vgpr, 211
	.set _ZL26rocblas_hemvn_kernel_lowerILb1ELi64ELi4ELi33ELi32ELi16ElPK19rocblas_complex_numIdEPKS3_PS1_EviT6_lT7_lT5_lS8_lS9_lS7_lT8_i.num_agpr, 0
	.set _ZL26rocblas_hemvn_kernel_lowerILb1ELi64ELi4ELi33ELi32ELi16ElPK19rocblas_complex_numIdEPKS3_PS1_EviT6_lT7_lT5_lS8_lS9_lS7_lT8_i.numbered_sgpr, 32
	.set _ZL26rocblas_hemvn_kernel_lowerILb1ELi64ELi4ELi33ELi32ELi16ElPK19rocblas_complex_numIdEPKS3_PS1_EviT6_lT7_lT5_lS8_lS9_lS7_lT8_i.num_named_barrier, 0
	.set _ZL26rocblas_hemvn_kernel_lowerILb1ELi64ELi4ELi33ELi32ELi16ElPK19rocblas_complex_numIdEPKS3_PS1_EviT6_lT7_lT5_lS8_lS9_lS7_lT8_i.private_seg_size, 0
	.set _ZL26rocblas_hemvn_kernel_lowerILb1ELi64ELi4ELi33ELi32ELi16ElPK19rocblas_complex_numIdEPKS3_PS1_EviT6_lT7_lT5_lS8_lS9_lS7_lT8_i.uses_vcc, 1
	.set _ZL26rocblas_hemvn_kernel_lowerILb1ELi64ELi4ELi33ELi32ELi16ElPK19rocblas_complex_numIdEPKS3_PS1_EviT6_lT7_lT5_lS8_lS9_lS7_lT8_i.uses_flat_scratch, 1
	.set _ZL26rocblas_hemvn_kernel_lowerILb1ELi64ELi4ELi33ELi32ELi16ElPK19rocblas_complex_numIdEPKS3_PS1_EviT6_lT7_lT5_lS8_lS9_lS7_lT8_i.has_dyn_sized_stack, 0
	.set _ZL26rocblas_hemvn_kernel_lowerILb1ELi64ELi4ELi33ELi32ELi16ElPK19rocblas_complex_numIdEPKS3_PS1_EviT6_lT7_lT5_lS8_lS9_lS7_lT8_i.has_recursion, 0
	.set _ZL26rocblas_hemvn_kernel_lowerILb1ELi64ELi4ELi33ELi32ELi16ElPK19rocblas_complex_numIdEPKS3_PS1_EviT6_lT7_lT5_lS8_lS9_lS7_lT8_i.has_indirect_call, 0
	.section	.AMDGPU.csdata,"",@progbits
; Kernel info:
; codeLenInByte = 10508
; TotalNumSgprs: 34
; NumVgprs: 211
; ScratchSize: 0
; MemoryBound: 0
; FloatMode: 240
; IeeeMode: 1
; LDSByteSize: 19200 bytes/workgroup (compile time only)
; SGPRBlocks: 0
; VGPRBlocks: 26
; NumSGPRsForWavesPerEU: 34
; NumVGPRsForWavesPerEU: 211
; Occupancy: 4
; WaveLimiterHint : 1
; COMPUTE_PGM_RSRC2:SCRATCH_EN: 0
; COMPUTE_PGM_RSRC2:USER_SGPR: 6
; COMPUTE_PGM_RSRC2:TRAP_HANDLER: 0
; COMPUTE_PGM_RSRC2:TGID_X_EN: 1
; COMPUTE_PGM_RSRC2:TGID_Y_EN: 0
; COMPUTE_PGM_RSRC2:TGID_Z_EN: 1
; COMPUTE_PGM_RSRC2:TIDIG_COMP_CNT: 1
	.section	.text._ZL36rocblas_hemvn_kernel_lower_block_sumILi64ElPK19rocblas_complex_numIdEPKPS1_S1_EviT1_lS7_lT2_lT0_lPT3_i,"axG",@progbits,_ZL36rocblas_hemvn_kernel_lower_block_sumILi64ElPK19rocblas_complex_numIdEPKPS1_S1_EviT1_lS7_lT2_lT0_lPT3_i,comdat
	.globl	_ZL36rocblas_hemvn_kernel_lower_block_sumILi64ElPK19rocblas_complex_numIdEPKPS1_S1_EviT1_lS7_lT2_lT0_lPT3_i ; -- Begin function _ZL36rocblas_hemvn_kernel_lower_block_sumILi64ElPK19rocblas_complex_numIdEPKPS1_S1_EviT1_lS7_lT2_lT0_lPT3_i
	.p2align	8
	.type	_ZL36rocblas_hemvn_kernel_lower_block_sumILi64ElPK19rocblas_complex_numIdEPKPS1_S1_EviT1_lS7_lT2_lT0_lPT3_i,@function
_ZL36rocblas_hemvn_kernel_lower_block_sumILi64ElPK19rocblas_complex_numIdEPKPS1_S1_EviT1_lS7_lT2_lT0_lPT3_i: ; @_ZL36rocblas_hemvn_kernel_lower_block_sumILi64ElPK19rocblas_complex_numIdEPKPS1_S1_EviT1_lS7_lT2_lT0_lPT3_i
; %bb.0:
	s_load_dwordx8 s[20:27], s[4:5], 0x8
	s_mov_b32 s16, s7
	s_waitcnt lgkmcnt(0)
	s_mul_i32 s1, s23, s7
	s_mul_hi_u32 s2, s22, s7
	s_mul_i32 s0, s22, s7
	s_add_i32 s1, s2, s1
	s_lshl_b64 s[0:1], s[0:1], 4
	s_add_u32 s0, s20, s0
	s_addc_u32 s1, s21, s1
	s_load_dwordx4 s[12:15], s[0:1], 0x0
	s_mul_i32 s0, s27, s7
	s_mul_hi_u32 s1, s26, s7
	s_add_i32 s1, s1, s0
	s_mul_i32 s0, s26, s7
	s_lshl_b64 s[0:1], s[0:1], 4
	s_add_u32 s0, s24, s0
	s_addc_u32 s1, s25, s1
	s_load_dwordx4 s[8:11], s[0:1], 0x0
	s_mov_b32 s1, -1
	s_waitcnt lgkmcnt(0)
	v_cmp_neq_f64_e64 s2, s[12:13], 0
	v_cmp_neq_f64_e64 s3, s[14:15], 0
	s_or_b32 s0, s2, s3
	s_and_b32 vcc_lo, exec_lo, s0
	s_cbranch_vccnz .LBB57_2
; %bb.1:
	v_cmp_neq_f64_e64 s1, s[8:9], 1.0
	v_cmp_neq_f64_e64 s2, s[10:11], 0
	s_or_b32 s1, s1, s2
.LBB57_2:
	s_andn2_b32 vcc_lo, exec_lo, s1
	s_cbranch_vccnz .LBB57_22
; %bb.3:
	s_clause 0x1
	s_load_dwordx2 s[20:21], s[4:5], 0x28
	s_load_dword s18, s[4:5], 0x0
	s_mov_b32 s17, 0
	s_xor_b32 s19, s0, -1
	s_lshl_b64 s[22:23], s[16:17], 3
	s_load_dwordx4 s[0:3], s[4:5], 0x30
	v_lshl_or_b32 v4, s6, 6, v0
	s_waitcnt lgkmcnt(0)
	s_add_u32 s20, s20, s22
	s_addc_u32 s21, s21, s23
	s_load_dwordx2 s[20:21], s[20:21], 0x0
	s_lshl_b64 s[22:23], s[0:1], 4
	v_cmp_gt_i32_e64 s0, s18, v4
	s_waitcnt lgkmcnt(0)
	s_add_u32 s7, s20, s22
	s_addc_u32 s20, s21, s23
	s_andn2_b32 vcc_lo, exec_lo, s19
	s_cbranch_vccnz .LBB57_8
; %bb.4:
	s_mov_b32 s1, 0
                                        ; implicit-def: $vgpr2_vgpr3
                                        ; implicit-def: $vgpr5_vgpr6
	s_and_saveexec_b32 s19, s0
	s_cbranch_execz .LBB57_9
; %bb.5:
	v_cmp_neq_f64_e64 s0, s[8:9], 0
	v_cmp_neq_f64_e64 s17, s[10:11], 0
	v_ashrrev_i32_e32 v0, 31, v4
	v_mul_lo_u32 v7, s3, v4
	v_mad_u64_u32 v[5:6], null, s2, v4, 0
	v_mov_b32_e32 v2, 0
	v_mul_lo_u32 v8, s2, v0
	v_mov_b32_e32 v0, 0
	v_mov_b32_e32 v3, 0
	;; [unrolled: 1-line block ×3, first 2 shown]
	v_add3_u32 v6, v6, v8, v7
	s_or_b32 s0, s0, s17
	s_andn2_b32 vcc_lo, exec_lo, s0
	s_cbranch_vccnz .LBB57_7
; %bb.6:
	v_lshlrev_b64 v[0:1], 4, v[5:6]
	v_add_co_u32 v0, vcc_lo, s7, v0
	v_add_co_ci_u32_e64 v1, null, s20, v1, vcc_lo
	flat_load_dwordx4 v[7:10], v[0:1]
	s_waitcnt vmcnt(0) lgkmcnt(0)
	v_mul_f64 v[0:1], s[10:11], v[9:10]
	v_mul_f64 v[2:3], s[8:9], v[9:10]
	v_fma_f64 v[0:1], s[8:9], v[7:8], -v[0:1]
	v_fma_f64 v[2:3], s[10:11], v[7:8], v[2:3]
.LBB57_7:
	s_mov_b32 s17, exec_lo
	s_or_b32 exec_lo, exec_lo, s19
	s_and_b32 vcc_lo, exec_lo, s1
	s_cbranch_vccnz .LBB57_10
	s_branch .LBB57_20
.LBB57_8:
                                        ; implicit-def: $vgpr2_vgpr3
                                        ; implicit-def: $vgpr5_vgpr6
	s_cbranch_execnz .LBB57_10
	s_branch .LBB57_20
.LBB57_9:
	s_or_b32 exec_lo, exec_lo, s19
	s_and_b32 vcc_lo, exec_lo, s1
	s_cbranch_vccz .LBB57_20
.LBB57_10:
	s_mov_b32 s21, exec_lo
                                        ; implicit-def: $vgpr2_vgpr3
                                        ; implicit-def: $vgpr5_vgpr6
	v_cmpx_gt_i32_e64 s18, v4
	s_cbranch_execz .LBB57_19
; %bb.11:
	s_load_dword s22, s[4:5], 0x58
	v_mov_b32_e32 v0, 0
	v_mov_b32_e32 v2, 0
	;; [unrolled: 1-line block ×4, first 2 shown]
	s_waitcnt lgkmcnt(0)
	s_cmp_ge_i32 s6, s22
	s_cbranch_scc1 .LBB57_14
; %bb.12:
	s_load_dwordx2 s[0:1], s[4:5], 0x48
	v_mad_u64_u32 v[0:1], null, s18, s6, v[4:5]
	s_ashr_i32 s19, s18, 31
	s_mul_hi_u32 s4, s18, s16
	s_mul_i32 s5, s19, s16
	s_mul_i32 s16, s18, s16
	s_add_i32 s4, s4, s5
	s_mul_hi_u32 s5, s16, s22
	v_ashrrev_i32_e32 v1, 31, v0
	s_mul_i32 s23, s4, s22
	s_mul_i32 s4, s16, s22
	s_add_i32 s5, s5, s23
	v_lshlrev_b64 v[2:3], 4, v[0:1]
	s_lshl_b64 s[4:5], s[4:5], 4
	v_mov_b32_e32 v0, 0
	v_mov_b32_e32 v1, 0
	s_waitcnt lgkmcnt(0)
	s_add_u32 s0, s0, s4
	s_addc_u32 s1, s1, s5
	v_add_co_u32 v5, vcc_lo, s0, v2
	v_add_co_ci_u32_e64 v6, null, s1, v3, vcc_lo
	v_mov_b32_e32 v2, 0
	v_add_co_u32 v5, vcc_lo, v5, 8
	v_mov_b32_e32 v3, 0
	v_add_co_ci_u32_e64 v6, null, 0, v6, vcc_lo
	s_lshl_b64 s[0:1], s[18:19], 4
.LBB57_13:                              ; =>This Inner Loop Header: Depth=1
	global_load_dwordx4 v[7:10], v[5:6], off offset:-8
	v_add_co_u32 v5, vcc_lo, v5, s0
	v_add_co_ci_u32_e64 v6, null, s1, v6, vcc_lo
	s_add_i32 s6, s6, 1
	s_cmp_ge_i32 s6, s22
	s_waitcnt vmcnt(0)
	v_add_f64 v[2:3], v[2:3], v[7:8]
	v_add_f64 v[0:1], v[0:1], v[9:10]
	s_cbranch_scc0 .LBB57_13
.LBB57_14:
	v_mul_f64 v[5:6], s[14:15], v[0:1]
	v_mul_f64 v[7:8], s[12:13], v[0:1]
	v_cmp_neq_f64_e64 s0, s[8:9], 0
	v_cmp_neq_f64_e64 s1, s[10:11], 0
	v_fma_f64 v[0:1], s[12:13], v[2:3], -v[5:6]
	v_fma_f64 v[2:3], s[14:15], v[2:3], v[7:8]
	v_ashrrev_i32_e32 v5, 31, v4
	v_mul_lo_u32 v7, s3, v4
	s_or_b32 s0, s0, s1
	s_andn2_b32 vcc_lo, exec_lo, s0
	v_mul_lo_u32 v8, s2, v5
	s_cbranch_vccz .LBB57_16
; %bb.15:
	v_mad_u64_u32 v[5:6], null, s2, v4, 0
	v_add3_u32 v6, v6, v8, v7
	s_cbranch_execz .LBB57_17
	s_branch .LBB57_18
.LBB57_16:
                                        ; implicit-def: $vgpr5_vgpr6
.LBB57_17:
	v_mad_u64_u32 v[5:6], null, s2, v4, 0
	v_add3_u32 v6, v6, v8, v7
	v_lshlrev_b64 v[7:8], 4, v[5:6]
	v_add_co_u32 v7, vcc_lo, s7, v7
	v_add_co_ci_u32_e64 v8, null, s20, v8, vcc_lo
	flat_load_dwordx4 v[7:10], v[7:8]
	s_waitcnt vmcnt(0) lgkmcnt(0)
	v_mul_f64 v[11:12], s[10:11], v[9:10]
	v_mul_f64 v[9:10], s[8:9], v[9:10]
	v_fma_f64 v[11:12], s[8:9], v[7:8], -v[11:12]
	v_fma_f64 v[7:8], s[10:11], v[7:8], v[9:10]
	v_add_f64 v[0:1], v[0:1], v[11:12]
	v_add_f64 v[2:3], v[2:3], v[7:8]
.LBB57_18:
	s_or_b32 s17, s17, exec_lo
.LBB57_19:
	s_or_b32 exec_lo, exec_lo, s21
.LBB57_20:
	s_and_saveexec_b32 s0, s17
	s_cbranch_execz .LBB57_22
; %bb.21:
	v_lshlrev_b64 v[4:5], 4, v[5:6]
	v_add_co_u32 v4, vcc_lo, s7, v4
	v_add_co_ci_u32_e64 v5, null, s20, v5, vcc_lo
	flat_store_dwordx4 v[4:5], v[0:3]
.LBB57_22:
	s_endpgm
	.section	.rodata,"a",@progbits
	.p2align	6, 0x0
	.amdhsa_kernel _ZL36rocblas_hemvn_kernel_lower_block_sumILi64ElPK19rocblas_complex_numIdEPKPS1_S1_EviT1_lS7_lT2_lT0_lPT3_i
		.amdhsa_group_segment_fixed_size 0
		.amdhsa_private_segment_fixed_size 0
		.amdhsa_kernarg_size 344
		.amdhsa_user_sgpr_count 6
		.amdhsa_user_sgpr_private_segment_buffer 1
		.amdhsa_user_sgpr_dispatch_ptr 0
		.amdhsa_user_sgpr_queue_ptr 0
		.amdhsa_user_sgpr_kernarg_segment_ptr 1
		.amdhsa_user_sgpr_dispatch_id 0
		.amdhsa_user_sgpr_flat_scratch_init 0
		.amdhsa_user_sgpr_private_segment_size 0
		.amdhsa_wavefront_size32 1
		.amdhsa_uses_dynamic_stack 0
		.amdhsa_system_sgpr_private_segment_wavefront_offset 0
		.amdhsa_system_sgpr_workgroup_id_x 1
		.amdhsa_system_sgpr_workgroup_id_y 0
		.amdhsa_system_sgpr_workgroup_id_z 1
		.amdhsa_system_sgpr_workgroup_info 0
		.amdhsa_system_vgpr_workitem_id 0
		.amdhsa_next_free_vgpr 13
		.amdhsa_next_free_sgpr 28
		.amdhsa_reserve_vcc 1
		.amdhsa_reserve_flat_scratch 0
		.amdhsa_float_round_mode_32 0
		.amdhsa_float_round_mode_16_64 0
		.amdhsa_float_denorm_mode_32 3
		.amdhsa_float_denorm_mode_16_64 3
		.amdhsa_dx10_clamp 1
		.amdhsa_ieee_mode 1
		.amdhsa_fp16_overflow 0
		.amdhsa_workgroup_processor_mode 1
		.amdhsa_memory_ordered 1
		.amdhsa_forward_progress 1
		.amdhsa_shared_vgpr_count 0
		.amdhsa_exception_fp_ieee_invalid_op 0
		.amdhsa_exception_fp_denorm_src 0
		.amdhsa_exception_fp_ieee_div_zero 0
		.amdhsa_exception_fp_ieee_overflow 0
		.amdhsa_exception_fp_ieee_underflow 0
		.amdhsa_exception_fp_ieee_inexact 0
		.amdhsa_exception_int_div_zero 0
	.end_amdhsa_kernel
	.section	.text._ZL36rocblas_hemvn_kernel_lower_block_sumILi64ElPK19rocblas_complex_numIdEPKPS1_S1_EviT1_lS7_lT2_lT0_lPT3_i,"axG",@progbits,_ZL36rocblas_hemvn_kernel_lower_block_sumILi64ElPK19rocblas_complex_numIdEPKPS1_S1_EviT1_lS7_lT2_lT0_lPT3_i,comdat
.Lfunc_end57:
	.size	_ZL36rocblas_hemvn_kernel_lower_block_sumILi64ElPK19rocblas_complex_numIdEPKPS1_S1_EviT1_lS7_lT2_lT0_lPT3_i, .Lfunc_end57-_ZL36rocblas_hemvn_kernel_lower_block_sumILi64ElPK19rocblas_complex_numIdEPKPS1_S1_EviT1_lS7_lT2_lT0_lPT3_i
                                        ; -- End function
	.set _ZL36rocblas_hemvn_kernel_lower_block_sumILi64ElPK19rocblas_complex_numIdEPKPS1_S1_EviT1_lS7_lT2_lT0_lPT3_i.num_vgpr, 13
	.set _ZL36rocblas_hemvn_kernel_lower_block_sumILi64ElPK19rocblas_complex_numIdEPKPS1_S1_EviT1_lS7_lT2_lT0_lPT3_i.num_agpr, 0
	.set _ZL36rocblas_hemvn_kernel_lower_block_sumILi64ElPK19rocblas_complex_numIdEPKPS1_S1_EviT1_lS7_lT2_lT0_lPT3_i.numbered_sgpr, 28
	.set _ZL36rocblas_hemvn_kernel_lower_block_sumILi64ElPK19rocblas_complex_numIdEPKPS1_S1_EviT1_lS7_lT2_lT0_lPT3_i.num_named_barrier, 0
	.set _ZL36rocblas_hemvn_kernel_lower_block_sumILi64ElPK19rocblas_complex_numIdEPKPS1_S1_EviT1_lS7_lT2_lT0_lPT3_i.private_seg_size, 0
	.set _ZL36rocblas_hemvn_kernel_lower_block_sumILi64ElPK19rocblas_complex_numIdEPKPS1_S1_EviT1_lS7_lT2_lT0_lPT3_i.uses_vcc, 1
	.set _ZL36rocblas_hemvn_kernel_lower_block_sumILi64ElPK19rocblas_complex_numIdEPKPS1_S1_EviT1_lS7_lT2_lT0_lPT3_i.uses_flat_scratch, 0
	.set _ZL36rocblas_hemvn_kernel_lower_block_sumILi64ElPK19rocblas_complex_numIdEPKPS1_S1_EviT1_lS7_lT2_lT0_lPT3_i.has_dyn_sized_stack, 0
	.set _ZL36rocblas_hemvn_kernel_lower_block_sumILi64ElPK19rocblas_complex_numIdEPKPS1_S1_EviT1_lS7_lT2_lT0_lPT3_i.has_recursion, 0
	.set _ZL36rocblas_hemvn_kernel_lower_block_sumILi64ElPK19rocblas_complex_numIdEPKPS1_S1_EviT1_lS7_lT2_lT0_lPT3_i.has_indirect_call, 0
	.section	.AMDGPU.csdata,"",@progbits
; Kernel info:
; codeLenInByte = 948
; TotalNumSgprs: 30
; NumVgprs: 13
; ScratchSize: 0
; MemoryBound: 0
; FloatMode: 240
; IeeeMode: 1
; LDSByteSize: 0 bytes/workgroup (compile time only)
; SGPRBlocks: 0
; VGPRBlocks: 1
; NumSGPRsForWavesPerEU: 30
; NumVGPRsForWavesPerEU: 13
; Occupancy: 16
; WaveLimiterHint : 1
; COMPUTE_PGM_RSRC2:SCRATCH_EN: 0
; COMPUTE_PGM_RSRC2:USER_SGPR: 6
; COMPUTE_PGM_RSRC2:TRAP_HANDLER: 0
; COMPUTE_PGM_RSRC2:TGID_X_EN: 1
; COMPUTE_PGM_RSRC2:TGID_Y_EN: 0
; COMPUTE_PGM_RSRC2:TGID_Z_EN: 1
; COMPUTE_PGM_RSRC2:TIDIG_COMP_CNT: 0
	.section	.text._ZL26rocblas_hemvn_kernel_lowerILb1ELi64ELi4ELi33ELi32ELi16EiPK19rocblas_complex_numIdEPKS3_PS1_EviT6_lT7_lT5_lS8_lS9_lS7_lT8_i,"axG",@progbits,_ZL26rocblas_hemvn_kernel_lowerILb1ELi64ELi4ELi33ELi32ELi16EiPK19rocblas_complex_numIdEPKS3_PS1_EviT6_lT7_lT5_lS8_lS9_lS7_lT8_i,comdat
	.globl	_ZL26rocblas_hemvn_kernel_lowerILb1ELi64ELi4ELi33ELi32ELi16EiPK19rocblas_complex_numIdEPKS3_PS1_EviT6_lT7_lT5_lS8_lS9_lS7_lT8_i ; -- Begin function _ZL26rocblas_hemvn_kernel_lowerILb1ELi64ELi4ELi33ELi32ELi16EiPK19rocblas_complex_numIdEPKS3_PS1_EviT6_lT7_lT5_lS8_lS9_lS7_lT8_i
	.p2align	8
	.type	_ZL26rocblas_hemvn_kernel_lowerILb1ELi64ELi4ELi33ELi32ELi16EiPK19rocblas_complex_numIdEPKS3_PS1_EviT6_lT7_lT5_lS8_lS9_lS7_lT8_i,@function
_ZL26rocblas_hemvn_kernel_lowerILb1ELi64ELi4ELi33ELi32ELi16EiPK19rocblas_complex_numIdEPKS3_PS1_EviT6_lT7_lT5_lS8_lS9_lS7_lT8_i: ; @_ZL26rocblas_hemvn_kernel_lowerILb1ELi64ELi4ELi33ELi32ELi16EiPK19rocblas_complex_numIdEPKS3_PS1_EviT6_lT7_lT5_lS8_lS9_lS7_lT8_i
; %bb.0:
	s_load_dwordx2 s[0:1], s[4:5], 0x84
	s_add_u32 s18, s4, 0x78
	s_addc_u32 s19, s5, 0
	s_waitcnt lgkmcnt(0)
	s_lshr_b32 s2, s0, 16
	s_and_b32 s0, s0, 0xffff
	s_and_b32 s1, s1, 0xffff
	s_mul_i32 s0, s2, s0
	s_mul_i32 s0, s0, s1
	s_cmpk_lg_i32 s0, 0x100
	s_cbranch_scc1 .LBB58_150
; %bb.1:
	s_load_dwordx8 s[8:15], s[4:5], 0x8
	s_mov_b32 s16, s7
	v_mov_b32_e32 v2, v1
	s_mov_b32 s17, 0
	s_waitcnt lgkmcnt(0)
	s_mul_i32 s1, s11, s7
	s_mul_hi_u32 s2, s10, s7
	s_mul_i32 s0, s10, s7
	s_add_i32 s1, s2, s1
	s_lshl_b64 s[0:1], s[0:1], 4
	s_add_u32 s0, s8, s0
	s_addc_u32 s1, s9, s1
	s_load_dwordx4 s[0:3], s[0:1], 0x0
	s_waitcnt lgkmcnt(0)
	v_cmp_neq_f64_e64 s7, s[0:1], 0
	v_cmp_neq_f64_e64 s8, s[2:3], 0
	s_clause 0x1
	s_load_dwordx2 s[10:11], s[4:5], 0x68
	s_load_dwordx4 s[0:3], s[4:5], 0x58
	s_or_b32 s7, s7, s8
	s_and_b32 vcc_lo, exec_lo, s7
	s_mov_b32 s7, -1
	s_cbranch_vccnz .LBB58_3
; %bb.2:
	s_waitcnt lgkmcnt(0)
	s_mul_i32 s3, s3, s16
	s_mul_hi_u32 s7, s2, s16
	s_mul_i32 s2, s2, s16
	s_add_i32 s3, s7, s3
	s_mov_b32 s7, 0
	s_lshl_b64 s[2:3], s[2:3], 4
	s_add_u32 s0, s0, s2
	s_addc_u32 s1, s1, s3
	s_load_dwordx4 s[0:3], s[0:1], 0x0
	s_waitcnt lgkmcnt(0)
	v_cmp_eq_f64_e64 s0, s[0:1], 1.0
	v_cmp_eq_f64_e64 s1, s[2:3], 0
	s_and_b32 s0, s0, s1
	s_andn2_b32 vcc_lo, exec_lo, s0
.LBB58_3:
	s_andn2_b32 vcc_lo, exec_lo, s7
	s_cbranch_vccnz .LBB58_150
; %bb.4:
	s_waitcnt lgkmcnt(0)
	s_load_dwordx4 s[0:3], s[4:5], 0x38
	s_lshl_b64 s[8:9], s[16:17], 3
	s_load_dword s17, s[4:5], 0x48
	s_add_u32 s20, s12, s8
	s_addc_u32 s21, s13, s9
	s_waitcnt lgkmcnt(0)
	s_add_u32 s0, s0, s8
	s_addc_u32 s1, s1, s9
	s_lshl_b64 s[2:3], s[2:3], 4
	s_load_dwordx2 s[0:1], s[0:1], 0x0
	s_load_dword s26, s[4:5], 0x0
	s_load_dword s27, s[18:19], 0x0
	s_waitcnt lgkmcnt(0)
	s_add_u32 s7, s0, s2
	s_addc_u32 s1, s1, s3
	s_lshl_b32 s12, s6, 6
	s_load_dwordx2 s[2:3], s[20:21], 0x0
	v_add_nc_u32_e32 v139, s12, v0
	s_ashr_i32 s28, s26, 31
	s_add_i32 s9, s27, -1
	s_lshr_b32 s0, s28, 26
	v_mul_lo_u32 v3, s17, v139
	s_add_i32 s8, s26, s0
	v_cmp_ne_u32_e64 s0, 0, v2
	s_andn2_b32 s8, s8, 63
	s_sub_i32 s8, s26, s8
	s_cmp_eq_u32 s6, s9
	v_ashrrev_i32_e32 v4, 31, v3
	s_cselect_b32 s18, s8, 0
	v_lshlrev_b64 v[3:4], 4, v[3:4]
	v_add_co_u32 v39, vcc_lo, s7, v3
	v_add_co_ci_u32_e64 v40, null, s1, v4, vcc_lo
	v_cmp_eq_u32_e64 s1, 0, v2
	s_mov_b32 s7, -1
	s_and_saveexec_b32 s8, s1
	s_cbranch_execz .LBB58_9
; %bb.5:
	v_cmp_le_i32_e32 vcc_lo, s18, v0
	s_cmp_lg_u32 s18, 0
	v_lshl_add_u32 v1, v0, 4, 0x4700
	s_cselect_b32 s9, -1, 0
	s_and_b32 s9, s9, vcc_lo
	s_and_saveexec_b32 s13, s9
	s_xor_b32 s9, exec_lo, s13
	s_cbranch_execz .LBB58_7
; %bb.6:
	v_mov_b32_e32 v3, 0
	v_mov_b32_e32 v4, v3
	;; [unrolled: 1-line block ×4, first 2 shown]
	ds_write_b128 v1, v[3:6]
                                        ; implicit-def: $vgpr1
.LBB58_7:
	s_andn2_saveexec_b32 s9, s9
	s_cbranch_execz .LBB58_9
; %bb.8:
	flat_load_dwordx4 v[3:6], v[39:40]
	s_waitcnt vmcnt(0) lgkmcnt(0)
	ds_write2_b64 v1, v[3:4], v[5:6] offset1:1
.LBB58_9:
	s_or_b32 exec_lo, exec_lo, s8
	s_load_dword s20, s[4:5], 0x28
	v_lshl_add_u32 v45, v2, 6, v0
	v_and_b32_e32 v1, 31, v0
	s_lshl_b64 s[4:5], s[14:15], 4
	s_waitcnt lgkmcnt(0)
	s_add_u32 s4, s2, s4
	v_lshrrev_b32_e32 v13, 5, v45
	s_addc_u32 s5, s3, s5
	s_ashr_i32 s13, s12, 31
	s_lshl_b64 s[2:3], s[12:13], 4
	s_add_u32 s4, s4, s2
	s_addc_u32 s5, s5, s3
	v_mad_u64_u32 v[3:4], null, s20, v13, v[1:2]
	s_mul_i32 s2, s20, s12
	s_ashr_i32 s3, s2, 31
	s_lshl_b64 s[14:15], s[2:3], 4
	s_cmp_lg_u32 s18, 0
	v_ashrrev_i32_e32 v4, 31, v3
	s_cselect_b32 s13, -1, 0
	s_cmp_eq_u32 s18, 0
	s_cselect_b32 s8, -1, 0
	v_lshlrev_b64 v[41:42], 4, v[3:4]
	v_add_co_u32 v3, vcc_lo, s4, v41
	v_add_co_ci_u32_e64 v4, null, s5, v42, vcc_lo
	v_add_co_u32 v7, vcc_lo, v3, s14
	v_add_co_ci_u32_e64 v8, null, s15, v4, vcc_lo
	s_and_b32 vcc_lo, exec_lo, s13
	s_cbranch_vccnz .LBB58_11
; %bb.10:
	flat_load_dwordx4 v[3:6], v[7:8]
	s_lshl_b32 s2, s20, 3
	v_mul_u32_u24_e32 v9, 0x210, v13
	s_ashr_i32 s3, s2, 31
	s_ashr_i32 s21, s20, 31
	s_lshl_b64 s[2:3], s[2:3], 4
	s_mov_b32 s7, 0
	v_lshl_add_u32 v11, v1, 4, v9
	v_add_co_u32 v9, vcc_lo, v7, s2
	v_add_co_ci_u32_e64 v10, null, s3, v8, vcc_lo
	s_lshl_b64 s[2:3], s[20:21], 7
	v_add_nc_u32_e32 v12, 0x1080, v11
	s_waitcnt vmcnt(0) lgkmcnt(0)
	ds_write2_b64 v11, v[3:4], v[5:6] offset1:1
	flat_load_dwordx4 v[3:6], v[9:10]
	v_add_co_u32 v9, vcc_lo, v9, s2
	v_add_co_ci_u32_e64 v10, null, s3, v10, vcc_lo
	s_waitcnt vmcnt(0) lgkmcnt(0)
	ds_write2_b64 v12, v[3:4], v[5:6] offset1:1
	flat_load_dwordx4 v[3:6], v[9:10]
	v_add_co_u32 v9, vcc_lo, v9, s2
	v_add_nc_u32_e32 v12, 0x2100, v11
	v_add_co_ci_u32_e64 v10, null, s3, v10, vcc_lo
	s_waitcnt vmcnt(0) lgkmcnt(0)
	ds_write2_b64 v12, v[3:4], v[5:6] offset1:1
	flat_load_dwordx4 v[3:6], v[9:10]
	v_add_nc_u32_e32 v9, 0x3180, v11
	s_waitcnt vmcnt(0) lgkmcnt(0)
	ds_write2_b64 v9, v[3:4], v[5:6] offset1:1
.LBB58_11:
	v_lshlrev_b32_e32 v14, 4, v1
	s_andn2_b32 vcc_lo, exec_lo, s7
	s_cbranch_vccnz .LBB58_29
; %bb.12:
	v_sub_co_u32 v3, vcc_lo, v7, v14
	s_ashr_i32 s19, s18, 31
	v_subrev_co_ci_u32_e64 v4, null, 0, v8, vcc_lo
	s_lshl_b64 s[4:5], s[18:19], 4
	v_cmp_le_i32_e64 s2, s18, v13
	v_add_co_u32 v3, vcc_lo, v3, s4
	v_add_co_ci_u32_e64 v4, null, s5, v4, vcc_lo
	v_mad_u32_u24 v5, 0x210, v13, v14
	v_add_co_u32 v3, vcc_lo, v3, -16
	v_add_co_ci_u32_e64 v4, null, -1, v4, vcc_lo
	v_cmp_gt_i32_e32 vcc_lo, s18, v1
	v_cndmask_b32_e32 v4, v4, v8, vcc_lo
	v_cndmask_b32_e32 v3, v3, v7, vcc_lo
	s_and_saveexec_b32 s3, s2
	s_xor_b32 s2, exec_lo, s3
	s_cbranch_execz .LBB58_14
; %bb.13:
	v_mov_b32_e32 v9, 0
	v_mov_b32_e32 v10, v9
	;; [unrolled: 1-line block ×4, first 2 shown]
	ds_write_b128 v5, v[9:12]
                                        ; implicit-def: $vgpr5
.LBB58_14:
	s_andn2_saveexec_b32 s2, s2
	s_cbranch_execz .LBB58_16
; %bb.15:
	flat_load_dwordx4 v[9:12], v[3:4]
	s_waitcnt vmcnt(0) lgkmcnt(0)
	ds_write2_b64 v5, v[9:10], v[11:12] offset1:1
.LBB58_16:
	s_or_b32 exec_lo, exec_lo, s2
	v_add_nc_u32_e32 v6, 8, v13
	v_mul_u32_u24_e32 v5, 0x210, v13
	v_cmp_le_i32_e64 s2, s18, v6
	s_and_saveexec_b32 s3, s2
	s_xor_b32 s2, exec_lo, s3
	s_cbranch_execz .LBB58_18
; %bb.17:
	v_mov_b32_e32 v9, 0
	v_add_nc_u32_e32 v6, v5, v14
	v_mov_b32_e32 v10, v9
	v_mov_b32_e32 v11, v9
	;; [unrolled: 1-line block ×3, first 2 shown]
	ds_write_b128 v6, v[9:12] offset:4224
.LBB58_18:
	s_andn2_saveexec_b32 s3, s2
	s_cbranch_execz .LBB58_20
; %bb.19:
	s_lshl_b32 s22, s20, 3
	v_add3_u32 v6, v5, v14, 0x1080
	s_ashr_i32 s23, s22, 31
	s_lshl_b64 s[22:23], s[22:23], 4
	v_add_co_u32 v9, s2, v3, s22
	v_add_co_ci_u32_e64 v10, null, s23, v4, s2
	flat_load_dwordx4 v[9:12], v[9:10]
	s_waitcnt vmcnt(0) lgkmcnt(0)
	ds_write2_b64 v6, v[9:10], v[11:12] offset1:1
.LBB58_20:
	s_or_b32 exec_lo, exec_lo, s3
	v_add_nc_u32_e32 v6, 16, v13
	v_cmp_le_i32_e64 s2, s18, v6
	s_and_saveexec_b32 s3, s2
	s_xor_b32 s2, exec_lo, s3
	s_cbranch_execz .LBB58_22
; %bb.21:
	v_mov_b32_e32 v9, 0
	v_add_nc_u32_e32 v6, v5, v14
	v_mov_b32_e32 v10, v9
	v_mov_b32_e32 v11, v9
	v_mov_b32_e32 v12, v9
	ds_write_b128 v6, v[9:12] offset:8448
.LBB58_22:
	s_andn2_saveexec_b32 s3, s2
	s_cbranch_execz .LBB58_24
; %bb.23:
	s_lshl_b32 s22, s20, 4
	v_add3_u32 v6, v5, v14, 0x2100
	s_ashr_i32 s23, s22, 31
	s_lshl_b64 s[22:23], s[22:23], 4
	v_add_co_u32 v9, s2, v3, s22
	v_add_co_ci_u32_e64 v10, null, s23, v4, s2
	flat_load_dwordx4 v[9:12], v[9:10]
	s_waitcnt vmcnt(0) lgkmcnt(0)
	ds_write2_b64 v6, v[9:10], v[11:12] offset1:1
.LBB58_24:
	s_or_b32 exec_lo, exec_lo, s3
	v_add_nc_u32_e32 v6, 24, v13
	v_cmp_le_i32_e64 s2, s18, v6
	s_and_saveexec_b32 s3, s2
	s_xor_b32 s2, exec_lo, s3
	s_cbranch_execz .LBB58_26
; %bb.25:
	v_mov_b32_e32 v9, 0
	v_add_nc_u32_e32 v5, v5, v14
	v_mov_b32_e32 v10, v9
	v_mov_b32_e32 v11, v9
	;; [unrolled: 1-line block ×3, first 2 shown]
	ds_write_b128 v5, v[9:12] offset:12672
                                        ; implicit-def: $vgpr5
.LBB58_26:
	s_andn2_saveexec_b32 s3, s2
	s_cbranch_execz .LBB58_28
; %bb.27:
	s_mul_i32 s22, s20, 24
	v_add3_u32 v5, v5, v14, 0x3180
	s_ashr_i32 s23, s22, 31
	s_lshl_b64 s[22:23], s[22:23], 4
	v_add_co_u32 v9, s2, v3, s22
	v_add_co_ci_u32_e64 v10, null, s23, v4, s2
	flat_load_dwordx4 v[9:12], v[9:10]
	s_waitcnt vmcnt(0) lgkmcnt(0)
	ds_write2_b64 v5, v[9:10], v[11:12] offset1:1
.LBB58_28:
	s_or_b32 exec_lo, exec_lo, s3
	v_add_co_u32 v3, s2, v3, v14
	v_add_co_ci_u32_e64 v4, null, 0, v4, s2
	v_sub_co_u32 v3, s2, v3, s4
	v_subrev_co_ci_u32_e64 v4, null, s5, v4, s2
	v_add_co_u32 v3, s2, v3, 16
	v_add_co_ci_u32_e64 v4, null, 0, v4, s2
	v_cndmask_b32_e32 v7, v3, v7, vcc_lo
	v_cndmask_b32_e32 v8, v4, v8, vcc_lo
.LBB58_29:
	v_lshlrev_b32_e32 v15, 2, v13
	v_mul_u32_u24_e32 v16, 0x210, v1
	s_mov_b32 s2, 0
	s_waitcnt lgkmcnt(0)
	s_barrier
	v_cmp_ge_u32_e64 s3, v15, v1
	buffer_gl0_inv
                                        ; implicit-def: $vgpr11
	s_and_saveexec_b32 s4, s3
	s_xor_b32 s4, exec_lo, s4
	s_cbranch_execz .LBB58_33
; %bb.30:
	s_mov_b32 s5, exec_lo
                                        ; implicit-def: $vgpr11
	v_cmpx_eq_u32_e64 v15, v1
	s_xor_b32 s5, exec_lo, s5
; %bb.31:
	v_add_nc_u32_e32 v11, v14, v16
	s_mov_b32 s2, exec_lo
; %bb.32:
	s_or_b32 exec_lo, exec_lo, s5
	s_and_b32 s2, s2, exec_lo
.LBB58_33:
	s_or_saveexec_b32 s4, s4
	v_mov_b32_e32 v5, 0
	v_lshl_or_b32 v9, v1, 9, v14
	v_mov_b32_e32 v6, 0
	v_mad_u32_u24 v10, 0x840, v13, v14
	s_xor_b32 exec_lo, exec_lo, s4
	s_cbranch_execz .LBB58_35
; %bb.34:
	ds_read_b128 v[3:6], v10
	v_lshl_add_u32 v11, v15, 4, v9
	s_or_b32 s2, s2, exec_lo
	s_waitcnt lgkmcnt(0)
	v_xor_b32_e32 v6, 0x80000000, v6
	ds_write_b64 v11, v[3:4]
.LBB58_35:
	s_or_b32 exec_lo, exec_lo, s4
	s_and_saveexec_b32 s4, s2
; %bb.36:
	ds_write_b64 v11, v[5:6] offset:8
; %bb.37:
	s_or_b32 exec_lo, exec_lo, s4
	v_or_b32_e32 v18, 1, v15
	s_mov_b32 s2, 0
                                        ; implicit-def: $vgpr12
	v_cmp_ge_u32_e64 s4, v18, v1
	s_and_saveexec_b32 s5, s4
	s_xor_b32 s5, exec_lo, s5
	s_cbranch_execz .LBB58_41
; %bb.38:
	s_mov_b32 s7, exec_lo
                                        ; implicit-def: $vgpr12
	v_cmpx_eq_u32_e64 v18, v1
; %bb.39:
	v_add_nc_u32_e32 v12, v14, v16
	s_mov_b32 s2, exec_lo
; %bb.40:
	s_or_b32 exec_lo, exec_lo, s7
	s_and_b32 s2, s2, exec_lo
.LBB58_41:
	s_or_saveexec_b32 s5, s5
	v_mov_b32_e32 v5, 0
	v_mov_b32_e32 v6, 0
	v_mad_u32_u24 v11, 0x210, v18, v14
	s_xor_b32 exec_lo, exec_lo, s5
	s_cbranch_execz .LBB58_43
; %bb.42:
	ds_read_b128 v[3:6], v11
	v_lshl_add_u32 v17, v15, 4, v9
	s_or_b32 s2, s2, exec_lo
	v_add_nc_u32_e32 v12, 16, v17
	s_waitcnt lgkmcnt(0)
	v_xor_b32_e32 v6, 0x80000000, v6
	ds_write_b64 v17, v[3:4] offset:16
.LBB58_43:
	s_or_b32 exec_lo, exec_lo, s5
	s_and_saveexec_b32 s5, s2
; %bb.44:
	ds_write_b64 v12, v[5:6] offset:8
; %bb.45:
	s_or_b32 exec_lo, exec_lo, s5
	v_or_b32_e32 v19, 2, v15
	s_mov_b32 s2, 0
                                        ; implicit-def: $vgpr12
	v_cmp_ge_u32_e64 s5, v19, v1
	s_and_saveexec_b32 s7, s5
	s_xor_b32 s7, exec_lo, s7
	s_cbranch_execz .LBB58_49
; %bb.46:
	s_mov_b32 s9, exec_lo
                                        ; implicit-def: $vgpr12
	v_cmpx_eq_u32_e64 v19, v1
; %bb.47:
	v_add_nc_u32_e32 v12, v14, v16
	s_mov_b32 s2, exec_lo
; %bb.48:
	s_or_b32 exec_lo, exec_lo, s9
	s_and_b32 s2, s2, exec_lo
.LBB58_49:
	s_or_saveexec_b32 s7, s7
	v_mov_b32_e32 v5, 0
	v_mov_b32_e32 v6, 0
	s_xor_b32 exec_lo, exec_lo, s7
	s_cbranch_execz .LBB58_51
; %bb.50:
	v_mad_u32_u24 v3, 0x210, v19, v14
	v_lshl_add_u32 v17, v15, 4, v9
	s_or_b32 s2, s2, exec_lo
	ds_read_b128 v[3:6], v3
	v_add_nc_u32_e32 v12, 32, v17
	s_waitcnt lgkmcnt(0)
	v_xor_b32_e32 v6, 0x80000000, v6
	ds_write_b64 v17, v[3:4] offset:32
.LBB58_51:
	s_or_b32 exec_lo, exec_lo, s7
	s_and_saveexec_b32 s7, s2
; %bb.52:
	ds_write_b64 v12, v[5:6] offset:8
; %bb.53:
	s_or_b32 exec_lo, exec_lo, s7
	v_or_b32_e32 v20, 3, v15
	s_mov_b32 s2, 0
                                        ; implicit-def: $vgpr12
	v_cmp_ge_u32_e64 s7, v20, v1
	s_and_saveexec_b32 s9, s7
	s_xor_b32 s9, exec_lo, s9
	s_cbranch_execz .LBB58_57
; %bb.54:
	s_mov_b32 s19, exec_lo
                                        ; implicit-def: $vgpr12
	v_cmpx_eq_u32_e64 v20, v1
; %bb.55:
	v_add_nc_u32_e32 v12, v14, v16
	s_mov_b32 s2, exec_lo
; %bb.56:
	s_or_b32 exec_lo, exec_lo, s19
	s_and_b32 s2, s2, exec_lo
                                        ; implicit-def: $vgpr9
.LBB58_57:
	s_or_saveexec_b32 s9, s9
	v_mov_b32_e32 v5, 0
	v_mov_b32_e32 v6, 0
	s_xor_b32 exec_lo, exec_lo, s9
	s_cbranch_execz .LBB58_59
; %bb.58:
	v_mad_u32_u24 v3, 0x210, v20, v14
	v_lshl_add_u32 v9, v15, 4, v9
	s_or_b32 s2, s2, exec_lo
	ds_read_b128 v[3:6], v3
	v_add_nc_u32_e32 v12, 48, v9
	s_waitcnt lgkmcnt(0)
	v_xor_b32_e32 v6, 0x80000000, v6
	ds_write_b64 v9, v[3:4] offset:48
.LBB58_59:
	s_or_b32 exec_lo, exec_lo, s9
	s_and_saveexec_b32 s9, s2
; %bb.60:
	ds_write_b64 v12, v[5:6] offset:8
; %bb.61:
	s_or_b32 exec_lo, exec_lo, s9
	v_lshlrev_b32_e32 v9, 4, v15
	s_waitcnt lgkmcnt(0)
	s_barrier
	buffer_gl0_inv
	ds_read_b128 v[3:6], v10
	ds_read_b128 v[21:24], v9 offset:18176
	ds_read_b128 v[25:28], v11
	ds_read_b128 v[29:32], v11 offset:1056
	ds_read_b128 v[33:36], v9 offset:18192
	;; [unrolled: 1-line block ×4, first 2 shown]
	v_cmp_gt_u32_e64 s2, 32, v45
	s_waitcnt lgkmcnt(5)
	v_mul_f64 v[37:38], v[23:24], v[5:6]
	v_mul_f64 v[5:6], v[21:22], v[5:6]
	s_waitcnt lgkmcnt(2)
	v_mul_f64 v[10:11], v[35:36], v[27:28]
	v_mul_f64 v[27:28], v[33:34], v[27:28]
	s_waitcnt lgkmcnt(0)
	v_mul_f64 v[43:44], v[50:51], v[48:49]
	v_fma_f64 v[21:22], v[21:22], v[3:4], -v[37:38]
	v_fma_f64 v[23:24], v[23:24], v[3:4], v[5:6]
	v_mul_f64 v[37:38], v[52:53], v[48:49]
	v_fma_f64 v[10:11], v[33:34], v[25:26], -v[10:11]
	v_fma_f64 v[25:26], v[35:36], v[25:26], v[27:28]
	ds_read_b128 v[3:6], v9 offset:18224
	v_fma_f64 v[35:36], v[52:53], v[46:47], v[43:44]
	s_waitcnt lgkmcnt(0)
	s_barrier
	buffer_gl0_inv
	v_add_f64 v[21:22], v[21:22], 0
	v_add_f64 v[23:24], v[23:24], 0
	v_fma_f64 v[33:34], v[50:51], v[46:47], -v[37:38]
	v_mul_f64 v[27:28], v[5:6], v[31:32]
	v_mul_f64 v[31:32], v[3:4], v[31:32]
	v_add_f64 v[10:11], v[21:22], v[10:11]
	v_add_f64 v[21:22], v[23:24], v[25:26]
	v_fma_f64 v[3:4], v[3:4], v[29:30], -v[27:28]
	v_fma_f64 v[5:6], v[5:6], v[29:30], v[31:32]
	v_add_f64 v[10:11], v[10:11], v[33:34]
	v_add_f64 v[23:24], v[21:22], v[35:36]
	;; [unrolled: 1-line block ×4, first 2 shown]
	v_mul_u32_u24_e32 v3, 33, v1
	v_mov_b32_e32 v5, 0
	v_mov_b32_e32 v6, 0
	v_lshlrev_b32_e32 v46, 4, v3
	v_mov_b32_e32 v3, 0
	v_mov_b32_e32 v4, 0
	v_lshl_add_u32 v47, v13, 4, v46
	ds_write_b128 v47, v[21:24]
	s_waitcnt lgkmcnt(0)
	s_barrier
	buffer_gl0_inv
	s_and_saveexec_b32 s9, s2
	s_cbranch_execz .LBB58_63
; %bb.62:
	ds_read_b128 v[3:6], v46
	ds_read_b128 v[21:24], v46 offset:16
	s_waitcnt lgkmcnt(0)
	v_add_f64 v[10:11], v[21:22], v[3:4]
	v_add_f64 v[25:26], v[23:24], v[5:6]
	ds_read_b128 v[3:6], v46 offset:32
	ds_read_b128 v[21:24], v46 offset:48
	s_waitcnt lgkmcnt(1)
	v_add_f64 v[3:4], v[10:11], v[3:4]
	v_add_f64 v[5:6], v[25:26], v[5:6]
	s_waitcnt lgkmcnt(0)
	v_add_f64 v[10:11], v[3:4], v[21:22]
	v_add_f64 v[25:26], v[5:6], v[23:24]
	ds_read_b128 v[3:6], v46 offset:64
	ds_read_b128 v[21:24], v46 offset:80
	s_waitcnt lgkmcnt(1)
	v_add_f64 v[3:4], v[10:11], v[3:4]
	v_add_f64 v[5:6], v[25:26], v[5:6]
	;; [unrolled: 8-line block ×3, first 2 shown]
	s_waitcnt lgkmcnt(0)
	v_add_f64 v[3:4], v[3:4], v[21:22]
	v_add_f64 v[5:6], v[5:6], v[23:24]
.LBB58_63:
	s_or_b32 exec_lo, exec_lo, s9
	s_lshl_b32 s22, s20, 5
	v_cndmask_b32_e64 v21, 0, 1, s8
	s_ashr_i32 s23, s22, 31
	s_lshl_b64 s[22:23], s[22:23], 4
	s_barrier
	v_add_co_u32 v7, vcc_lo, v7, s22
	v_add_co_ci_u32_e64 v8, null, s23, v8, vcc_lo
	buffer_gl0_inv
	v_add_co_u32 v11, vcc_lo, 0x200, v7
	v_add_co_ci_u32_e64 v12, null, 0, v8, vcc_lo
	s_andn2_b32 vcc_lo, exec_lo, s8
	s_mov_b32 s8, -1
	s_cbranch_vccnz .LBB58_65
; %bb.64:
	flat_load_dwordx4 v[22:25], v[11:12]
	s_lshl_b32 s8, s20, 3
	v_mad_u32_u24 v10, 0x210, v13, v14
	s_ashr_i32 s9, s8, 31
	s_ashr_i32 s21, s20, 31
	s_lshl_b64 s[8:9], s[8:9], 4
	v_add_co_u32 v26, vcc_lo, v7, s8
	v_add_co_ci_u32_e64 v27, null, s9, v8, vcc_lo
	s_lshl_b64 s[8:9], s[20:21], 7
	v_add_nc_u32_e32 v17, 0x1080, v10
	s_waitcnt vmcnt(0) lgkmcnt(0)
	ds_write2_b64 v10, v[22:23], v[24:25] offset1:1
	flat_load_dwordx4 v[22:25], v[26:27] offset:512
	v_add_co_u32 v26, vcc_lo, v26, s8
	v_add_co_ci_u32_e64 v27, null, s9, v27, vcc_lo
	s_waitcnt vmcnt(0) lgkmcnt(0)
	ds_write2_b64 v17, v[22:23], v[24:25] offset1:1
	flat_load_dwordx4 v[22:25], v[26:27] offset:512
	v_add_co_u32 v26, vcc_lo, v26, s8
	v_add_nc_u32_e32 v17, 0x2100, v10
	v_add_co_ci_u32_e64 v27, null, s9, v27, vcc_lo
	v_add_nc_u32_e32 v10, 0x3180, v10
	s_mov_b32 s8, 0
	s_waitcnt vmcnt(0) lgkmcnt(0)
	ds_write2_b64 v17, v[22:23], v[24:25] offset1:1
	flat_load_dwordx4 v[22:25], v[26:27] offset:512
	s_waitcnt vmcnt(0) lgkmcnt(0)
	ds_write2_b64 v10, v[22:23], v[24:25] offset1:1
.LBB58_65:
	s_andn2_b32 vcc_lo, exec_lo, s8
	s_cbranch_vccnz .LBB58_83
; %bb.66:
	v_sub_co_u32 v7, vcc_lo, v7, v14
	s_ashr_i32 s19, s18, 31
	v_subrev_co_ci_u32_e64 v8, null, 0, v8, vcc_lo
	s_lshl_b64 s[24:25], s[18:19], 4
	v_or_b32_e32 v10, 32, v1
	v_add_co_u32 v7, vcc_lo, v7, s24
	v_add_co_ci_u32_e64 v8, null, s25, v8, vcc_lo
	s_sub_i32 s9, s18, 32
	v_add_co_u32 v7, vcc_lo, v7, -16
	v_add_co_ci_u32_e64 v8, null, -1, v8, vcc_lo
	v_cmp_gt_i32_e32 vcc_lo, s18, v10
	v_cmp_le_i32_e64 s8, s9, v13
	v_mad_u32_u24 v10, 0x210, v13, v14
	v_cndmask_b32_e32 v8, v8, v12, vcc_lo
	v_cndmask_b32_e32 v7, v7, v11, vcc_lo
	s_and_saveexec_b32 s19, s8
	s_xor_b32 s8, exec_lo, s19
	s_cbranch_execz .LBB58_68
; %bb.67:
	v_mov_b32_e32 v22, 0
	v_mov_b32_e32 v23, v22
	;; [unrolled: 1-line block ×4, first 2 shown]
	ds_write_b128 v10, v[22:25]
                                        ; implicit-def: $vgpr10
.LBB58_68:
	s_andn2_saveexec_b32 s8, s8
	s_cbranch_execz .LBB58_70
; %bb.69:
	flat_load_dwordx4 v[22:25], v[7:8]
	s_waitcnt vmcnt(0) lgkmcnt(0)
	ds_write2_b64 v10, v[22:23], v[24:25] offset1:1
.LBB58_70:
	s_or_b32 exec_lo, exec_lo, s8
	v_add_nc_u32_e32 v17, 8, v13
	v_mul_u32_u24_e32 v10, 0x210, v13
	v_cmp_le_i32_e64 s8, s9, v17
	s_and_saveexec_b32 s19, s8
	s_xor_b32 s8, exec_lo, s19
	s_cbranch_execz .LBB58_72
; %bb.71:
	v_mov_b32_e32 v22, 0
	v_add_nc_u32_e32 v17, v10, v14
	v_mov_b32_e32 v23, v22
	v_mov_b32_e32 v24, v22
	;; [unrolled: 1-line block ×3, first 2 shown]
	ds_write_b128 v17, v[22:25] offset:4224
.LBB58_72:
	s_andn2_saveexec_b32 s19, s8
	s_cbranch_execz .LBB58_74
; %bb.73:
	s_lshl_b32 s30, s20, 3
	v_add3_u32 v17, v10, v14, 0x1080
	s_ashr_i32 s31, s30, 31
	s_lshl_b64 s[30:31], s[30:31], 4
	v_add_co_u32 v22, s8, v7, s30
	v_add_co_ci_u32_e64 v23, null, s31, v8, s8
	flat_load_dwordx4 v[22:25], v[22:23]
	s_waitcnt vmcnt(0) lgkmcnt(0)
	ds_write2_b64 v17, v[22:23], v[24:25] offset1:1
.LBB58_74:
	s_or_b32 exec_lo, exec_lo, s19
	v_add_nc_u32_e32 v17, 16, v13
	v_cmp_le_i32_e64 s8, s9, v17
	s_and_saveexec_b32 s19, s8
	s_xor_b32 s8, exec_lo, s19
	s_cbranch_execz .LBB58_76
; %bb.75:
	v_mov_b32_e32 v22, 0
	v_add_nc_u32_e32 v17, v10, v14
	v_mov_b32_e32 v23, v22
	v_mov_b32_e32 v24, v22
	;; [unrolled: 1-line block ×3, first 2 shown]
	ds_write_b128 v17, v[22:25] offset:8448
.LBB58_76:
	s_andn2_saveexec_b32 s19, s8
	s_cbranch_execz .LBB58_78
; %bb.77:
	s_lshl_b32 s30, s20, 4
	v_add3_u32 v17, v10, v14, 0x2100
	s_ashr_i32 s31, s30, 31
	s_lshl_b64 s[30:31], s[30:31], 4
	v_add_co_u32 v22, s8, v7, s30
	v_add_co_ci_u32_e64 v23, null, s31, v8, s8
	flat_load_dwordx4 v[22:25], v[22:23]
	s_waitcnt vmcnt(0) lgkmcnt(0)
	ds_write2_b64 v17, v[22:23], v[24:25] offset1:1
.LBB58_78:
	s_or_b32 exec_lo, exec_lo, s19
	v_add_nc_u32_e32 v17, 24, v13
	v_cmp_le_i32_e64 s8, s9, v17
	s_and_saveexec_b32 s9, s8
	s_xor_b32 s8, exec_lo, s9
	s_cbranch_execz .LBB58_80
; %bb.79:
	v_mov_b32_e32 v22, 0
	v_add_nc_u32_e32 v10, v10, v14
	v_mov_b32_e32 v23, v22
	v_mov_b32_e32 v24, v22
	;; [unrolled: 1-line block ×3, first 2 shown]
	ds_write_b128 v10, v[22:25] offset:12672
                                        ; implicit-def: $vgpr10
.LBB58_80:
	s_andn2_saveexec_b32 s9, s8
	s_cbranch_execz .LBB58_82
; %bb.81:
	s_mul_i32 s30, s20, 24
	v_add3_u32 v10, v10, v14, 0x3180
	s_ashr_i32 s31, s30, 31
	s_lshl_b64 s[30:31], s[30:31], 4
	v_add_co_u32 v22, s8, v7, s30
	v_add_co_ci_u32_e64 v23, null, s31, v8, s8
	flat_load_dwordx4 v[22:25], v[22:23]
	s_waitcnt vmcnt(0) lgkmcnt(0)
	ds_write2_b64 v10, v[22:23], v[24:25] offset1:1
.LBB58_82:
	s_or_b32 exec_lo, exec_lo, s9
	v_add_co_u32 v7, s8, v7, v14
	v_add_co_ci_u32_e64 v8, null, 0, v8, s8
	v_sub_co_u32 v7, s8, v7, s24
	v_subrev_co_ci_u32_e64 v8, null, s25, v8, s8
	v_add_co_u32 v7, s8, 0x210, v7
	v_add_co_ci_u32_e64 v8, null, 0, v8, s8
	v_cndmask_b32_e32 v11, v7, v11, vcc_lo
	v_cndmask_b32_e32 v12, v8, v12, vcc_lo
.LBB58_83:
	v_mul_u32_u24_e32 v7, 0x840, v13
	v_add_nc_u32_e32 v17, 0x4700, v9
	v_mul_u32_u24_e32 v23, 0x210, v18
	s_mov_b32 s8, 0
	s_waitcnt lgkmcnt(0)
	s_barrier
	buffer_gl0_inv
                                        ; implicit-def: $vgpr24
	s_and_saveexec_b32 s9, s3
	s_xor_b32 s3, exec_lo, s9
	s_cbranch_execz .LBB58_87
; %bb.84:
	s_mov_b32 s9, exec_lo
                                        ; implicit-def: $vgpr24
	v_cmpx_eq_u32_e64 v15, v1
	s_xor_b32 s9, exec_lo, s9
; %bb.85:
	s_mov_b32 s8, exec_lo
	v_add_nc_u32_e32 v24, v14, v16
; %bb.86:
	s_or_b32 exec_lo, exec_lo, s9
	s_and_b32 s8, s8, exec_lo
.LBB58_87:
	s_or_saveexec_b32 s3, s3
	v_mov_b32_e32 v9, 0
	v_mov_b32_e32 v10, 0
	v_add_nc_u32_e32 v22, v14, v7
	s_xor_b32 exec_lo, exec_lo, s3
	s_cbranch_execz .LBB58_89
; %bb.88:
	ds_read_b128 v[7:10], v22
	v_lshl_add_u32 v24, v15, 4, v46
	s_or_b32 s8, s8, exec_lo
	s_waitcnt lgkmcnt(0)
	v_xor_b32_e32 v10, 0x80000000, v10
	ds_write_b64 v24, v[7:8]
.LBB58_89:
	s_or_b32 exec_lo, exec_lo, s3
	s_and_saveexec_b32 s3, s8
; %bb.90:
	ds_write_b64 v24, v[9:10] offset:8
; %bb.91:
	s_or_b32 exec_lo, exec_lo, s3
	s_mov_b32 s3, 0
                                        ; implicit-def: $vgpr24
	s_and_saveexec_b32 s8, s4
	s_xor_b32 s4, exec_lo, s8
	s_cbranch_execz .LBB58_95
; %bb.92:
	s_mov_b32 s8, exec_lo
                                        ; implicit-def: $vgpr24
	v_cmpx_eq_u32_e64 v18, v1
; %bb.93:
	v_add_nc_u32_e32 v24, v14, v16
	s_mov_b32 s3, exec_lo
; %bb.94:
	s_or_b32 exec_lo, exec_lo, s8
	s_and_b32 s3, s3, exec_lo
.LBB58_95:
	s_or_saveexec_b32 s4, s4
	v_mov_b32_e32 v9, 0
	v_mov_b32_e32 v10, 0
	v_add_nc_u32_e32 v18, v14, v23
	s_xor_b32 exec_lo, exec_lo, s4
	s_cbranch_execz .LBB58_97
; %bb.96:
	ds_read_b128 v[7:10], v18
	v_lshl_add_u32 v23, v15, 4, v46
	s_or_b32 s3, s3, exec_lo
	v_add_nc_u32_e32 v24, 16, v23
	s_waitcnt lgkmcnt(0)
	v_xor_b32_e32 v10, 0x80000000, v10
	ds_write_b64 v23, v[7:8] offset:16
.LBB58_97:
	s_or_b32 exec_lo, exec_lo, s4
	s_and_saveexec_b32 s4, s3
; %bb.98:
	ds_write_b64 v24, v[9:10] offset:8
; %bb.99:
	s_or_b32 exec_lo, exec_lo, s4
	s_mov_b32 s3, 0
                                        ; implicit-def: $vgpr23
	s_and_saveexec_b32 s4, s5
	s_xor_b32 s4, exec_lo, s4
	s_cbranch_execz .LBB58_103
; %bb.100:
	s_mov_b32 s5, exec_lo
                                        ; implicit-def: $vgpr23
	v_cmpx_eq_u32_e64 v19, v1
; %bb.101:
	v_add_nc_u32_e32 v23, v14, v16
	s_mov_b32 s3, exec_lo
; %bb.102:
	s_or_b32 exec_lo, exec_lo, s5
	s_and_b32 s3, s3, exec_lo
.LBB58_103:
	s_or_saveexec_b32 s4, s4
	v_mov_b32_e32 v9, 0
	v_mov_b32_e32 v10, 0
	s_xor_b32 exec_lo, exec_lo, s4
	s_cbranch_execz .LBB58_105
; %bb.104:
	ds_read_b128 v[7:10], v18 offset:528
	v_lshl_add_u32 v19, v15, 4, v46
	s_or_b32 s3, s3, exec_lo
	v_add_nc_u32_e32 v23, 32, v19
	s_waitcnt lgkmcnt(0)
	v_xor_b32_e32 v10, 0x80000000, v10
	ds_write_b64 v19, v[7:8] offset:32
.LBB58_105:
	s_or_b32 exec_lo, exec_lo, s4
	s_and_saveexec_b32 s4, s3
; %bb.106:
	ds_write_b64 v23, v[9:10] offset:8
; %bb.107:
	s_or_b32 exec_lo, exec_lo, s4
	s_mov_b32 s3, 0
                                        ; implicit-def: $vgpr19
	s_and_saveexec_b32 s4, s7
	s_xor_b32 s4, exec_lo, s4
	s_cbranch_execz .LBB58_111
; %bb.108:
	s_mov_b32 s5, exec_lo
                                        ; implicit-def: $vgpr19
	v_cmpx_eq_u32_e64 v20, v1
; %bb.109:
	v_add_nc_u32_e32 v19, v14, v16
	s_mov_b32 s3, exec_lo
; %bb.110:
	s_or_b32 exec_lo, exec_lo, s5
	s_and_b32 s3, s3, exec_lo
.LBB58_111:
	s_or_saveexec_b32 s4, s4
	v_mov_b32_e32 v9, 0
	v_mov_b32_e32 v10, 0
	s_xor_b32 exec_lo, exec_lo, s4
	s_cbranch_execz .LBB58_113
; %bb.112:
	ds_read_b128 v[7:10], v18 offset:1056
	v_lshl_add_u32 v16, v15, 4, v46
	s_or_b32 s3, s3, exec_lo
	v_add_nc_u32_e32 v19, 48, v16
	s_waitcnt lgkmcnt(0)
	v_xor_b32_e32 v10, 0x80000000, v10
	ds_write_b64 v16, v[7:8] offset:48
.LBB58_113:
	s_or_b32 exec_lo, exec_lo, s4
	s_and_saveexec_b32 s4, s3
; %bb.114:
	ds_write_b64 v19, v[9:10] offset:8
; %bb.115:
	s_or_b32 exec_lo, exec_lo, s4
	s_waitcnt lgkmcnt(0)
	s_barrier
	buffer_gl0_inv
	ds_read_b128 v[7:10], v22
	ds_read_b128 v[22:25], v17 offset:512
	ds_read_b128 v[26:29], v17 offset:528
	ds_read_b128 v[30:33], v18
	ds_read_b128 v[34:37], v18 offset:1056
	ds_read_b128 v[48:51], v17 offset:544
	;; [unrolled: 1-line block ×3, first 2 shown]
	v_cmp_eq_u32_e64 s3, 1, v13
	s_waitcnt lgkmcnt(5)
	v_mul_f64 v[19:20], v[24:25], v[9:10]
	v_mul_f64 v[9:10], v[22:23], v[9:10]
	s_waitcnt lgkmcnt(3)
	v_mul_f64 v[43:44], v[28:29], v[32:33]
	v_mul_f64 v[32:33], v[26:27], v[32:33]
	v_fma_f64 v[18:19], v[22:23], v[7:8], -v[19:20]
	v_fma_f64 v[22:23], v[24:25], v[7:8], v[9:10]
	s_waitcnt lgkmcnt(0)
	v_mul_f64 v[24:25], v[50:51], v[54:55]
	v_mul_f64 v[54:55], v[48:49], v[54:55]
	v_fma_f64 v[26:27], v[26:27], v[30:31], -v[43:44]
	v_fma_f64 v[28:29], v[28:29], v[30:31], v[32:33]
	ds_read_b128 v[7:10], v17 offset:560
	s_waitcnt lgkmcnt(0)
	s_barrier
	buffer_gl0_inv
	v_add_f64 v[18:19], v[18:19], 0
	v_add_f64 v[22:23], v[22:23], 0
	v_fma_f64 v[24:25], v[48:49], v[52:53], -v[24:25]
	v_mul_f64 v[30:31], v[9:10], v[36:37]
	v_mul_f64 v[32:33], v[7:8], v[36:37]
	v_fma_f64 v[36:37], v[50:51], v[52:53], v[54:55]
	v_add_f64 v[18:19], v[18:19], v[26:27]
	v_add_f64 v[22:23], v[22:23], v[28:29]
	v_fma_f64 v[7:8], v[7:8], v[34:35], -v[30:31]
	v_fma_f64 v[9:10], v[9:10], v[34:35], v[32:33]
	v_add_f64 v[18:19], v[18:19], v[24:25]
	v_add_f64 v[22:23], v[22:23], v[36:37]
	;; [unrolled: 1-line block ×4, first 2 shown]
	ds_write_b128 v47, v[7:10]
	s_waitcnt lgkmcnt(0)
	s_barrier
	buffer_gl0_inv
	s_and_saveexec_b32 s4, s3
	s_cbranch_execz .LBB58_117
; %bb.116:
	ds_read_b128 v[3:6], v46
	ds_read_b128 v[7:10], v46 offset:16
	s_waitcnt lgkmcnt(0)
	v_add_f64 v[18:19], v[7:8], v[3:4]
	v_add_f64 v[22:23], v[9:10], v[5:6]
	ds_read_b128 v[3:6], v46 offset:32
	ds_read_b128 v[7:10], v46 offset:48
	s_waitcnt lgkmcnt(1)
	v_add_f64 v[3:4], v[18:19], v[3:4]
	v_add_f64 v[5:6], v[22:23], v[5:6]
	s_waitcnt lgkmcnt(0)
	v_add_f64 v[18:19], v[3:4], v[7:8]
	v_add_f64 v[22:23], v[5:6], v[9:10]
	ds_read_b128 v[3:6], v46 offset:64
	ds_read_b128 v[7:10], v46 offset:80
	s_waitcnt lgkmcnt(1)
	v_add_f64 v[3:4], v[18:19], v[3:4]
	v_add_f64 v[5:6], v[22:23], v[5:6]
	;; [unrolled: 8-line block ×3, first 2 shown]
	s_waitcnt lgkmcnt(0)
	v_add_f64 v[3:4], v[3:4], v[7:8]
	v_add_f64 v[5:6], v[5:6], v[9:10]
.LBB58_117:
	s_or_b32 exec_lo, exec_lo, s4
	v_cmp_ne_u32_e32 vcc_lo, 1, v21
	v_sub_co_u32 v43, s4, v11, s22
	v_subrev_co_ci_u32_e64 v44, null, s23, v12, s4
	s_barrier
	buffer_gl0_inv
	s_cbranch_vccnz .LBB58_119
; %bb.118:
	flat_load_dwordx4 v[7:10], v[43:44]
	s_lshl_b32 s4, s20, 3
	v_mad_u32_u24 v11, 0x210, v13, v14
	s_ashr_i32 s5, s4, 31
	s_ashr_i32 s21, s20, 31
	s_lshl_b64 s[4:5], s[4:5], 4
	s_movk_i32 s7, 0x2100
	v_add_co_u32 v18, vcc_lo, v43, s4
	v_add_co_ci_u32_e64 v19, null, s5, v44, vcc_lo
	s_movk_i32 s4, 0x1080
	s_waitcnt vmcnt(0) lgkmcnt(0)
	ds_write2_b64 v11, v[7:8], v[9:10] offset1:1
	flat_load_dwordx4 v[9:12], v[18:19]
	v_mad_u32_u24 v8, 0x210, v13, s4
	s_lshl_b64 s[4:5], s[20:21], 7
	v_add_co_u32 v18, vcc_lo, v18, s4
	v_add_nc_u32_e32 v7, v14, v8
	v_add_co_ci_u32_e64 v19, null, s5, v19, vcc_lo
	s_waitcnt vmcnt(0) lgkmcnt(0)
	ds_write2_b64 v7, v[9:10], v[11:12] offset1:1
	flat_load_dwordx4 v[9:12], v[18:19]
	v_mad_u32_u24 v7, 0x210, v13, s7
	v_add_co_u32 v18, vcc_lo, v18, s4
	v_add_co_ci_u32_e64 v19, null, s5, v19, vcc_lo
	v_add_nc_u32_e32 v16, v14, v7
	s_movk_i32 s4, 0x3180
	s_waitcnt vmcnt(0) lgkmcnt(0)
	ds_write2_b64 v16, v[9:10], v[11:12] offset1:1
	flat_load_dwordx4 v[18:21], v[18:19]
	v_mad_u32_u24 v16, 0x210, v13, s4
	v_mul_u32_u24_e32 v11, 0x210, v13
	v_add_nc_u32_e32 v10, 8, v13
	v_add_nc_u32_e32 v9, 16, v13
	v_add_nc_u32_e32 v12, 24, v13
	v_add_nc_u32_e32 v22, v14, v16
	s_waitcnt vmcnt(0) lgkmcnt(0)
	ds_write2_b64 v22, v[18:19], v[20:21] offset1:1
	s_cbranch_execz .LBB58_120
	s_branch .LBB58_137
.LBB58_119:
                                        ; implicit-def: $vgpr11
                                        ; implicit-def: $vgpr10
                                        ; implicit-def: $vgpr8
                                        ; implicit-def: $vgpr9
                                        ; implicit-def: $vgpr7
                                        ; implicit-def: $vgpr12
                                        ; implicit-def: $vgpr16
.LBB58_120:
	v_or_b32_e32 v1, 32, v1
	s_ashr_i32 s19, s18, 31
	v_cmp_le_i32_e64 s4, s18, v13
	s_lshl_b64 s[8:9], s[18:19], 4
	v_lshlrev_b32_e32 v7, 4, v1
	v_sub_co_u32 v7, vcc_lo, v43, v7
	v_subrev_co_ci_u32_e64 v8, null, 0, v44, vcc_lo
	v_add_co_u32 v7, vcc_lo, v7, s8
	v_add_co_ci_u32_e64 v8, null, s9, v8, vcc_lo
	v_add_co_u32 v7, vcc_lo, v7, -16
	v_add_co_ci_u32_e64 v8, null, -1, v8, vcc_lo
	v_cmp_gt_i32_e32 vcc_lo, s18, v1
	v_mad_u32_u24 v1, 0x210, v13, v14
	v_cndmask_b32_e32 v8, v8, v44, vcc_lo
	v_cndmask_b32_e32 v7, v7, v43, vcc_lo
	s_and_saveexec_b32 s5, s4
	s_xor_b32 s4, exec_lo, s5
	s_cbranch_execz .LBB58_122
; %bb.121:
	v_mov_b32_e32 v9, 0
	v_mov_b32_e32 v10, v9
	v_mov_b32_e32 v11, v9
	v_mov_b32_e32 v12, v9
	ds_write_b128 v1, v[9:12]
                                        ; implicit-def: $vgpr1
.LBB58_122:
	s_andn2_saveexec_b32 s4, s4
	s_cbranch_execz .LBB58_124
; %bb.123:
	flat_load_dwordx4 v[9:12], v[7:8]
	s_waitcnt vmcnt(0) lgkmcnt(0)
	ds_write2_b64 v1, v[9:10], v[11:12] offset1:1
.LBB58_124:
	s_or_b32 exec_lo, exec_lo, s4
	v_add_nc_u32_e32 v10, 8, v13
	v_mul_u32_u24_e32 v11, 0x210, v13
	v_cmp_le_i32_e64 s4, s18, v10
	s_and_saveexec_b32 s5, s4
	s_xor_b32 s4, exec_lo, s5
	s_cbranch_execz .LBB58_126
; %bb.125:
	v_mov_b32_e32 v18, 0
	v_add_nc_u32_e32 v1, v11, v14
	v_mov_b32_e32 v19, v18
	v_mov_b32_e32 v20, v18
	;; [unrolled: 1-line block ×3, first 2 shown]
	ds_write_b128 v1, v[18:21] offset:4224
.LBB58_126:
	s_andn2_saveexec_b32 s5, s4
	s_cbranch_execz .LBB58_128
; %bb.127:
	s_lshl_b32 s22, s20, 3
	v_add3_u32 v1, v11, v14, 0x1080
	s_ashr_i32 s23, s22, 31
	s_lshl_b64 s[22:23], s[22:23], 4
	v_add_co_u32 v18, s4, v7, s22
	v_add_co_ci_u32_e64 v19, null, s23, v8, s4
	flat_load_dwordx4 v[18:21], v[18:19]
	s_waitcnt vmcnt(0) lgkmcnt(0)
	ds_write2_b64 v1, v[18:19], v[20:21] offset1:1
.LBB58_128:
	s_or_b32 exec_lo, exec_lo, s5
	v_add_nc_u32_e32 v9, 16, v13
	v_cmp_le_i32_e64 s4, s18, v9
	s_and_saveexec_b32 s5, s4
	s_xor_b32 s4, exec_lo, s5
	s_cbranch_execz .LBB58_130
; %bb.129:
	v_mov_b32_e32 v18, 0
	v_add_nc_u32_e32 v1, v11, v14
	v_mov_b32_e32 v19, v18
	v_mov_b32_e32 v20, v18
	;; [unrolled: 1-line block ×3, first 2 shown]
	ds_write_b128 v1, v[18:21] offset:8448
.LBB58_130:
	s_andn2_saveexec_b32 s5, s4
	s_cbranch_execz .LBB58_132
; %bb.131:
	s_lshl_b32 s22, s20, 4
	v_add3_u32 v1, v11, v14, 0x2100
	s_ashr_i32 s23, s22, 31
	s_lshl_b64 s[22:23], s[22:23], 4
	v_add_co_u32 v18, s4, v7, s22
	v_add_co_ci_u32_e64 v19, null, s23, v8, s4
	flat_load_dwordx4 v[18:21], v[18:19]
	s_waitcnt vmcnt(0) lgkmcnt(0)
	ds_write2_b64 v1, v[18:19], v[20:21] offset1:1
.LBB58_132:
	s_or_b32 exec_lo, exec_lo, s5
	v_add_nc_u32_e32 v12, 24, v13
                                        ; implicit-def: $vgpr16
	v_cmp_le_i32_e64 s4, s18, v12
	s_and_saveexec_b32 s5, s4
	s_xor_b32 s4, exec_lo, s5
	s_cbranch_execz .LBB58_134
; %bb.133:
	v_add_nc_u32_e32 v16, 0x3180, v11
	v_mov_b32_e32 v18, 0
	v_add_nc_u32_e32 v1, v14, v16
	v_mov_b32_e32 v19, v18
	v_mov_b32_e32 v20, v18
	;; [unrolled: 1-line block ×3, first 2 shown]
	ds_write_b128 v1, v[18:21]
.LBB58_134:
	s_andn2_saveexec_b32 s5, s4
	s_cbranch_execz .LBB58_136
; %bb.135:
	s_mul_i32 s22, s20, 24
	v_add_nc_u32_e32 v16, 0x3180, v11
	s_ashr_i32 s23, s22, 31
	s_lshl_b64 s[22:23], s[22:23], 4
	v_add_nc_u32_e32 v1, v14, v16
	v_add_co_u32 v18, s4, v7, s22
	v_add_co_ci_u32_e64 v19, null, s23, v8, s4
	flat_load_dwordx4 v[18:21], v[18:19]
	s_waitcnt vmcnt(0) lgkmcnt(0)
	ds_write2_b64 v1, v[18:19], v[20:21] offset1:1
.LBB58_136:
	s_or_b32 exec_lo, exec_lo, s5
	v_add_co_u32 v1, s4, v7, v14
	v_add_co_ci_u32_e64 v7, null, 0, v8, s4
	v_add_nc_u32_e32 v8, 0x1080, v11
	v_sub_co_u32 v1, s4, v1, s8
	v_subrev_co_ci_u32_e64 v7, null, s9, v7, s4
	v_add_co_u32 v1, s4, 0x210, v1
	v_add_co_ci_u32_e64 v7, null, 0, v7, s4
	v_cndmask_b32_e32 v43, v1, v43, vcc_lo
	v_cndmask_b32_e32 v44, v7, v44, vcc_lo
	v_add_nc_u32_e32 v7, 0x2100, v11
.LBB58_137:
	v_lshlrev_b32_e32 v1, 4, v13
	v_add_nc_u32_e32 v11, v14, v11
	s_waitcnt lgkmcnt(0)
	s_barrier
	buffer_gl0_inv
	ds_read_b128 v[18:21], v1 offset:18176
	ds_read_b128 v[22:25], v11
	v_lshlrev_b32_e32 v1, 4, v10
	v_add_nc_u32_e32 v8, v14, v8
	v_add_nc_u32_e32 v11, v14, v7
	;; [unrolled: 1-line block ×3, first 2 shown]
	ds_read_b128 v[26:29], v1 offset:18176
	ds_read_b128 v[30:33], v8
	v_lshlrev_b32_e32 v1, 4, v9
	ds_read_b128 v[7:10], v1 offset:18176
	ds_read_b128 v[34:37], v11
	v_lshlrev_b32_e32 v1, 4, v12
	s_waitcnt lgkmcnt(4)
	v_mul_f64 v[48:49], v[20:21], v[24:25]
	v_mul_f64 v[24:25], v[18:19], v[24:25]
	s_waitcnt lgkmcnt(2)
	v_mul_f64 v[50:51], v[28:29], v[32:33]
	v_mul_f64 v[32:33], v[26:27], v[32:33]
	v_fma_f64 v[48:49], v[18:19], v[22:23], -v[48:49]
	v_fma_f64 v[22:23], v[20:21], v[22:23], v[24:25]
	s_waitcnt lgkmcnt(0)
	v_mul_f64 v[24:25], v[9:10], v[36:37]
	v_mul_f64 v[36:37], v[7:8], v[36:37]
	ds_read_b128 v[11:14], v1 offset:18176
	ds_read2_b64 v[18:21], v16 offset1:1
	v_lshl_add_u32 v1, v15, 4, v46
	v_fma_f64 v[26:27], v[26:27], v[30:31], -v[50:51]
	v_fma_f64 v[28:29], v[28:29], v[30:31], v[32:33]
	v_add_f64 v[30:31], v[48:49], 0
	v_add_f64 v[22:23], v[22:23], 0
	s_waitcnt lgkmcnt(0)
	v_mul_f64 v[32:33], v[13:14], v[20:21]
	v_mul_f64 v[20:21], v[11:12], v[20:21]
	v_fma_f64 v[7:8], v[7:8], v[34:35], -v[24:25]
	v_fma_f64 v[9:10], v[9:10], v[34:35], v[36:37]
	v_add_f64 v[24:25], v[30:31], v[26:27]
	v_add_f64 v[22:23], v[22:23], v[28:29]
	v_fma_f64 v[11:12], v[11:12], v[18:19], -v[32:33]
	v_fma_f64 v[13:14], v[13:14], v[18:19], v[20:21]
	v_add_f64 v[7:8], v[24:25], v[7:8]
	v_add_f64 v[9:10], v[22:23], v[9:10]
	ds_read_b128 v[31:34], v17 offset:512
	ds_read_b128 v[23:26], v17 offset:528
	v_add_f64 v[48:49], v[7:8], v[11:12]
	v_add_f64 v[50:51], v[9:10], v[13:14]
	ds_read_b128 v[11:14], v17 offset:544
	ds_read_b128 v[7:10], v17 offset:560
	ds_read_b128 v[35:38], v1
	ds_read_b128 v[27:30], v1 offset:16
	ds_read_b128 v[19:22], v1 offset:32
	;; [unrolled: 1-line block ×3, first 2 shown]
	s_waitcnt lgkmcnt(0)
	s_barrier
	buffer_gl0_inv
	ds_write_b128 v47, v[48:51]
	s_waitcnt lgkmcnt(0)
	s_barrier
	buffer_gl0_inv
	s_and_saveexec_b32 s4, s3
	s_cbranch_execz .LBB58_139
; %bb.138:
	ds_read_b128 v[48:51], v46
	ds_read_b128 v[52:55], v46 offset:16
	s_waitcnt lgkmcnt(1)
	v_add_f64 v[3:4], v[3:4], v[48:49]
	v_add_f64 v[5:6], v[5:6], v[50:51]
	s_waitcnt lgkmcnt(0)
	v_add_f64 v[52:53], v[3:4], v[52:53]
	v_add_f64 v[54:55], v[5:6], v[54:55]
	ds_read_b128 v[3:6], v46 offset:32
	ds_read_b128 v[48:51], v46 offset:48
	s_waitcnt lgkmcnt(1)
	v_add_f64 v[3:4], v[52:53], v[3:4]
	v_add_f64 v[5:6], v[54:55], v[5:6]
	s_waitcnt lgkmcnt(0)
	v_add_f64 v[52:53], v[3:4], v[48:49]
	v_add_f64 v[54:55], v[5:6], v[50:51]
	ds_read_b128 v[3:6], v46 offset:64
	;; [unrolled: 8-line block ×3, first 2 shown]
	ds_read_b128 v[48:51], v46 offset:112
	s_waitcnt lgkmcnt(1)
	v_add_f64 v[3:4], v[52:53], v[3:4]
	v_add_f64 v[5:6], v[54:55], v[5:6]
	s_waitcnt lgkmcnt(0)
	v_add_f64 v[3:4], v[3:4], v[48:49]
	v_add_f64 v[5:6], v[5:6], v[50:51]
.LBB58_139:
	s_or_b32 exec_lo, exec_lo, s4
	v_mul_f64 v[48:49], v[37:38], v[33:34]
	v_mul_f64 v[37:38], v[37:38], v[31:32]
	;; [unrolled: 1-line block ×4, first 2 shown]
	s_barrier
	buffer_gl0_inv
	v_fma_f64 v[31:32], v[35:36], v[31:32], v[48:49]
	v_fma_f64 v[33:34], v[35:36], v[33:34], -v[37:38]
	v_mul_f64 v[35:36], v[21:22], v[13:14]
	v_mul_f64 v[21:22], v[21:22], v[11:12]
	v_fma_f64 v[23:24], v[27:28], v[23:24], v[50:51]
	v_fma_f64 v[25:26], v[27:28], v[25:26], -v[29:30]
	v_add_f64 v[27:28], v[31:32], 0
	v_add_f64 v[29:30], v[33:34], 0
	v_mul_f64 v[31:32], v[17:18], v[9:10]
	v_mul_f64 v[17:18], v[17:18], v[7:8]
	v_fma_f64 v[11:12], v[19:20], v[11:12], v[35:36]
	v_fma_f64 v[13:14], v[19:20], v[13:14], -v[21:22]
	v_add_f64 v[19:20], v[27:28], v[23:24]
	v_add_f64 v[21:22], v[29:30], v[25:26]
	v_fma_f64 v[7:8], v[15:16], v[7:8], v[31:32]
	v_fma_f64 v[9:10], v[15:16], v[9:10], -v[17:18]
	v_add_f64 v[11:12], v[19:20], v[11:12]
	v_add_f64 v[13:14], v[21:22], v[13:14]
	;; [unrolled: 1-line block ×4, first 2 shown]
	ds_write_b128 v47, v[7:10]
	s_waitcnt lgkmcnt(0)
	s_barrier
	buffer_gl0_inv
	s_and_saveexec_b32 s3, s2
	s_cbranch_execz .LBB58_141
; %bb.140:
	ds_read_b128 v[7:10], v46
	ds_read_b128 v[11:14], v46 offset:16
	s_waitcnt lgkmcnt(1)
	v_add_f64 v[3:4], v[3:4], v[7:8]
	v_add_f64 v[5:6], v[5:6], v[9:10]
	s_waitcnt lgkmcnt(0)
	v_add_f64 v[11:12], v[3:4], v[11:12]
	v_add_f64 v[13:14], v[5:6], v[13:14]
	ds_read_b128 v[3:6], v46 offset:32
	ds_read_b128 v[7:10], v46 offset:48
	s_waitcnt lgkmcnt(1)
	v_add_f64 v[3:4], v[11:12], v[3:4]
	v_add_f64 v[5:6], v[13:14], v[5:6]
	s_waitcnt lgkmcnt(0)
	v_add_f64 v[11:12], v[3:4], v[7:8]
	v_add_f64 v[13:14], v[5:6], v[9:10]
	ds_read_b128 v[3:6], v46 offset:64
	;; [unrolled: 8-line block ×3, first 2 shown]
	ds_read_b128 v[7:10], v46 offset:112
	s_waitcnt lgkmcnt(1)
	v_add_f64 v[3:4], v[11:12], v[3:4]
	v_add_f64 v[5:6], v[13:14], v[5:6]
	s_waitcnt lgkmcnt(0)
	v_add_f64 v[3:4], v[3:4], v[7:8]
	v_add_f64 v[5:6], v[5:6], v[9:10]
.LBB58_141:
	s_or_b32 exec_lo, exec_lo, s3
	s_mul_hi_u32 s2, s26, s16
	s_mul_i32 s28, s28, s16
	s_mul_i32 s3, s26, s16
	s_add_i32 s2, s2, s28
	s_mul_hi_u32 s5, s3, s27
	s_mul_i32 s4, s2, s27
	s_mul_i32 s2, s3, s27
	s_add_i32 s3, s5, s4
	s_mul_i32 s4, s26, s6
	s_lshl_b64 s[2:3], s[2:3], 4
	v_cmp_le_i32_e32 vcc_lo, s18, v0
	s_add_u32 s7, s10, s2
	s_addc_u32 s8, s11, s3
	s_ashr_i32 s5, s4, 31
	v_lshlrev_b32_e32 v142, 4, v0
	s_lshl_b64 s[2:3], s[4:5], 4
	s_add_u32 s7, s7, s2
	s_addc_u32 s10, s8, s3
	s_and_b32 vcc_lo, s13, vcc_lo
	s_cmp_lt_i32 s6, 1
	s_barrier
	buffer_gl0_inv
	s_cbranch_scc1 .LBB58_148
; %bb.142:
	v_mul_lo_u32 v1, v2, s20
	v_sub_co_u32 v11, s2, v43, s14
	v_subrev_co_ci_u32_e64 v12, null, s15, v44, s2
	s_ashr_i32 s19, s18, 31
	v_add_co_u32 v11, s2, 0xfffffe00, v11
	v_lshl_add_u32 v7, v1, 2, v0
	v_add_co_ci_u32_e64 v12, null, -1, v12, s2
	v_sub_co_u32 v11, s2, v11, v41
	v_ashrrev_i32_e32 v8, 31, v7
	v_sub_co_ci_u32_e64 v12, null, v12, v42, s2
	v_lshrrev_b32_e32 v9, 4, v45
	v_and_b32_e32 v10, 15, v0
	v_lshlrev_b64 v[7:8], 4, v[7:8]
	s_mul_i32 s4, s17, s12
	v_mov_b32_e32 v1, 0
	s_ashr_i32 s5, s4, 31
	v_add_nc_u32_e32 v145, 0x4300, v142
	s_lshl_b64 s[4:5], s[4:5], 4
	v_add_co_u32 v7, s2, v11, v7
	v_add_co_ci_u32_e64 v8, null, v12, v8, s2
	v_lshl_add_u32 v146, v2, 6, 0x4300
	v_sub_co_u32 v11, s2, v7, v142
	v_subrev_co_ci_u32_e64 v12, null, 0, v8, s2
	s_lshl_b64 s[2:3], s[18:19], 4
	v_add_nc_u32_e32 v147, 0x4700, v142
	v_add_co_u32 v11, s2, v11, s2
	v_add_co_ci_u32_e64 v12, null, s3, v12, s2
	v_mad_u32_u24 v148, 0x10c0, v2, v142
	v_add_co_u32 v11, s2, v11, -16
	v_add_co_ci_u32_e64 v12, null, -1, v12, s2
	v_sub_co_u32 v143, s2, v39, s4
	v_cndmask_b32_e32 v7, v7, v11, vcc_lo
	v_cndmask_b32_e32 v8, v8, v12, vcc_lo
	v_and_b32_e32 v11, 48, v0
	v_lshlrev_b32_e32 v12, 6, v9
	v_mul_i32_i24_e32 v9, 0xffffffd0, v9
	v_subrev_co_ci_u32_e64 v144, null, s5, v40, s2
	v_lshlrev_b32_e32 v11, 4, v11
	v_mad_u32_u24 v149, 0x430, v10, v12
	v_or_b32_e32 v12, 0xf0, v142
	v_cmp_gt_u32_e64 s2, 64, v45
	s_ashr_i32 s21, s20, 31
	v_mad_u32_u24 v150, 0x430, v10, v11
	v_add_nc_u32_e32 v152, v149, v9
	v_mad_u32_u24 v151, 0x430, v10, v12
	s_lshl_b32 s11, s17, 6
	s_lshl_b64 s[4:5], s[20:21], 4
	s_mul_hi_i32 s12, s20, 0xd0
	s_mul_i32 s13, s20, 0xd0
	s_mov_b32 s8, 0
	s_branch .LBB58_144
.LBB58_143:                             ;   in Loop: Header=BB58_144 Depth=1
	s_or_b32 exec_lo, exec_lo, s9
	v_mul_f64 v[87:88], v[17:18], v[29:30]
	v_mul_f64 v[29:30], v[15:16], v[29:30]
	;; [unrolled: 1-line block ×4, first 2 shown]
	v_add_nc_u32_e32 v0, 64, v0
	s_add_i32 s6, s6, -1
	s_add_i32 s8, s8, s11
	s_cmp_eq_u32 s6, 0
	s_waitcnt_vscnt null, 0x0
	s_barrier
	buffer_gl0_inv
	v_fma_f64 v[15:16], v[15:16], v[27:28], -v[87:88]
	v_fma_f64 v[17:18], v[17:18], v[27:28], v[29:30]
	v_mul_f64 v[27:28], v[13:14], v[33:34]
	v_mul_f64 v[29:30], v[11:12], v[33:34]
	v_fma_f64 v[19:20], v[19:20], v[23:24], -v[89:90]
	v_fma_f64 v[21:22], v[21:22], v[23:24], v[25:26]
	v_add_f64 v[3:4], v[3:4], v[15:16]
	v_add_f64 v[5:6], v[5:6], v[17:18]
	v_mul_f64 v[15:16], v[9:10], v[49:50]
	v_mul_f64 v[17:18], v[7:8], v[49:50]
	v_fma_f64 v[11:12], v[11:12], v[31:32], -v[27:28]
	v_fma_f64 v[13:14], v[13:14], v[31:32], v[29:30]
	v_add_f64 v[3:4], v[3:4], v[19:20]
	v_add_f64 v[5:6], v[5:6], v[21:22]
	;; [unrolled: 6-line block ×14, first 2 shown]
	v_fma_f64 v[7:8], v[103:104], v[123:124], -v[7:8]
	v_fma_f64 v[9:10], v[105:106], v[123:124], v[9:10]
	v_add_f64 v[3:4], v[3:4], v[11:12]
	v_add_f64 v[5:6], v[5:6], v[13:14]
	;; [unrolled: 1-line block ×4, first 2 shown]
	v_add_co_u32 v7, s3, v140, s13
	v_add_co_ci_u32_e64 v8, null, s12, v141, s3
	s_cbranch_scc1 .LBB58_148
.LBB58_144:                             ; =>This Inner Loop Header: Depth=1
	s_and_saveexec_b32 s14, s1
	s_cbranch_execz .LBB58_146
; %bb.145:                              ;   in Loop: Header=BB58_144 Depth=1
	s_ashr_i32 s9, s8, 31
	s_lshl_b64 s[16:17], s[8:9], 4
	v_add_co_u32 v9, s3, v143, s16
	v_add_co_ci_u32_e64 v10, null, s17, v144, s3
	flat_load_dwordx4 v[9:12], v[9:10]
	s_waitcnt vmcnt(0) lgkmcnt(0)
	ds_write2_b64 v145, v[9:10], v[11:12] offset1:1
.LBB58_146:                             ;   in Loop: Header=BB58_144 Depth=1
	s_or_b32 exec_lo, exec_lo, s14
	v_add_co_u32 v9, s3, v7, s4
	v_add_co_ci_u32_e64 v10, null, s5, v8, s3
	s_waitcnt lgkmcnt(0)
	v_add_co_u32 v11, s3, v9, s4
	v_add_co_ci_u32_e64 v12, null, s5, v10, s3
	s_barrier
	v_add_co_u32 v27, s3, v11, s4
	buffer_gl0_inv
	flat_load_dwordx4 v[15:18], v[7:8]
	v_add_co_ci_u32_e64 v28, null, s5, v12, s3
	s_clause 0x2
	flat_load_dwordx4 v[19:22], v[9:10]
	flat_load_dwordx4 v[11:14], v[11:12]
	;; [unrolled: 1-line block ×3, first 2 shown]
	ds_read_b128 v[23:26], v147
	v_add_co_u32 v55, s3, v27, s13
	v_add_co_ci_u32_e64 v56, null, s12, v28, s3
	v_add_co_u32 v57, s3, v55, s4
	v_add_co_ci_u32_e64 v58, null, s5, v56, s3
	;; [unrolled: 2-line block ×12, first 2 shown]
	s_waitcnt vmcnt(3) lgkmcnt(0)
	v_mul_f64 v[29:30], v[17:18], v[25:26]
	v_mul_f64 v[31:32], v[17:18], v[23:24]
	s_waitcnt vmcnt(2)
	v_mul_f64 v[33:34], v[21:22], v[25:26]
	v_mul_f64 v[41:42], v[21:22], v[23:24]
	s_waitcnt vmcnt(1)
	;; [unrolled: 3-line block ×3, first 2 shown]
	v_mul_f64 v[47:48], v[9:10], v[25:26]
	v_mul_f64 v[49:50], v[9:10], v[23:24]
	v_fma_f64 v[35:36], v[15:16], v[23:24], v[29:30]
	v_fma_f64 v[37:38], v[15:16], v[25:26], -v[31:32]
	v_fma_f64 v[39:40], v[19:20], v[23:24], v[33:34]
	v_fma_f64 v[41:42], v[19:20], v[25:26], -v[41:42]
	v_fma_f64 v[43:44], v[11:12], v[23:24], v[43:44]
	v_fma_f64 v[45:46], v[11:12], v[25:26], -v[45:46]
	v_fma_f64 v[51:52], v[7:8], v[23:24], v[47:48]
	v_fma_f64 v[53:54], v[7:8], v[25:26], -v[49:50]
	ds_read_b128 v[27:30], v146
	ds_read_b128 v[23:26], v146 offset:16
	ds_read_b128 v[31:34], v146 offset:32
	;; [unrolled: 1-line block ×3, first 2 shown]
	ds_write_b128 v148, v[35:38]
	ds_write_b128 v148, v[39:42] offset:1072
	ds_write_b128 v148, v[43:46] offset:2144
	;; [unrolled: 1-line block ×3, first 2 shown]
	s_waitcnt lgkmcnt(0)
	s_barrier
	buffer_gl0_inv
	ds_read_b128 v[123:126], v149
	ds_read_b128 v[153:156], v149 offset:16
	ds_read_b128 v[157:160], v149 offset:32
	;; [unrolled: 1-line block ×3, first 2 shown]
	s_waitcnt lgkmcnt(0)
	s_barrier
	buffer_gl0_inv
	s_clause 0x3
	flat_load_dwordx4 v[51:54], v[55:56]
	flat_load_dwordx4 v[43:46], v[57:58]
	flat_load_dwordx4 v[39:42], v[59:60]
	flat_load_dwordx4 v[35:38], v[71:72]
	ds_read_b128 v[55:58], v147
	v_add_f64 v[205:206], v[123:124], 0
	v_add_f64 v[207:208], v[125:126], 0
	s_waitcnt vmcnt(2) lgkmcnt(0)
	v_mul_f64 v[63:64], v[45:46], v[57:58]
	v_mul_f64 v[59:60], v[53:54], v[57:58]
	;; [unrolled: 1-line block ×4, first 2 shown]
	s_waitcnt vmcnt(1)
	v_mul_f64 v[67:68], v[41:42], v[57:58]
	v_mul_f64 v[69:70], v[41:42], v[55:56]
	s_waitcnt vmcnt(0)
	v_mul_f64 v[73:74], v[37:38], v[57:58]
	v_mul_f64 v[75:76], v[37:38], v[55:56]
	v_fma_f64 v[63:64], v[43:44], v[55:56], v[63:64]
	v_fma_f64 v[59:60], v[51:52], v[55:56], v[59:60]
	v_fma_f64 v[61:62], v[51:52], v[57:58], -v[61:62]
	v_fma_f64 v[65:66], v[43:44], v[57:58], -v[65:66]
	v_fma_f64 v[67:68], v[39:40], v[55:56], v[67:68]
	v_fma_f64 v[69:70], v[39:40], v[57:58], -v[69:70]
	v_fma_f64 v[55:56], v[35:36], v[55:56], v[73:74]
	v_fma_f64 v[57:58], v[35:36], v[57:58], -v[75:76]
	ds_read_b128 v[83:86], v146 offset:256
	ds_read_b128 v[79:82], v146 offset:272
	;; [unrolled: 1-line block ×4, first 2 shown]
	ds_write_b128 v148, v[59:62]
	ds_write_b128 v148, v[63:66] offset:1072
	ds_write_b128 v148, v[67:70] offset:2144
	;; [unrolled: 1-line block ×3, first 2 shown]
	s_waitcnt lgkmcnt(0)
	s_barrier
	buffer_gl0_inv
	ds_read_b128 v[161:164], v149
	ds_read_b128 v[165:168], v149 offset:16
	ds_read_b128 v[169:172], v149 offset:32
	;; [unrolled: 1-line block ×3, first 2 shown]
	s_waitcnt lgkmcnt(0)
	s_barrier
	buffer_gl0_inv
	s_clause 0x2
	flat_load_dwordx4 v[67:70], v[91:92]
	flat_load_dwordx4 v[63:66], v[93:94]
	;; [unrolled: 1-line block ×4, first 2 shown]
	ds_read_b128 v[91:94], v147
	v_add_f64 v[161:162], v[161:162], 0
	v_add_f64 v[163:164], v[163:164], 0
	;; [unrolled: 1-line block ×6, first 2 shown]
	s_waitcnt vmcnt(2) lgkmcnt(0)
	v_mul_f64 v[99:100], v[65:66], v[93:94]
	v_mul_f64 v[95:96], v[69:70], v[93:94]
	;; [unrolled: 1-line block ×4, first 2 shown]
	s_waitcnt vmcnt(1)
	v_mul_f64 v[103:104], v[61:62], v[93:94]
	v_mul_f64 v[105:106], v[61:62], v[91:92]
	s_waitcnt vmcnt(0)
	v_mul_f64 v[109:110], v[57:58], v[93:94]
	v_mul_f64 v[111:112], v[57:58], v[91:92]
	v_fma_f64 v[99:100], v[63:64], v[91:92], v[99:100]
	v_fma_f64 v[95:96], v[67:68], v[91:92], v[95:96]
	v_fma_f64 v[97:98], v[67:68], v[93:94], -v[97:98]
	v_fma_f64 v[101:102], v[63:64], v[93:94], -v[101:102]
	v_fma_f64 v[103:104], v[59:60], v[91:92], v[103:104]
	v_fma_f64 v[105:106], v[59:60], v[93:94], -v[105:106]
	v_fma_f64 v[91:92], v[55:56], v[91:92], v[109:110]
	v_fma_f64 v[93:94], v[55:56], v[93:94], -v[111:112]
	ds_read_b128 v[119:122], v146 offset:512
	ds_read_b128 v[115:118], v146 offset:528
	;; [unrolled: 1-line block ×4, first 2 shown]
	ds_write_b128 v148, v[95:98]
	ds_write_b128 v148, v[99:102] offset:1072
	ds_write_b128 v148, v[103:106] offset:2144
	;; [unrolled: 1-line block ×3, first 2 shown]
	s_waitcnt lgkmcnt(0)
	s_barrier
	buffer_gl0_inv
	ds_read_b128 v[177:180], v149
	ds_read_b128 v[181:184], v149 offset:16
	ds_read_b128 v[185:188], v149 offset:32
	ds_read_b128 v[189:192], v149 offset:48
	s_waitcnt lgkmcnt(0)
	s_barrier
	buffer_gl0_inv
	flat_load_dwordx4 v[99:102], v[127:128]
	flat_load_dwordx4 v[95:98], v[129:130]
	flat_load_dwordx4 v[91:94], v[131:132]
	flat_load_dwordx4 v[103:106], v[140:141]
	ds_read_b128 v[127:130], v147
	v_add_f64 v[177:178], v[177:178], 0
	v_add_f64 v[179:180], v[179:180], 0
	;; [unrolled: 1-line block ×6, first 2 shown]
	s_waitcnt vmcnt(3) lgkmcnt(0)
	v_mul_f64 v[131:132], v[101:102], v[129:130]
	s_waitcnt vmcnt(2)
	v_mul_f64 v[135:136], v[97:98], v[129:130]
	v_mul_f64 v[133:134], v[101:102], v[127:128]
	;; [unrolled: 1-line block ×3, first 2 shown]
	s_waitcnt vmcnt(1)
	v_mul_f64 v[197:198], v[93:94], v[129:130]
	v_mul_f64 v[199:200], v[93:94], v[127:128]
	s_waitcnt vmcnt(0)
	v_mul_f64 v[201:202], v[105:106], v[129:130]
	v_fma_f64 v[131:132], v[99:100], v[127:128], v[131:132]
	v_fma_f64 v[193:194], v[95:96], v[127:128], v[135:136]
	v_mul_f64 v[135:136], v[105:106], v[127:128]
	v_fma_f64 v[133:134], v[99:100], v[129:130], -v[133:134]
	v_fma_f64 v[195:196], v[95:96], v[129:130], -v[137:138]
	v_fma_f64 v[197:198], v[91:92], v[127:128], v[197:198]
	v_fma_f64 v[199:200], v[91:92], v[129:130], -v[199:200]
	v_fma_f64 v[201:202], v[103:104], v[127:128], v[201:202]
	v_fma_f64 v[203:204], v[103:104], v[129:130], -v[135:136]
	ds_write_b128 v148, v[131:134]
	ds_read_b128 v[135:138], v146 offset:768
	ds_read_b128 v[131:134], v146 offset:784
	ds_write_b128 v148, v[193:196] offset:1072
	ds_write_b128 v148, v[197:200] offset:2144
	ds_read_b128 v[127:130], v146 offset:800
	ds_read_b128 v[123:126], v146 offset:816
	v_add_f64 v[197:198], v[205:206], v[153:154]
	v_add_f64 v[199:200], v[207:208], v[155:156]
	ds_write_b128 v148, v[201:204] offset:3216
	s_waitcnt lgkmcnt(0)
	s_barrier
	buffer_gl0_inv
	ds_read_b128 v[193:196], v149
	ds_read_b128 v[153:156], v149 offset:16
	v_add_f64 v[181:182], v[197:198], v[157:158]
	v_add_f64 v[183:184], v[199:200], v[159:160]
	ds_read_b128 v[157:160], v149 offset:48
	s_waitcnt lgkmcnt(2)
	v_add_f64 v[193:194], v[193:194], 0
	v_add_f64 v[195:196], v[195:196], 0
	;; [unrolled: 1-line block ×4, first 2 shown]
	s_waitcnt lgkmcnt(1)
	v_add_f64 v[177:178], v[193:194], v[153:154]
	v_add_f64 v[179:180], v[195:196], v[155:156]
	ds_read_b128 v[153:156], v149 offset:32
	s_waitcnt lgkmcnt(0)
	s_barrier
	buffer_gl0_inv
	v_add_f64 v[169:170], v[177:178], v[153:154]
	v_add_f64 v[171:172], v[179:180], v[155:156]
	;; [unrolled: 1-line block ×8, first 2 shown]
	ds_write_b128 v152, v[87:90]
	ds_write_b128 v152, v[153:156] offset:256
	ds_write_b128 v152, v[161:164] offset:512
	;; [unrolled: 1-line block ×3, first 2 shown]
	s_waitcnt lgkmcnt(0)
	s_barrier
	buffer_gl0_inv
	s_and_saveexec_b32 s9, s2
	s_cbranch_execz .LBB58_143
; %bb.147:                              ;   in Loop: Header=BB58_144 Depth=1
	ds_read_b128 v[87:90], v150
	ds_read_b128 v[153:156], v150 offset:16
	s_waitcnt lgkmcnt(0)
	v_add_f64 v[157:158], v[153:154], v[87:88]
	v_add_f64 v[159:160], v[155:156], v[89:90]
	ds_read_b128 v[87:90], v150 offset:32
	ds_read_b128 v[153:156], v150 offset:48
	s_waitcnt lgkmcnt(1)
	v_add_f64 v[87:88], v[157:158], v[87:88]
	v_add_f64 v[89:90], v[159:160], v[89:90]
	s_waitcnt lgkmcnt(0)
	v_add_f64 v[157:158], v[87:88], v[153:154]
	v_add_f64 v[159:160], v[89:90], v[155:156]
	ds_read_b128 v[87:90], v150 offset:64
	ds_read_b128 v[153:156], v150 offset:80
	s_waitcnt lgkmcnt(1)
	v_add_f64 v[87:88], v[157:158], v[87:88]
	v_add_f64 v[89:90], v[159:160], v[89:90]
	;; [unrolled: 8-line block ×6, first 2 shown]
	s_waitcnt lgkmcnt(0)
	v_add_f64 v[157:158], v[87:88], v[153:154]
	v_add_f64 v[159:160], v[89:90], v[155:156]
	ds_read_b128 v[87:90], v150 offset:224
	ds_read_b128 v[153:156], v151
	s_waitcnt lgkmcnt(1)
	v_add_f64 v[87:88], v[157:158], v[87:88]
	v_add_f64 v[89:90], v[159:160], v[89:90]
	s_waitcnt lgkmcnt(0)
	v_add_f64 v[87:88], v[87:88], v[153:154]
	v_add_f64 v[89:90], v[89:90], v[155:156]
	v_lshlrev_b64 v[153:154], 4, v[0:1]
	v_add_co_u32 v153, s3, s7, v153
	v_add_co_ci_u32_e64 v154, null, s10, v154, s3
	global_store_dwordx4 v[153:154], v[87:90], off
	s_branch .LBB58_143
.LBB58_148:
	v_mad_u32_u24 v0, 0x430, v2, v142
	s_nor_b32 s0, s0, vcc_lo
	ds_write_b128 v0, v[3:6]
	s_waitcnt lgkmcnt(0)
	s_barrier
	buffer_gl0_inv
	s_and_saveexec_b32 s1, s0
	s_cbranch_execz .LBB58_150
; %bb.149:
	ds_read_b128 v[0:3], v142 offset:1072
	ds_read_b128 v[4:7], v142
	v_ashrrev_i32_e32 v140, 31, v139
	s_waitcnt lgkmcnt(0)
	v_add_f64 v[8:9], v[0:1], v[4:5]
	v_add_f64 v[10:11], v[2:3], v[6:7]
	ds_read_b128 v[0:3], v142 offset:2144
	ds_read_b128 v[4:7], v142 offset:3216
	s_waitcnt lgkmcnt(1)
	v_add_f64 v[0:1], v[8:9], v[0:1]
	v_add_f64 v[2:3], v[10:11], v[2:3]
	s_waitcnt lgkmcnt(0)
	v_add_f64 v[0:1], v[0:1], v[4:5]
	v_add_f64 v[2:3], v[2:3], v[6:7]
	v_lshlrev_b64 v[4:5], 4, v[139:140]
	v_add_co_u32 v4, vcc_lo, s7, v4
	v_add_co_ci_u32_e64 v5, null, s10, v5, vcc_lo
	global_store_dwordx4 v[4:5], v[0:3], off
.LBB58_150:
	s_endpgm
	.section	.rodata,"a",@progbits
	.p2align	6, 0x0
	.amdhsa_kernel _ZL26rocblas_hemvn_kernel_lowerILb1ELi64ELi4ELi33ELi32ELi16EiPK19rocblas_complex_numIdEPKS3_PS1_EviT6_lT7_lT5_lS8_lS9_lS7_lT8_i
		.amdhsa_group_segment_fixed_size 19200
		.amdhsa_private_segment_fixed_size 0
		.amdhsa_kernarg_size 376
		.amdhsa_user_sgpr_count 6
		.amdhsa_user_sgpr_private_segment_buffer 1
		.amdhsa_user_sgpr_dispatch_ptr 0
		.amdhsa_user_sgpr_queue_ptr 0
		.amdhsa_user_sgpr_kernarg_segment_ptr 1
		.amdhsa_user_sgpr_dispatch_id 0
		.amdhsa_user_sgpr_flat_scratch_init 0
		.amdhsa_user_sgpr_private_segment_size 0
		.amdhsa_wavefront_size32 1
		.amdhsa_uses_dynamic_stack 0
		.amdhsa_system_sgpr_private_segment_wavefront_offset 0
		.amdhsa_system_sgpr_workgroup_id_x 1
		.amdhsa_system_sgpr_workgroup_id_y 0
		.amdhsa_system_sgpr_workgroup_id_z 1
		.amdhsa_system_sgpr_workgroup_info 0
		.amdhsa_system_vgpr_workitem_id 1
		.amdhsa_next_free_vgpr 209
		.amdhsa_next_free_sgpr 32
		.amdhsa_reserve_vcc 1
		.amdhsa_reserve_flat_scratch 1
		.amdhsa_float_round_mode_32 0
		.amdhsa_float_round_mode_16_64 0
		.amdhsa_float_denorm_mode_32 3
		.amdhsa_float_denorm_mode_16_64 3
		.amdhsa_dx10_clamp 1
		.amdhsa_ieee_mode 1
		.amdhsa_fp16_overflow 0
		.amdhsa_workgroup_processor_mode 1
		.amdhsa_memory_ordered 1
		.amdhsa_forward_progress 1
		.amdhsa_shared_vgpr_count 0
		.amdhsa_exception_fp_ieee_invalid_op 0
		.amdhsa_exception_fp_denorm_src 0
		.amdhsa_exception_fp_ieee_div_zero 0
		.amdhsa_exception_fp_ieee_overflow 0
		.amdhsa_exception_fp_ieee_underflow 0
		.amdhsa_exception_fp_ieee_inexact 0
		.amdhsa_exception_int_div_zero 0
	.end_amdhsa_kernel
	.section	.text._ZL26rocblas_hemvn_kernel_lowerILb1ELi64ELi4ELi33ELi32ELi16EiPK19rocblas_complex_numIdEPKS3_PS1_EviT6_lT7_lT5_lS8_lS9_lS7_lT8_i,"axG",@progbits,_ZL26rocblas_hemvn_kernel_lowerILb1ELi64ELi4ELi33ELi32ELi16EiPK19rocblas_complex_numIdEPKS3_PS1_EviT6_lT7_lT5_lS8_lS9_lS7_lT8_i,comdat
.Lfunc_end58:
	.size	_ZL26rocblas_hemvn_kernel_lowerILb1ELi64ELi4ELi33ELi32ELi16EiPK19rocblas_complex_numIdEPKS3_PS1_EviT6_lT7_lT5_lS8_lS9_lS7_lT8_i, .Lfunc_end58-_ZL26rocblas_hemvn_kernel_lowerILb1ELi64ELi4ELi33ELi32ELi16EiPK19rocblas_complex_numIdEPKS3_PS1_EviT6_lT7_lT5_lS8_lS9_lS7_lT8_i
                                        ; -- End function
	.set _ZL26rocblas_hemvn_kernel_lowerILb1ELi64ELi4ELi33ELi32ELi16EiPK19rocblas_complex_numIdEPKS3_PS1_EviT6_lT7_lT5_lS8_lS9_lS7_lT8_i.num_vgpr, 209
	.set _ZL26rocblas_hemvn_kernel_lowerILb1ELi64ELi4ELi33ELi32ELi16EiPK19rocblas_complex_numIdEPKS3_PS1_EviT6_lT7_lT5_lS8_lS9_lS7_lT8_i.num_agpr, 0
	.set _ZL26rocblas_hemvn_kernel_lowerILb1ELi64ELi4ELi33ELi32ELi16EiPK19rocblas_complex_numIdEPKS3_PS1_EviT6_lT7_lT5_lS8_lS9_lS7_lT8_i.numbered_sgpr, 32
	.set _ZL26rocblas_hemvn_kernel_lowerILb1ELi64ELi4ELi33ELi32ELi16EiPK19rocblas_complex_numIdEPKS3_PS1_EviT6_lT7_lT5_lS8_lS9_lS7_lT8_i.num_named_barrier, 0
	.set _ZL26rocblas_hemvn_kernel_lowerILb1ELi64ELi4ELi33ELi32ELi16EiPK19rocblas_complex_numIdEPKS3_PS1_EviT6_lT7_lT5_lS8_lS9_lS7_lT8_i.private_seg_size, 0
	.set _ZL26rocblas_hemvn_kernel_lowerILb1ELi64ELi4ELi33ELi32ELi16EiPK19rocblas_complex_numIdEPKS3_PS1_EviT6_lT7_lT5_lS8_lS9_lS7_lT8_i.uses_vcc, 1
	.set _ZL26rocblas_hemvn_kernel_lowerILb1ELi64ELi4ELi33ELi32ELi16EiPK19rocblas_complex_numIdEPKS3_PS1_EviT6_lT7_lT5_lS8_lS9_lS7_lT8_i.uses_flat_scratch, 1
	.set _ZL26rocblas_hemvn_kernel_lowerILb1ELi64ELi4ELi33ELi32ELi16EiPK19rocblas_complex_numIdEPKS3_PS1_EviT6_lT7_lT5_lS8_lS9_lS7_lT8_i.has_dyn_sized_stack, 0
	.set _ZL26rocblas_hemvn_kernel_lowerILb1ELi64ELi4ELi33ELi32ELi16EiPK19rocblas_complex_numIdEPKS3_PS1_EviT6_lT7_lT5_lS8_lS9_lS7_lT8_i.has_recursion, 0
	.set _ZL26rocblas_hemvn_kernel_lowerILb1ELi64ELi4ELi33ELi32ELi16EiPK19rocblas_complex_numIdEPKS3_PS1_EviT6_lT7_lT5_lS8_lS9_lS7_lT8_i.has_indirect_call, 0
	.section	.AMDGPU.csdata,"",@progbits
; Kernel info:
; codeLenInByte = 10544
; TotalNumSgprs: 34
; NumVgprs: 209
; ScratchSize: 0
; MemoryBound: 0
; FloatMode: 240
; IeeeMode: 1
; LDSByteSize: 19200 bytes/workgroup (compile time only)
; SGPRBlocks: 0
; VGPRBlocks: 26
; NumSGPRsForWavesPerEU: 34
; NumVGPRsForWavesPerEU: 209
; Occupancy: 4
; WaveLimiterHint : 1
; COMPUTE_PGM_RSRC2:SCRATCH_EN: 0
; COMPUTE_PGM_RSRC2:USER_SGPR: 6
; COMPUTE_PGM_RSRC2:TRAP_HANDLER: 0
; COMPUTE_PGM_RSRC2:TGID_X_EN: 1
; COMPUTE_PGM_RSRC2:TGID_Y_EN: 0
; COMPUTE_PGM_RSRC2:TGID_Z_EN: 1
; COMPUTE_PGM_RSRC2:TIDIG_COMP_CNT: 1
	.section	.text._ZL36rocblas_hemvn_kernel_lower_block_sumILi64EiPK19rocblas_complex_numIdEPKPS1_S1_EviT1_lS7_lT2_lT0_lPT3_i,"axG",@progbits,_ZL36rocblas_hemvn_kernel_lower_block_sumILi64EiPK19rocblas_complex_numIdEPKPS1_S1_EviT1_lS7_lT2_lT0_lPT3_i,comdat
	.globl	_ZL36rocblas_hemvn_kernel_lower_block_sumILi64EiPK19rocblas_complex_numIdEPKPS1_S1_EviT1_lS7_lT2_lT0_lPT3_i ; -- Begin function _ZL36rocblas_hemvn_kernel_lower_block_sumILi64EiPK19rocblas_complex_numIdEPKPS1_S1_EviT1_lS7_lT2_lT0_lPT3_i
	.p2align	8
	.type	_ZL36rocblas_hemvn_kernel_lower_block_sumILi64EiPK19rocblas_complex_numIdEPKPS1_S1_EviT1_lS7_lT2_lT0_lPT3_i,@function
_ZL36rocblas_hemvn_kernel_lower_block_sumILi64EiPK19rocblas_complex_numIdEPKPS1_S1_EviT1_lS7_lT2_lT0_lPT3_i: ; @_ZL36rocblas_hemvn_kernel_lower_block_sumILi64EiPK19rocblas_complex_numIdEPKPS1_S1_EviT1_lS7_lT2_lT0_lPT3_i
; %bb.0:
	s_load_dwordx8 s[12:19], s[4:5], 0x8
	s_mov_b32 s2, s7
	s_waitcnt lgkmcnt(0)
	s_mul_i32 s1, s15, s7
	s_mul_hi_u32 s3, s14, s7
	s_mul_i32 s0, s14, s7
	s_add_i32 s1, s3, s1
	s_lshl_b64 s[0:1], s[0:1], 4
	s_add_u32 s0, s12, s0
	s_addc_u32 s1, s13, s1
	s_load_dwordx4 s[12:15], s[0:1], 0x0
	s_mul_i32 s0, s19, s7
	s_mul_hi_u32 s1, s18, s7
	s_add_i32 s1, s1, s0
	s_mul_i32 s0, s18, s2
	s_lshl_b64 s[0:1], s[0:1], 4
	s_add_u32 s0, s16, s0
	s_addc_u32 s1, s17, s1
	s_load_dwordx4 s[8:11], s[0:1], 0x0
	s_mov_b32 s1, -1
	s_waitcnt lgkmcnt(0)
	v_cmp_neq_f64_e64 s3, s[12:13], 0
	v_cmp_neq_f64_e64 s7, s[14:15], 0
	s_or_b32 s0, s3, s7
	s_and_b32 vcc_lo, exec_lo, s0
	s_cbranch_vccnz .LBB59_2
; %bb.1:
	v_cmp_neq_f64_e64 s1, s[8:9], 1.0
	v_cmp_neq_f64_e64 s3, s[10:11], 0
	s_or_b32 s1, s1, s3
.LBB59_2:
	s_andn2_b32 vcc_lo, exec_lo, s1
	s_cbranch_vccnz .LBB59_22
; %bb.3:
	s_load_dwordx4 s[20:23], s[4:5], 0x28
	s_mov_b32 s3, 0
	s_xor_b32 s17, s0, -1
	s_lshl_b64 s[0:1], s[2:3], 3
	s_clause 0x1
	s_load_dword s19, s[4:5], 0x38
	s_load_dword s16, s[4:5], 0x0
	v_lshl_or_b32 v4, s6, 6, v0
	s_waitcnt lgkmcnt(0)
	s_add_u32 s0, s20, s0
	s_addc_u32 s1, s21, s1
	s_lshl_b64 s[22:23], s[22:23], 4
	s_load_dwordx2 s[20:21], s[0:1], 0x0
	v_cmp_gt_i32_e64 s0, s16, v4
	s_waitcnt lgkmcnt(0)
	s_add_u32 s7, s20, s22
	s_addc_u32 s18, s21, s23
	s_andn2_b32 vcc_lo, exec_lo, s17
	s_cbranch_vccnz .LBB59_8
; %bb.4:
	s_mov_b32 s1, 0
                                        ; implicit-def: $vgpr2_vgpr3
                                        ; implicit-def: $vgpr5_vgpr6
	s_and_saveexec_b32 s17, s0
	s_cbranch_execz .LBB59_9
; %bb.5:
	v_cmp_neq_f64_e64 s0, s[8:9], 0
	v_cmp_neq_f64_e64 s3, s[10:11], 0
	v_mul_lo_u32 v5, s19, v4
	v_mov_b32_e32 v2, 0
	v_mov_b32_e32 v0, 0
	;; [unrolled: 1-line block ×4, first 2 shown]
	v_ashrrev_i32_e32 v6, 31, v5
	s_or_b32 s0, s0, s3
	s_andn2_b32 vcc_lo, exec_lo, s0
	s_cbranch_vccnz .LBB59_7
; %bb.6:
	v_lshlrev_b64 v[0:1], 4, v[5:6]
	v_add_co_u32 v0, vcc_lo, s7, v0
	v_add_co_ci_u32_e64 v1, null, s18, v1, vcc_lo
	flat_load_dwordx4 v[7:10], v[0:1]
	s_waitcnt vmcnt(0) lgkmcnt(0)
	v_mul_f64 v[0:1], s[10:11], v[9:10]
	v_mul_f64 v[2:3], s[8:9], v[9:10]
	v_fma_f64 v[0:1], s[8:9], v[7:8], -v[0:1]
	v_fma_f64 v[2:3], s[10:11], v[7:8], v[2:3]
.LBB59_7:
	s_mov_b32 s3, exec_lo
	s_or_b32 exec_lo, exec_lo, s17
	s_and_b32 vcc_lo, exec_lo, s1
	s_cbranch_vccnz .LBB59_10
	s_branch .LBB59_20
.LBB59_8:
                                        ; implicit-def: $vgpr2_vgpr3
                                        ; implicit-def: $vgpr5_vgpr6
	s_cbranch_execnz .LBB59_10
	s_branch .LBB59_20
.LBB59_9:
	s_or_b32 exec_lo, exec_lo, s17
	s_and_b32 vcc_lo, exec_lo, s1
	s_cbranch_vccz .LBB59_20
.LBB59_10:
	s_mov_b32 s20, exec_lo
                                        ; implicit-def: $vgpr2_vgpr3
                                        ; implicit-def: $vgpr5_vgpr6
	v_cmpx_gt_i32_e64 s16, v4
	s_cbranch_execz .LBB59_19
; %bb.11:
	s_load_dword s21, s[4:5], 0x58
	v_mov_b32_e32 v0, 0
	v_mov_b32_e32 v2, 0
	;; [unrolled: 1-line block ×4, first 2 shown]
	s_waitcnt lgkmcnt(0)
	s_cmp_ge_i32 s6, s21
	s_cbranch_scc1 .LBB59_14
; %bb.12:
	s_load_dwordx2 s[0:1], s[4:5], 0x48
	v_mad_u64_u32 v[0:1], null, s16, s6, v[4:5]
	s_ashr_i32 s17, s16, 31
	s_mul_hi_u32 s4, s16, s2
	s_mul_i32 s5, s17, s2
	s_mul_i32 s2, s16, s2
	s_add_i32 s4, s4, s5
	s_mul_hi_u32 s5, s2, s21
	v_ashrrev_i32_e32 v1, 31, v0
	s_mul_i32 s22, s4, s21
	s_mul_i32 s4, s2, s21
	s_add_i32 s5, s5, s22
	v_lshlrev_b64 v[2:3], 4, v[0:1]
	s_lshl_b64 s[4:5], s[4:5], 4
	v_mov_b32_e32 v0, 0
	v_mov_b32_e32 v1, 0
	s_waitcnt lgkmcnt(0)
	s_add_u32 s0, s0, s4
	s_addc_u32 s1, s1, s5
	v_add_co_u32 v5, vcc_lo, s0, v2
	v_add_co_ci_u32_e64 v6, null, s1, v3, vcc_lo
	v_mov_b32_e32 v2, 0
	v_add_co_u32 v5, vcc_lo, v5, 8
	v_mov_b32_e32 v3, 0
	v_add_co_ci_u32_e64 v6, null, 0, v6, vcc_lo
	s_lshl_b64 s[0:1], s[16:17], 4
.LBB59_13:                              ; =>This Inner Loop Header: Depth=1
	global_load_dwordx4 v[7:10], v[5:6], off offset:-8
	v_add_co_u32 v5, vcc_lo, v5, s0
	v_add_co_ci_u32_e64 v6, null, s1, v6, vcc_lo
	s_add_i32 s6, s6, 1
	s_cmp_ge_i32 s6, s21
	s_waitcnt vmcnt(0)
	v_add_f64 v[2:3], v[2:3], v[7:8]
	v_add_f64 v[0:1], v[0:1], v[9:10]
	s_cbranch_scc0 .LBB59_13
.LBB59_14:
	v_mul_f64 v[5:6], s[14:15], v[0:1]
	v_mul_f64 v[7:8], s[12:13], v[0:1]
	v_cmp_neq_f64_e64 s0, s[8:9], 0
	v_cmp_neq_f64_e64 s1, s[10:11], 0
	v_fma_f64 v[0:1], s[12:13], v[2:3], -v[5:6]
	v_fma_f64 v[2:3], s[14:15], v[2:3], v[7:8]
	v_mul_lo_u32 v5, s19, v4
	s_or_b32 s0, s0, s1
	s_andn2_b32 vcc_lo, exec_lo, s0
	v_ashrrev_i32_e32 v6, 31, v5
	s_cbranch_vccz .LBB59_16
; %bb.15:
	s_cbranch_execz .LBB59_17
	s_branch .LBB59_18
.LBB59_16:
.LBB59_17:
	v_lshlrev_b64 v[7:8], 4, v[5:6]
	v_add_co_u32 v7, vcc_lo, s7, v7
	v_add_co_ci_u32_e64 v8, null, s18, v8, vcc_lo
	flat_load_dwordx4 v[7:10], v[7:8]
	s_waitcnt vmcnt(0) lgkmcnt(0)
	v_mul_f64 v[11:12], s[10:11], v[9:10]
	v_mul_f64 v[9:10], s[8:9], v[9:10]
	v_fma_f64 v[11:12], s[8:9], v[7:8], -v[11:12]
	v_fma_f64 v[7:8], s[10:11], v[7:8], v[9:10]
	v_add_f64 v[0:1], v[0:1], v[11:12]
	v_add_f64 v[2:3], v[2:3], v[7:8]
.LBB59_18:
	s_or_b32 s3, s3, exec_lo
.LBB59_19:
	s_or_b32 exec_lo, exec_lo, s20
.LBB59_20:
	s_and_saveexec_b32 s0, s3
	s_cbranch_execz .LBB59_22
; %bb.21:
	v_lshlrev_b64 v[4:5], 4, v[5:6]
	v_add_co_u32 v4, vcc_lo, s7, v4
	v_add_co_ci_u32_e64 v5, null, s18, v5, vcc_lo
	flat_store_dwordx4 v[4:5], v[0:3]
.LBB59_22:
	s_endpgm
	.section	.rodata,"a",@progbits
	.p2align	6, 0x0
	.amdhsa_kernel _ZL36rocblas_hemvn_kernel_lower_block_sumILi64EiPK19rocblas_complex_numIdEPKPS1_S1_EviT1_lS7_lT2_lT0_lPT3_i
		.amdhsa_group_segment_fixed_size 0
		.amdhsa_private_segment_fixed_size 0
		.amdhsa_kernarg_size 344
		.amdhsa_user_sgpr_count 6
		.amdhsa_user_sgpr_private_segment_buffer 1
		.amdhsa_user_sgpr_dispatch_ptr 0
		.amdhsa_user_sgpr_queue_ptr 0
		.amdhsa_user_sgpr_kernarg_segment_ptr 1
		.amdhsa_user_sgpr_dispatch_id 0
		.amdhsa_user_sgpr_flat_scratch_init 0
		.amdhsa_user_sgpr_private_segment_size 0
		.amdhsa_wavefront_size32 1
		.amdhsa_uses_dynamic_stack 0
		.amdhsa_system_sgpr_private_segment_wavefront_offset 0
		.amdhsa_system_sgpr_workgroup_id_x 1
		.amdhsa_system_sgpr_workgroup_id_y 0
		.amdhsa_system_sgpr_workgroup_id_z 1
		.amdhsa_system_sgpr_workgroup_info 0
		.amdhsa_system_vgpr_workitem_id 0
		.amdhsa_next_free_vgpr 13
		.amdhsa_next_free_sgpr 24
		.amdhsa_reserve_vcc 1
		.amdhsa_reserve_flat_scratch 0
		.amdhsa_float_round_mode_32 0
		.amdhsa_float_round_mode_16_64 0
		.amdhsa_float_denorm_mode_32 3
		.amdhsa_float_denorm_mode_16_64 3
		.amdhsa_dx10_clamp 1
		.amdhsa_ieee_mode 1
		.amdhsa_fp16_overflow 0
		.amdhsa_workgroup_processor_mode 1
		.amdhsa_memory_ordered 1
		.amdhsa_forward_progress 1
		.amdhsa_shared_vgpr_count 0
		.amdhsa_exception_fp_ieee_invalid_op 0
		.amdhsa_exception_fp_denorm_src 0
		.amdhsa_exception_fp_ieee_div_zero 0
		.amdhsa_exception_fp_ieee_overflow 0
		.amdhsa_exception_fp_ieee_underflow 0
		.amdhsa_exception_fp_ieee_inexact 0
		.amdhsa_exception_int_div_zero 0
	.end_amdhsa_kernel
	.section	.text._ZL36rocblas_hemvn_kernel_lower_block_sumILi64EiPK19rocblas_complex_numIdEPKPS1_S1_EviT1_lS7_lT2_lT0_lPT3_i,"axG",@progbits,_ZL36rocblas_hemvn_kernel_lower_block_sumILi64EiPK19rocblas_complex_numIdEPKPS1_S1_EviT1_lS7_lT2_lT0_lPT3_i,comdat
.Lfunc_end59:
	.size	_ZL36rocblas_hemvn_kernel_lower_block_sumILi64EiPK19rocblas_complex_numIdEPKPS1_S1_EviT1_lS7_lT2_lT0_lPT3_i, .Lfunc_end59-_ZL36rocblas_hemvn_kernel_lower_block_sumILi64EiPK19rocblas_complex_numIdEPKPS1_S1_EviT1_lS7_lT2_lT0_lPT3_i
                                        ; -- End function
	.set _ZL36rocblas_hemvn_kernel_lower_block_sumILi64EiPK19rocblas_complex_numIdEPKPS1_S1_EviT1_lS7_lT2_lT0_lPT3_i.num_vgpr, 13
	.set _ZL36rocblas_hemvn_kernel_lower_block_sumILi64EiPK19rocblas_complex_numIdEPKPS1_S1_EviT1_lS7_lT2_lT0_lPT3_i.num_agpr, 0
	.set _ZL36rocblas_hemvn_kernel_lower_block_sumILi64EiPK19rocblas_complex_numIdEPKPS1_S1_EviT1_lS7_lT2_lT0_lPT3_i.numbered_sgpr, 24
	.set _ZL36rocblas_hemvn_kernel_lower_block_sumILi64EiPK19rocblas_complex_numIdEPKPS1_S1_EviT1_lS7_lT2_lT0_lPT3_i.num_named_barrier, 0
	.set _ZL36rocblas_hemvn_kernel_lower_block_sumILi64EiPK19rocblas_complex_numIdEPKPS1_S1_EviT1_lS7_lT2_lT0_lPT3_i.private_seg_size, 0
	.set _ZL36rocblas_hemvn_kernel_lower_block_sumILi64EiPK19rocblas_complex_numIdEPKPS1_S1_EviT1_lS7_lT2_lT0_lPT3_i.uses_vcc, 1
	.set _ZL36rocblas_hemvn_kernel_lower_block_sumILi64EiPK19rocblas_complex_numIdEPKPS1_S1_EviT1_lS7_lT2_lT0_lPT3_i.uses_flat_scratch, 0
	.set _ZL36rocblas_hemvn_kernel_lower_block_sumILi64EiPK19rocblas_complex_numIdEPKPS1_S1_EviT1_lS7_lT2_lT0_lPT3_i.has_dyn_sized_stack, 0
	.set _ZL36rocblas_hemvn_kernel_lower_block_sumILi64EiPK19rocblas_complex_numIdEPKPS1_S1_EviT1_lS7_lT2_lT0_lPT3_i.has_recursion, 0
	.set _ZL36rocblas_hemvn_kernel_lower_block_sumILi64EiPK19rocblas_complex_numIdEPKPS1_S1_EviT1_lS7_lT2_lT0_lPT3_i.has_indirect_call, 0
	.section	.AMDGPU.csdata,"",@progbits
; Kernel info:
; codeLenInByte = 884
; TotalNumSgprs: 26
; NumVgprs: 13
; ScratchSize: 0
; MemoryBound: 0
; FloatMode: 240
; IeeeMode: 1
; LDSByteSize: 0 bytes/workgroup (compile time only)
; SGPRBlocks: 0
; VGPRBlocks: 1
; NumSGPRsForWavesPerEU: 26
; NumVGPRsForWavesPerEU: 13
; Occupancy: 16
; WaveLimiterHint : 1
; COMPUTE_PGM_RSRC2:SCRATCH_EN: 0
; COMPUTE_PGM_RSRC2:USER_SGPR: 6
; COMPUTE_PGM_RSRC2:TRAP_HANDLER: 0
; COMPUTE_PGM_RSRC2:TGID_X_EN: 1
; COMPUTE_PGM_RSRC2:TGID_Y_EN: 0
; COMPUTE_PGM_RSRC2:TGID_Z_EN: 1
; COMPUTE_PGM_RSRC2:TIDIG_COMP_CNT: 0
	.section	.text._ZL26rocblas_hemvn_kernel_lowerILb1ELi64ELi4ELi33ELi32ELi16El19rocblas_complex_numIdEPKPKS1_PS1_EviT6_lT7_lT5_lS8_lS9_lS7_lT8_i,"axG",@progbits,_ZL26rocblas_hemvn_kernel_lowerILb1ELi64ELi4ELi33ELi32ELi16El19rocblas_complex_numIdEPKPKS1_PS1_EviT6_lT7_lT5_lS8_lS9_lS7_lT8_i,comdat
	.globl	_ZL26rocblas_hemvn_kernel_lowerILb1ELi64ELi4ELi33ELi32ELi16El19rocblas_complex_numIdEPKPKS1_PS1_EviT6_lT7_lT5_lS8_lS9_lS7_lT8_i ; -- Begin function _ZL26rocblas_hemvn_kernel_lowerILb1ELi64ELi4ELi33ELi32ELi16El19rocblas_complex_numIdEPKPKS1_PS1_EviT6_lT7_lT5_lS8_lS9_lS7_lT8_i
	.p2align	8
	.type	_ZL26rocblas_hemvn_kernel_lowerILb1ELi64ELi4ELi33ELi32ELi16El19rocblas_complex_numIdEPKPKS1_PS1_EviT6_lT7_lT5_lS8_lS9_lS7_lT8_i,@function
_ZL26rocblas_hemvn_kernel_lowerILb1ELi64ELi4ELi33ELi32ELi16El19rocblas_complex_numIdEPKPKS1_PS1_EviT6_lT7_lT5_lS8_lS9_lS7_lT8_i: ; @_ZL26rocblas_hemvn_kernel_lowerILb1ELi64ELi4ELi33ELi32ELi16El19rocblas_complex_numIdEPKPKS1_PS1_EviT6_lT7_lT5_lS8_lS9_lS7_lT8_i
; %bb.0:
	s_load_dwordx2 s[0:1], s[4:5], 0x94
	s_add_u32 s8, s4, 0x88
	s_addc_u32 s9, s5, 0
	s_waitcnt lgkmcnt(0)
	s_lshr_b32 s2, s0, 16
	s_and_b32 s0, s0, 0xffff
	s_and_b32 s1, s1, 0xffff
	s_mul_i32 s0, s2, s0
	s_mul_i32 s0, s0, s1
	s_cmpk_lg_i32 s0, 0x100
	s_cbranch_scc1 .LBB60_150
; %bb.1:
	s_load_dwordx4 s[0:3], s[4:5], 0x8
	s_mov_b32 s16, s7
	s_waitcnt lgkmcnt(0)
	v_cmp_neq_f64_e64 s0, s[0:1], 0
	v_cmp_neq_f64_e64 s1, s[2:3], 0
	s_or_b32 s0, s0, s1
	s_and_b32 vcc_lo, exec_lo, s0
	s_mov_b32 s0, -1
	s_cbranch_vccnz .LBB60_3
; %bb.2:
	s_load_dwordx4 s[0:3], s[4:5], 0x60
	s_waitcnt lgkmcnt(0)
	v_cmp_eq_f64_e64 s0, s[0:1], 1.0
	v_cmp_eq_f64_e64 s1, s[2:3], 0
	s_and_b32 s0, s0, s1
	s_andn2_b32 vcc_lo, exec_lo, s0
	s_mov_b32 s0, 0
.LBB60_3:
	s_andn2_b32 vcc_lo, exec_lo, s0
	s_cbranch_vccnz .LBB60_150
; %bb.4:
	s_clause 0x1
	s_load_dwordx4 s[0:3], s[4:5], 0x20
	s_load_dwordx4 s[12:15], s[4:5], 0x40
	s_mov_b32 s17, 0
	s_lshl_b64 s[10:11], s[16:17], 3
	s_waitcnt lgkmcnt(0)
	s_add_u32 s0, s0, s10
	s_addc_u32 s1, s1, s11
	s_add_u32 s10, s12, s10
	s_addc_u32 s11, s13, s11
	s_lshl_b64 s[14:15], s[14:15], 4
	s_load_dwordx2 s[10:11], s[10:11], 0x0
	s_clause 0x1
	s_load_dwordx2 s[12:13], s[4:5], 0x50
	s_load_dword s17, s[4:5], 0x0
	s_load_dword s26, s[8:9], 0x0
	s_waitcnt lgkmcnt(0)
	s_add_u32 s7, s10, s14
	s_addc_u32 s10, s11, s15
	s_lshl_b32 s18, s6, 6
	s_load_dwordx2 s[14:15], s[4:5], 0x30
	s_load_dwordx2 s[8:9], s[0:1], 0x0
	v_add_nc_u32_e32 v134, s18, v0
	s_ashr_i32 s27, s17, 31
	s_add_i32 s11, s26, -1
	s_lshr_b32 s0, s27, 26
	v_ashrrev_i32_e32 v135, 31, v134
	v_mul_lo_u32 v4, s13, v134
	v_mad_u64_u32 v[2:3], null, s12, v134, 0
	s_add_i32 s1, s17, s0
	v_mul_lo_u32 v5, s12, v135
	s_andn2_b32 s1, s1, 63
	v_cmp_ne_u32_e64 s0, 0, v1
	s_sub_i32 s19, s17, s1
	v_cmp_eq_u32_e64 s1, 0, v1
	s_cmp_eq_u32 s6, s11
	s_cselect_b32 s20, s19, 0
	v_add3_u32 v3, v3, v5, v4
	v_lshlrev_b64 v[2:3], 4, v[2:3]
	v_add_co_u32 v38, vcc_lo, s7, v2
	v_add_co_ci_u32_e64 v39, null, s10, v3, vcc_lo
	s_mov_b32 s7, -1
	s_and_saveexec_b32 s10, s1
	s_cbranch_execz .LBB60_9
; %bb.5:
	v_cmp_le_i32_e32 vcc_lo, s20, v0
	s_cmp_lg_u32 s20, 0
	v_lshl_add_u32 v2, v0, 4, 0x4700
	s_cselect_b32 s11, -1, 0
	s_and_b32 s11, s11, vcc_lo
	s_and_saveexec_b32 s19, s11
	s_xor_b32 s11, exec_lo, s19
	s_cbranch_execz .LBB60_7
; %bb.6:
	v_mov_b32_e32 v3, 0
	v_mov_b32_e32 v4, v3
	v_mov_b32_e32 v5, v3
	v_mov_b32_e32 v6, v3
	ds_write_b128 v2, v[3:6]
                                        ; implicit-def: $vgpr2
.LBB60_7:
	s_andn2_saveexec_b32 s11, s11
	s_cbranch_execz .LBB60_9
; %bb.8:
	flat_load_dwordx4 v[3:6], v[38:39]
	s_waitcnt vmcnt(0) lgkmcnt(0)
	ds_write2_b64 v2, v[3:4], v[5:6] offset1:1
.LBB60_9:
	s_or_b32 exec_lo, exec_lo, s10
	v_lshl_add_u32 v44, v1, 6, v0
	v_and_b32_e32 v10, 31, v0
	v_mov_b32_e32 v11, 0
	s_lshl_b64 s[2:3], s[2:3], 4
	s_waitcnt lgkmcnt(0)
	s_mul_hi_u32 s10, s14, s18
	v_lshrrev_b32_e32 v13, 5, v44
	s_add_u32 s8, s8, s2
	s_addc_u32 s9, s9, s3
	s_ashr_i32 s19, s18, 31
	s_mul_i32 s11, s15, s18
	v_mad_u64_u32 v[2:3], null, s14, v13, v[10:11]
	s_lshl_b64 s[2:3], s[18:19], 4
	s_mul_i32 s21, s14, s19
	s_add_u32 s8, s8, s2
	s_addc_u32 s9, s9, s3
	s_add_i32 s3, s10, s21
	s_mul_i32 s2, s14, s18
	v_mad_u64_u32 v[3:4], null, s15, v13, v[3:4]
	s_add_i32 s3, s3, s11
	s_lshl_b64 s[22:23], s[2:3], 4
	s_cmp_lg_u32 s20, 0
	s_cselect_b32 s28, -1, 0
	v_lshlrev_b64 v[40:41], 4, v[2:3]
	s_cmp_eq_u32 s20, 0
	s_cselect_b32 s10, -1, 0
	v_add_co_u32 v2, vcc_lo, s8, v40
	v_add_co_ci_u32_e64 v3, null, s9, v41, vcc_lo
	v_add_co_u32 v6, vcc_lo, v2, s22
	v_add_co_ci_u32_e64 v7, null, s23, v3, vcc_lo
	s_and_b32 vcc_lo, exec_lo, s28
	s_cbranch_vccnz .LBB60_11
; %bb.10:
	flat_load_dwordx4 v[2:5], v[6:7]
	v_mul_u32_u24_e32 v8, 0x210, v13
	s_lshl_b64 s[2:3], s[14:15], 7
	s_mov_b32 s7, 0
	v_lshl_add_u32 v11, v10, 4, v8
	v_add_co_u32 v8, vcc_lo, v6, s2
	v_add_co_ci_u32_e64 v9, null, s3, v7, vcc_lo
	v_add_nc_u32_e32 v12, 0x1080, v11
	s_waitcnt vmcnt(0) lgkmcnt(0)
	ds_write2_b64 v11, v[2:3], v[4:5] offset1:1
	flat_load_dwordx4 v[2:5], v[8:9]
	v_add_co_u32 v8, vcc_lo, v8, s2
	v_add_co_ci_u32_e64 v9, null, s3, v9, vcc_lo
	s_waitcnt vmcnt(0) lgkmcnt(0)
	ds_write2_b64 v12, v[2:3], v[4:5] offset1:1
	flat_load_dwordx4 v[2:5], v[8:9]
	v_add_co_u32 v8, vcc_lo, v8, s2
	v_add_nc_u32_e32 v12, 0x2100, v11
	v_add_co_ci_u32_e64 v9, null, s3, v9, vcc_lo
	s_waitcnt vmcnt(0) lgkmcnt(0)
	ds_write2_b64 v12, v[2:3], v[4:5] offset1:1
	flat_load_dwordx4 v[2:5], v[8:9]
	v_add_nc_u32_e32 v8, 0x3180, v11
	s_waitcnt vmcnt(0) lgkmcnt(0)
	ds_write2_b64 v8, v[2:3], v[4:5] offset1:1
.LBB60_11:
	v_lshlrev_b32_e32 v14, 4, v10
	s_andn2_b32 vcc_lo, exec_lo, s7
	s_cbranch_vccnz .LBB60_29
; %bb.12:
	v_lshlrev_b32_e32 v4, 4, v10
	s_ashr_i32 s21, s20, 31
	v_cmp_le_i32_e64 s2, s20, v13
	s_lshl_b64 s[8:9], s[20:21], 4
	v_mad_u32_u24 v5, 0x210, v13, v14
	v_sub_co_u32 v2, vcc_lo, v6, v4
	v_subrev_co_ci_u32_e64 v3, null, 0, v7, vcc_lo
	v_add_co_u32 v2, vcc_lo, v2, s8
	v_add_co_ci_u32_e64 v3, null, s9, v3, vcc_lo
	v_add_co_u32 v2, vcc_lo, v2, -16
	v_add_co_ci_u32_e64 v3, null, -1, v3, vcc_lo
	v_cmp_gt_i32_e32 vcc_lo, s20, v10
	v_cndmask_b32_e32 v3, v3, v7, vcc_lo
	v_cndmask_b32_e32 v2, v2, v6, vcc_lo
	s_and_saveexec_b32 s3, s2
	s_xor_b32 s2, exec_lo, s3
	s_cbranch_execz .LBB60_14
; %bb.13:
	v_mov_b32_e32 v15, 0
	v_mov_b32_e32 v16, v15
	;; [unrolled: 1-line block ×4, first 2 shown]
	ds_write_b128 v5, v[15:18]
                                        ; implicit-def: $vgpr5
.LBB60_14:
	s_andn2_saveexec_b32 s2, s2
	s_cbranch_execz .LBB60_16
; %bb.15:
	flat_load_dwordx4 v[15:18], v[2:3]
	s_waitcnt vmcnt(0) lgkmcnt(0)
	ds_write2_b64 v5, v[15:16], v[17:18] offset1:1
.LBB60_16:
	s_or_b32 exec_lo, exec_lo, s2
	v_add_nc_u32_e32 v8, 8, v13
	v_mul_u32_u24_e32 v5, 0x210, v13
	v_cmp_le_i32_e64 s2, s20, v8
	s_and_saveexec_b32 s3, s2
	s_xor_b32 s2, exec_lo, s3
	s_cbranch_execz .LBB60_18
; %bb.17:
	v_mov_b32_e32 v15, 0
	v_add_nc_u32_e32 v8, v5, v14
	v_mov_b32_e32 v16, v15
	v_mov_b32_e32 v17, v15
	;; [unrolled: 1-line block ×3, first 2 shown]
	ds_write_b128 v8, v[15:18] offset:4224
.LBB60_18:
	s_andn2_saveexec_b32 s3, s2
	s_cbranch_execz .LBB60_20
; %bb.19:
	s_lshl_b64 s[24:25], s[14:15], 7
	v_add_co_u32 v8, s2, v2, s24
	v_add_co_ci_u32_e64 v9, null, s25, v3, s2
	flat_load_dwordx4 v[15:18], v[8:9]
	v_add3_u32 v8, v5, v14, 0x1080
	s_waitcnt vmcnt(0) lgkmcnt(0)
	ds_write2_b64 v8, v[15:16], v[17:18] offset1:1
.LBB60_20:
	s_or_b32 exec_lo, exec_lo, s3
	v_add_nc_u32_e32 v8, 16, v13
	v_cmp_le_i32_e64 s2, s20, v8
	s_and_saveexec_b32 s3, s2
	s_xor_b32 s2, exec_lo, s3
	s_cbranch_execz .LBB60_22
; %bb.21:
	v_mov_b32_e32 v15, 0
	v_add_nc_u32_e32 v8, v5, v14
	v_mov_b32_e32 v16, v15
	v_mov_b32_e32 v17, v15
	;; [unrolled: 1-line block ×3, first 2 shown]
	ds_write_b128 v8, v[15:18] offset:8448
.LBB60_22:
	s_andn2_saveexec_b32 s3, s2
	s_cbranch_execz .LBB60_24
; %bb.23:
	s_lshl_b64 s[24:25], s[14:15], 8
	v_add_co_u32 v8, s2, v2, s24
	v_add_co_ci_u32_e64 v9, null, s25, v3, s2
	flat_load_dwordx4 v[15:18], v[8:9]
	v_add3_u32 v8, v5, v14, 0x2100
	s_waitcnt vmcnt(0) lgkmcnt(0)
	ds_write2_b64 v8, v[15:16], v[17:18] offset1:1
.LBB60_24:
	s_or_b32 exec_lo, exec_lo, s3
	v_add_nc_u32_e32 v8, 24, v13
	v_cmp_le_i32_e64 s2, s20, v8
	s_and_saveexec_b32 s3, s2
	s_xor_b32 s2, exec_lo, s3
	s_cbranch_execz .LBB60_26
; %bb.25:
	v_mov_b32_e32 v15, 0
	v_add_nc_u32_e32 v5, v5, v14
	v_mov_b32_e32 v16, v15
	v_mov_b32_e32 v17, v15
	;; [unrolled: 1-line block ×3, first 2 shown]
	ds_write_b128 v5, v[15:18] offset:12672
                                        ; implicit-def: $vgpr5
.LBB60_26:
	s_andn2_saveexec_b32 s2, s2
	s_cbranch_execz .LBB60_28
; %bb.27:
	v_mad_u64_u32 v[8:9], null, 0x180, s14, v[2:3]
	v_add3_u32 v5, v5, v14, 0x3180
	v_mad_u64_u32 v[11:12], null, 0x180, s15, v[9:10]
	v_mov_b32_e32 v9, v11
	flat_load_dwordx4 v[15:18], v[8:9]
	s_waitcnt vmcnt(0) lgkmcnt(0)
	ds_write2_b64 v5, v[15:16], v[17:18] offset1:1
.LBB60_28:
	s_or_b32 exec_lo, exec_lo, s2
	v_add_co_u32 v2, s2, v2, v4
	v_add_co_ci_u32_e64 v3, null, 0, v3, s2
	v_sub_co_u32 v2, s2, v2, s8
	v_subrev_co_ci_u32_e64 v3, null, s9, v3, s2
	v_add_co_u32 v2, s2, v2, 16
	v_add_co_ci_u32_e64 v3, null, 0, v3, s2
	v_cndmask_b32_e32 v6, v2, v6, vcc_lo
	v_cndmask_b32_e32 v7, v3, v7, vcc_lo
.LBB60_29:
	v_lshlrev_b32_e32 v15, 2, v13
	v_mul_u32_u24_e32 v17, 0x210, v10
	s_mov_b32 s2, 0
	s_waitcnt lgkmcnt(0)
	s_barrier
	v_cmp_ge_u32_e64 s3, v15, v10
	buffer_gl0_inv
                                        ; implicit-def: $vgpr11
	s_and_saveexec_b32 s7, s3
	s_xor_b32 s7, exec_lo, s7
	s_cbranch_execz .LBB60_33
; %bb.30:
	s_mov_b32 s8, exec_lo
                                        ; implicit-def: $vgpr11
	v_cmpx_eq_u32_e64 v15, v10
	s_xor_b32 s8, exec_lo, s8
; %bb.31:
	v_add_nc_u32_e32 v11, v14, v17
	s_mov_b32 s2, exec_lo
; %bb.32:
	s_or_b32 exec_lo, exec_lo, s8
	s_and_b32 s2, s2, exec_lo
.LBB60_33:
	s_or_saveexec_b32 s7, s7
	v_mov_b32_e32 v4, 0
	v_lshl_or_b32 v8, v10, 9, v14
	v_mov_b32_e32 v5, 0
	v_mad_u32_u24 v9, 0x840, v13, v14
	s_xor_b32 exec_lo, exec_lo, s7
	s_cbranch_execz .LBB60_35
; %bb.34:
	ds_read_b128 v[2:5], v9
	v_lshl_add_u32 v11, v15, 4, v8
	s_or_b32 s2, s2, exec_lo
	s_waitcnt lgkmcnt(0)
	v_xor_b32_e32 v5, 0x80000000, v5
	ds_write_b64 v11, v[2:3]
.LBB60_35:
	s_or_b32 exec_lo, exec_lo, s7
	s_and_saveexec_b32 s7, s2
; %bb.36:
	ds_write_b64 v11, v[4:5] offset:8
; %bb.37:
	s_or_b32 exec_lo, exec_lo, s7
	v_or_b32_e32 v19, 1, v15
	s_mov_b32 s2, 0
                                        ; implicit-def: $vgpr12
	v_cmp_ge_u32_e64 s7, v19, v10
	s_and_saveexec_b32 s8, s7
	s_xor_b32 s8, exec_lo, s8
	s_cbranch_execz .LBB60_41
; %bb.38:
	s_mov_b32 s9, exec_lo
                                        ; implicit-def: $vgpr12
	v_cmpx_eq_u32_e64 v19, v10
; %bb.39:
	v_add_nc_u32_e32 v12, v14, v17
	s_mov_b32 s2, exec_lo
; %bb.40:
	s_or_b32 exec_lo, exec_lo, s9
	s_and_b32 s2, s2, exec_lo
.LBB60_41:
	s_or_saveexec_b32 s8, s8
	v_mov_b32_e32 v4, 0
	v_mov_b32_e32 v5, 0
	v_mad_u32_u24 v11, 0x210, v19, v14
	s_xor_b32 exec_lo, exec_lo, s8
	s_cbranch_execz .LBB60_43
; %bb.42:
	ds_read_b128 v[2:5], v11
	v_lshl_add_u32 v16, v15, 4, v8
	s_or_b32 s2, s2, exec_lo
	v_add_nc_u32_e32 v12, 16, v16
	s_waitcnt lgkmcnt(0)
	v_xor_b32_e32 v5, 0x80000000, v5
	ds_write_b64 v16, v[2:3] offset:16
.LBB60_43:
	s_or_b32 exec_lo, exec_lo, s8
	s_and_saveexec_b32 s8, s2
; %bb.44:
	ds_write_b64 v12, v[4:5] offset:8
; %bb.45:
	s_or_b32 exec_lo, exec_lo, s8
	v_or_b32_e32 v20, 2, v15
	s_mov_b32 s2, 0
                                        ; implicit-def: $vgpr12
	v_cmp_ge_u32_e64 s8, v20, v10
	s_and_saveexec_b32 s9, s8
	s_xor_b32 s9, exec_lo, s9
	s_cbranch_execz .LBB60_49
; %bb.46:
	s_mov_b32 s11, exec_lo
                                        ; implicit-def: $vgpr12
	v_cmpx_eq_u32_e64 v20, v10
; %bb.47:
	v_add_nc_u32_e32 v12, v14, v17
	s_mov_b32 s2, exec_lo
; %bb.48:
	s_or_b32 exec_lo, exec_lo, s11
	s_and_b32 s2, s2, exec_lo
.LBB60_49:
	s_or_saveexec_b32 s9, s9
	v_mov_b32_e32 v4, 0
	v_mov_b32_e32 v5, 0
	s_xor_b32 exec_lo, exec_lo, s9
	s_cbranch_execz .LBB60_51
; %bb.50:
	v_mad_u32_u24 v2, 0x210, v20, v14
	v_lshl_add_u32 v16, v15, 4, v8
	s_or_b32 s2, s2, exec_lo
	ds_read_b128 v[2:5], v2
	v_add_nc_u32_e32 v12, 32, v16
	s_waitcnt lgkmcnt(0)
	v_xor_b32_e32 v5, 0x80000000, v5
	ds_write_b64 v16, v[2:3] offset:32
.LBB60_51:
	s_or_b32 exec_lo, exec_lo, s9
	s_and_saveexec_b32 s9, s2
; %bb.52:
	ds_write_b64 v12, v[4:5] offset:8
; %bb.53:
	s_or_b32 exec_lo, exec_lo, s9
	v_or_b32_e32 v21, 3, v15
	s_mov_b32 s2, 0
                                        ; implicit-def: $vgpr12
	v_cmp_ge_u32_e64 s9, v21, v10
	s_and_saveexec_b32 s11, s9
	s_xor_b32 s11, exec_lo, s11
	s_cbranch_execz .LBB60_57
; %bb.54:
	s_mov_b32 s21, exec_lo
                                        ; implicit-def: $vgpr12
	v_cmpx_eq_u32_e64 v21, v10
; %bb.55:
	v_add_nc_u32_e32 v12, v14, v17
	s_mov_b32 s2, exec_lo
; %bb.56:
	s_or_b32 exec_lo, exec_lo, s21
	s_and_b32 s2, s2, exec_lo
                                        ; implicit-def: $vgpr8
.LBB60_57:
	s_or_saveexec_b32 s11, s11
	v_mov_b32_e32 v4, 0
	v_mov_b32_e32 v5, 0
	s_xor_b32 exec_lo, exec_lo, s11
	s_cbranch_execz .LBB60_59
; %bb.58:
	v_mad_u32_u24 v2, 0x210, v21, v14
	v_lshl_add_u32 v8, v15, 4, v8
	s_or_b32 s2, s2, exec_lo
	ds_read_b128 v[2:5], v2
	v_add_nc_u32_e32 v12, 48, v8
	s_waitcnt lgkmcnt(0)
	v_xor_b32_e32 v5, 0x80000000, v5
	ds_write_b64 v8, v[2:3] offset:48
.LBB60_59:
	s_or_b32 exec_lo, exec_lo, s11
	s_and_saveexec_b32 s11, s2
; %bb.60:
	ds_write_b64 v12, v[4:5] offset:8
; %bb.61:
	s_or_b32 exec_lo, exec_lo, s11
	v_lshlrev_b32_e32 v8, 4, v15
	s_waitcnt lgkmcnt(0)
	s_barrier
	buffer_gl0_inv
	ds_read_b128 v[2:5], v9
	ds_read_b128 v[22:25], v8 offset:18176
	ds_read_b128 v[26:29], v11
	ds_read_b128 v[30:33], v11 offset:1056
	ds_read_b128 v[34:37], v8 offset:18192
	;; [unrolled: 1-line block ×4, first 2 shown]
	v_cmp_gt_u32_e64 s2, 32, v44
	s_waitcnt lgkmcnt(5)
	v_mul_f64 v[42:43], v[24:25], v[4:5]
	v_mul_f64 v[4:5], v[22:23], v[4:5]
	s_waitcnt lgkmcnt(2)
	v_mul_f64 v[11:12], v[36:37], v[28:29]
	v_mul_f64 v[28:29], v[34:35], v[28:29]
	v_fma_f64 v[22:23], v[22:23], v[2:3], -v[42:43]
	v_fma_f64 v[24:25], v[24:25], v[2:3], v[4:5]
	s_waitcnt lgkmcnt(0)
	v_mul_f64 v[42:43], v[51:52], v[47:48]
	v_mul_f64 v[47:48], v[49:50], v[47:48]
	v_fma_f64 v[11:12], v[34:35], v[26:27], -v[11:12]
	v_fma_f64 v[26:27], v[36:37], v[26:27], v[28:29]
	ds_read_b128 v[2:5], v8 offset:18224
	s_waitcnt lgkmcnt(0)
	s_barrier
	buffer_gl0_inv
	v_add_f64 v[22:23], v[22:23], 0
	v_add_f64 v[24:25], v[24:25], 0
	v_fma_f64 v[34:35], v[49:50], v[45:46], -v[42:43]
	v_fma_f64 v[36:37], v[51:52], v[45:46], v[47:48]
	v_mul_f64 v[28:29], v[4:5], v[32:33]
	v_mul_f64 v[32:33], v[2:3], v[32:33]
	v_add_f64 v[11:12], v[22:23], v[11:12]
	v_add_f64 v[22:23], v[24:25], v[26:27]
	v_fma_f64 v[2:3], v[2:3], v[30:31], -v[28:29]
	v_fma_f64 v[4:5], v[4:5], v[30:31], v[32:33]
	v_add_f64 v[11:12], v[11:12], v[34:35]
	v_add_f64 v[24:25], v[22:23], v[36:37]
	;; [unrolled: 1-line block ×4, first 2 shown]
	v_mul_u32_u24_e32 v2, 33, v10
	v_mov_b32_e32 v4, 0
	v_mov_b32_e32 v5, 0
	v_lshlrev_b32_e32 v45, 4, v2
	v_mov_b32_e32 v2, 0
	v_mov_b32_e32 v3, 0
	v_lshl_add_u32 v46, v13, 4, v45
	ds_write_b128 v46, v[22:25]
	s_waitcnt lgkmcnt(0)
	s_barrier
	buffer_gl0_inv
	s_and_saveexec_b32 s11, s2
	s_cbranch_execz .LBB60_63
; %bb.62:
	ds_read_b128 v[2:5], v45
	ds_read_b128 v[22:25], v45 offset:16
	s_waitcnt lgkmcnt(0)
	v_add_f64 v[11:12], v[22:23], v[2:3]
	v_add_f64 v[26:27], v[24:25], v[4:5]
	ds_read_b128 v[2:5], v45 offset:32
	ds_read_b128 v[22:25], v45 offset:48
	s_waitcnt lgkmcnt(1)
	v_add_f64 v[2:3], v[11:12], v[2:3]
	v_add_f64 v[4:5], v[26:27], v[4:5]
	s_waitcnt lgkmcnt(0)
	v_add_f64 v[11:12], v[2:3], v[22:23]
	v_add_f64 v[26:27], v[4:5], v[24:25]
	ds_read_b128 v[2:5], v45 offset:64
	ds_read_b128 v[22:25], v45 offset:80
	s_waitcnt lgkmcnt(1)
	v_add_f64 v[2:3], v[11:12], v[2:3]
	v_add_f64 v[4:5], v[26:27], v[4:5]
	;; [unrolled: 8-line block ×3, first 2 shown]
	s_waitcnt lgkmcnt(0)
	v_add_f64 v[2:3], v[2:3], v[22:23]
	v_add_f64 v[4:5], v[4:5], v[24:25]
.LBB60_63:
	s_or_b32 exec_lo, exec_lo, s11
	s_lshl_b64 s[24:25], s[14:15], 9
	v_cndmask_b32_e64 v22, 0, 1, s10
	v_add_co_u32 v6, vcc_lo, v6, s24
	v_add_co_ci_u32_e64 v7, null, s25, v7, vcc_lo
	v_mad_u32_u24 v16, 0x210, v13, v14
	v_add_co_u32 v11, vcc_lo, 0x200, v6
	v_add_co_ci_u32_e64 v12, null, 0, v7, vcc_lo
	s_andn2_b32 vcc_lo, exec_lo, s10
	s_mov_b32 s10, -1
	s_barrier
	buffer_gl0_inv
	s_cbranch_vccnz .LBB60_65
; %bb.64:
	flat_load_dwordx4 v[23:26], v[11:12]
	s_lshl_b64 s[10:11], s[14:15], 7
	v_add_nc_u32_e32 v9, 0x1080, v16
	v_add_co_u32 v27, vcc_lo, v6, s10
	v_add_co_ci_u32_e64 v28, null, s11, v7, vcc_lo
	s_waitcnt vmcnt(0) lgkmcnt(0)
	ds_write2_b64 v16, v[23:24], v[25:26] offset1:1
	flat_load_dwordx4 v[23:26], v[27:28] offset:512
	v_add_co_u32 v27, vcc_lo, v27, s10
	v_add_co_ci_u32_e64 v28, null, s11, v28, vcc_lo
	s_waitcnt vmcnt(0) lgkmcnt(0)
	ds_write2_b64 v9, v[23:24], v[25:26] offset1:1
	flat_load_dwordx4 v[23:26], v[27:28] offset:512
	v_add_co_u32 v27, vcc_lo, v27, s10
	v_add_nc_u32_e32 v9, 0x2100, v16
	v_add_co_ci_u32_e64 v28, null, s11, v28, vcc_lo
	s_mov_b32 s10, 0
	s_waitcnt vmcnt(0) lgkmcnt(0)
	ds_write2_b64 v9, v[23:24], v[25:26] offset1:1
	flat_load_dwordx4 v[23:26], v[27:28] offset:512
	v_add_nc_u32_e32 v9, 0x3180, v16
	s_waitcnt vmcnt(0) lgkmcnt(0)
	ds_write2_b64 v9, v[23:24], v[25:26] offset1:1
.LBB60_65:
	s_andn2_b32 vcc_lo, exec_lo, s10
	s_cbranch_vccnz .LBB60_83
; %bb.66:
	v_lshlrev_b32_e32 v9, 4, v10
	s_ashr_i32 s21, s20, 31
	v_or_b32_e32 v18, 32, v10
	s_lshl_b64 s[24:25], s[20:21], 4
	s_sub_i32 s11, s20, 32
	v_sub_co_u32 v6, vcc_lo, v6, v9
	v_subrev_co_ci_u32_e64 v7, null, 0, v7, vcc_lo
	v_cmp_le_i32_e64 s10, s11, v13
	v_add_co_u32 v6, vcc_lo, v6, s24
	v_add_co_ci_u32_e64 v7, null, s25, v7, vcc_lo
	v_add_co_u32 v6, vcc_lo, v6, -16
	v_add_co_ci_u32_e64 v7, null, -1, v7, vcc_lo
	v_cmp_gt_i32_e32 vcc_lo, s20, v18
	v_cndmask_b32_e32 v7, v7, v12, vcc_lo
	v_cndmask_b32_e32 v6, v6, v11, vcc_lo
	s_and_saveexec_b32 s21, s10
	s_xor_b32 s10, exec_lo, s21
	s_cbranch_execz .LBB60_68
; %bb.67:
	v_mov_b32_e32 v23, 0
	v_mov_b32_e32 v24, v23
	;; [unrolled: 1-line block ×4, first 2 shown]
	ds_write_b128 v16, v[23:26]
.LBB60_68:
	s_andn2_saveexec_b32 s10, s10
	s_cbranch_execz .LBB60_70
; %bb.69:
	flat_load_dwordx4 v[23:26], v[6:7]
	s_waitcnt vmcnt(0) lgkmcnt(0)
	ds_write2_b64 v16, v[23:24], v[25:26] offset1:1
.LBB60_70:
	s_or_b32 exec_lo, exec_lo, s10
	v_add_nc_u32_e32 v23, 8, v13
	v_mul_u32_u24_e32 v18, 0x210, v13
	v_cmp_le_i32_e64 s10, s11, v23
	s_and_saveexec_b32 s21, s10
	s_xor_b32 s10, exec_lo, s21
	s_cbranch_execz .LBB60_72
; %bb.71:
	v_mov_b32_e32 v23, 0
	v_add_nc_u32_e32 v27, v18, v14
	v_mov_b32_e32 v24, v23
	v_mov_b32_e32 v25, v23
	;; [unrolled: 1-line block ×3, first 2 shown]
	ds_write_b128 v27, v[23:26] offset:4224
.LBB60_72:
	s_andn2_saveexec_b32 s21, s10
	s_cbranch_execz .LBB60_74
; %bb.73:
	s_lshl_b64 s[30:31], s[14:15], 7
	v_add3_u32 v27, v18, v14, 0x1080
	v_add_co_u32 v23, s10, v6, s30
	v_add_co_ci_u32_e64 v24, null, s31, v7, s10
	flat_load_dwordx4 v[23:26], v[23:24]
	s_waitcnt vmcnt(0) lgkmcnt(0)
	ds_write2_b64 v27, v[23:24], v[25:26] offset1:1
.LBB60_74:
	s_or_b32 exec_lo, exec_lo, s21
	v_add_nc_u32_e32 v23, 16, v13
	v_cmp_le_i32_e64 s10, s11, v23
	s_and_saveexec_b32 s21, s10
	s_xor_b32 s10, exec_lo, s21
	s_cbranch_execz .LBB60_76
; %bb.75:
	v_mov_b32_e32 v23, 0
	v_add_nc_u32_e32 v27, v18, v14
	v_mov_b32_e32 v24, v23
	v_mov_b32_e32 v25, v23
	;; [unrolled: 1-line block ×3, first 2 shown]
	ds_write_b128 v27, v[23:26] offset:8448
.LBB60_76:
	s_andn2_saveexec_b32 s21, s10
	s_cbranch_execz .LBB60_78
; %bb.77:
	s_lshl_b64 s[30:31], s[14:15], 8
	v_add3_u32 v27, v18, v14, 0x2100
	v_add_co_u32 v23, s10, v6, s30
	v_add_co_ci_u32_e64 v24, null, s31, v7, s10
	flat_load_dwordx4 v[23:26], v[23:24]
	s_waitcnt vmcnt(0) lgkmcnt(0)
	ds_write2_b64 v27, v[23:24], v[25:26] offset1:1
.LBB60_78:
	s_or_b32 exec_lo, exec_lo, s21
	v_add_nc_u32_e32 v23, 24, v13
	v_cmp_le_i32_e64 s10, s11, v23
	s_and_saveexec_b32 s11, s10
	s_xor_b32 s10, exec_lo, s11
	s_cbranch_execz .LBB60_80
; %bb.79:
	v_mov_b32_e32 v23, 0
	v_add_nc_u32_e32 v18, v18, v14
	v_mov_b32_e32 v24, v23
	v_mov_b32_e32 v25, v23
	;; [unrolled: 1-line block ×3, first 2 shown]
	ds_write_b128 v18, v[23:26] offset:12672
                                        ; implicit-def: $vgpr18
.LBB60_80:
	s_andn2_saveexec_b32 s10, s10
	s_cbranch_execz .LBB60_82
; %bb.81:
	v_mad_u64_u32 v[23:24], null, 0x180, s14, v[6:7]
	v_add3_u32 v18, v18, v14, 0x3180
	v_mad_u64_u32 v[24:25], null, 0x180, s15, v[24:25]
	flat_load_dwordx4 v[23:26], v[23:24]
	s_waitcnt vmcnt(0) lgkmcnt(0)
	ds_write2_b64 v18, v[23:24], v[25:26] offset1:1
.LBB60_82:
	s_or_b32 exec_lo, exec_lo, s10
	v_add_co_u32 v6, s10, v6, v9
	v_add_co_ci_u32_e64 v7, null, 0, v7, s10
	v_sub_co_u32 v6, s10, v6, s24
	v_subrev_co_ci_u32_e64 v7, null, s25, v7, s10
	v_add_co_u32 v6, s10, 0x210, v6
	v_add_co_ci_u32_e64 v7, null, 0, v7, s10
	v_cndmask_b32_e32 v11, v6, v11, vcc_lo
	v_cndmask_b32_e32 v12, v7, v12, vcc_lo
.LBB60_83:
	v_mul_u32_u24_e32 v6, 0x840, v13
	v_add_nc_u32_e32 v18, 0x4700, v8
	v_mul_u32_u24_e32 v24, 0x210, v19
	s_lshl_b64 s[10:11], s[14:15], 5
	s_mov_b32 s21, 0
	s_waitcnt lgkmcnt(0)
	s_barrier
	buffer_gl0_inv
                                        ; implicit-def: $vgpr25
	s_and_saveexec_b32 s24, s3
	s_xor_b32 s3, exec_lo, s24
	s_cbranch_execz .LBB60_87
; %bb.84:
	s_mov_b32 s24, exec_lo
                                        ; implicit-def: $vgpr25
	v_cmpx_eq_u32_e64 v15, v10
	s_xor_b32 s24, exec_lo, s24
; %bb.85:
	s_mov_b32 s21, exec_lo
	v_add_nc_u32_e32 v25, v14, v17
; %bb.86:
	s_or_b32 exec_lo, exec_lo, s24
	s_and_b32 s21, s21, exec_lo
.LBB60_87:
	s_or_saveexec_b32 s3, s3
	v_mov_b32_e32 v8, 0
	v_mov_b32_e32 v9, 0
	v_add_nc_u32_e32 v23, v14, v6
	s_xor_b32 exec_lo, exec_lo, s3
	s_cbranch_execz .LBB60_89
; %bb.88:
	ds_read_b128 v[6:9], v23
	v_lshl_add_u32 v25, v15, 4, v45
	s_or_b32 s21, s21, exec_lo
	s_waitcnt lgkmcnt(0)
	v_xor_b32_e32 v9, 0x80000000, v9
	ds_write_b64 v25, v[6:7]
.LBB60_89:
	s_or_b32 exec_lo, exec_lo, s3
	s_and_saveexec_b32 s3, s21
; %bb.90:
	ds_write_b64 v25, v[8:9] offset:8
; %bb.91:
	s_or_b32 exec_lo, exec_lo, s3
	s_mov_b32 s3, 0
                                        ; implicit-def: $vgpr25
	s_and_saveexec_b32 s21, s7
	s_xor_b32 s7, exec_lo, s21
	s_cbranch_execz .LBB60_95
; %bb.92:
	s_mov_b32 s21, exec_lo
                                        ; implicit-def: $vgpr25
	v_cmpx_eq_u32_e64 v19, v10
; %bb.93:
	v_add_nc_u32_e32 v25, v14, v17
	s_mov_b32 s3, exec_lo
; %bb.94:
	s_or_b32 exec_lo, exec_lo, s21
	s_and_b32 s3, s3, exec_lo
.LBB60_95:
	s_or_saveexec_b32 s7, s7
	v_mov_b32_e32 v8, 0
	v_mov_b32_e32 v9, 0
	v_add_nc_u32_e32 v19, v14, v24
	s_xor_b32 exec_lo, exec_lo, s7
	s_cbranch_execz .LBB60_97
; %bb.96:
	ds_read_b128 v[6:9], v19
	v_lshl_add_u32 v24, v15, 4, v45
	s_or_b32 s3, s3, exec_lo
	v_add_nc_u32_e32 v25, 16, v24
	s_waitcnt lgkmcnt(0)
	v_xor_b32_e32 v9, 0x80000000, v9
	ds_write_b64 v24, v[6:7] offset:16
.LBB60_97:
	s_or_b32 exec_lo, exec_lo, s7
	s_and_saveexec_b32 s7, s3
; %bb.98:
	ds_write_b64 v25, v[8:9] offset:8
; %bb.99:
	s_or_b32 exec_lo, exec_lo, s7
	s_mov_b32 s3, 0
                                        ; implicit-def: $vgpr24
	s_and_saveexec_b32 s7, s8
	s_xor_b32 s7, exec_lo, s7
	s_cbranch_execz .LBB60_103
; %bb.100:
	s_mov_b32 s8, exec_lo
                                        ; implicit-def: $vgpr24
	v_cmpx_eq_u32_e64 v20, v10
; %bb.101:
	v_add_nc_u32_e32 v24, v14, v17
	s_mov_b32 s3, exec_lo
; %bb.102:
	s_or_b32 exec_lo, exec_lo, s8
	s_and_b32 s3, s3, exec_lo
.LBB60_103:
	s_or_saveexec_b32 s7, s7
	v_mov_b32_e32 v8, 0
	v_mov_b32_e32 v9, 0
	s_xor_b32 exec_lo, exec_lo, s7
	s_cbranch_execz .LBB60_105
; %bb.104:
	ds_read_b128 v[6:9], v19 offset:528
	v_lshl_add_u32 v20, v15, 4, v45
	s_or_b32 s3, s3, exec_lo
	v_add_nc_u32_e32 v24, 32, v20
	s_waitcnt lgkmcnt(0)
	v_xor_b32_e32 v9, 0x80000000, v9
	ds_write_b64 v20, v[6:7] offset:32
.LBB60_105:
	s_or_b32 exec_lo, exec_lo, s7
	s_and_saveexec_b32 s7, s3
; %bb.106:
	ds_write_b64 v24, v[8:9] offset:8
; %bb.107:
	s_or_b32 exec_lo, exec_lo, s7
	s_mov_b32 s3, 0
                                        ; implicit-def: $vgpr20
	s_and_saveexec_b32 s7, s9
	s_xor_b32 s7, exec_lo, s7
	s_cbranch_execz .LBB60_111
; %bb.108:
	s_mov_b32 s8, exec_lo
                                        ; implicit-def: $vgpr20
	v_cmpx_eq_u32_e64 v21, v10
; %bb.109:
	v_add_nc_u32_e32 v20, v14, v17
	s_mov_b32 s3, exec_lo
; %bb.110:
	s_or_b32 exec_lo, exec_lo, s8
	s_and_b32 s3, s3, exec_lo
.LBB60_111:
	s_or_saveexec_b32 s7, s7
	v_mov_b32_e32 v8, 0
	v_mov_b32_e32 v9, 0
	s_xor_b32 exec_lo, exec_lo, s7
	s_cbranch_execz .LBB60_113
; %bb.112:
	ds_read_b128 v[6:9], v19 offset:1056
	v_lshl_add_u32 v17, v15, 4, v45
	s_or_b32 s3, s3, exec_lo
	v_add_nc_u32_e32 v20, 48, v17
	s_waitcnt lgkmcnt(0)
	v_xor_b32_e32 v9, 0x80000000, v9
	ds_write_b64 v17, v[6:7] offset:48
.LBB60_113:
	s_or_b32 exec_lo, exec_lo, s7
	s_and_saveexec_b32 s7, s3
; %bb.114:
	ds_write_b64 v20, v[8:9] offset:8
; %bb.115:
	s_or_b32 exec_lo, exec_lo, s7
	s_waitcnt lgkmcnt(0)
	s_barrier
	buffer_gl0_inv
	ds_read_b128 v[6:9], v23
	ds_read_b128 v[23:26], v18 offset:512
	ds_read_b128 v[27:30], v18 offset:528
	ds_read_b128 v[31:34], v19
	ds_read_b128 v[47:50], v19 offset:1056
	ds_read_b128 v[51:54], v18 offset:544
	;; [unrolled: 1-line block ×3, first 2 shown]
	v_cmp_eq_u32_e64 s3, 1, v13
	s_waitcnt lgkmcnt(5)
	v_mul_f64 v[20:21], v[25:26], v[8:9]
	v_mul_f64 v[8:9], v[23:24], v[8:9]
	s_waitcnt lgkmcnt(3)
	v_mul_f64 v[35:36], v[29:30], v[33:34]
	v_mul_f64 v[33:34], v[27:28], v[33:34]
	s_waitcnt lgkmcnt(0)
	v_mul_f64 v[42:43], v[51:52], v[57:58]
	v_fma_f64 v[19:20], v[23:24], v[6:7], -v[20:21]
	v_fma_f64 v[23:24], v[25:26], v[6:7], v[8:9]
	v_mul_f64 v[25:26], v[53:54], v[57:58]
	v_fma_f64 v[27:28], v[27:28], v[31:32], -v[35:36]
	v_fma_f64 v[29:30], v[29:30], v[31:32], v[33:34]
	ds_read_b128 v[6:9], v18 offset:560
	v_fma_f64 v[35:36], v[53:54], v[55:56], v[42:43]
	s_waitcnt lgkmcnt(0)
	s_barrier
	buffer_gl0_inv
	v_add_f64 v[19:20], v[19:20], 0
	v_add_f64 v[23:24], v[23:24], 0
	v_fma_f64 v[25:26], v[51:52], v[55:56], -v[25:26]
	v_mul_f64 v[31:32], v[8:9], v[49:50]
	v_mul_f64 v[33:34], v[6:7], v[49:50]
	v_add_f64 v[19:20], v[19:20], v[27:28]
	v_add_f64 v[23:24], v[23:24], v[29:30]
	v_fma_f64 v[6:7], v[6:7], v[47:48], -v[31:32]
	v_fma_f64 v[8:9], v[8:9], v[47:48], v[33:34]
	v_add_f64 v[19:20], v[19:20], v[25:26]
	v_add_f64 v[23:24], v[23:24], v[35:36]
	v_add_f64 v[6:7], v[19:20], v[6:7]
	v_add_f64 v[8:9], v[23:24], v[8:9]
	ds_write_b128 v46, v[6:9]
	s_waitcnt lgkmcnt(0)
	s_barrier
	buffer_gl0_inv
	s_and_saveexec_b32 s7, s3
	s_cbranch_execz .LBB60_117
; %bb.116:
	ds_read_b128 v[2:5], v45
	ds_read_b128 v[6:9], v45 offset:16
	s_waitcnt lgkmcnt(0)
	v_add_f64 v[19:20], v[6:7], v[2:3]
	v_add_f64 v[23:24], v[8:9], v[4:5]
	ds_read_b128 v[2:5], v45 offset:32
	ds_read_b128 v[6:9], v45 offset:48
	s_waitcnt lgkmcnt(1)
	v_add_f64 v[2:3], v[19:20], v[2:3]
	v_add_f64 v[4:5], v[23:24], v[4:5]
	s_waitcnt lgkmcnt(0)
	v_add_f64 v[19:20], v[2:3], v[6:7]
	v_add_f64 v[23:24], v[4:5], v[8:9]
	ds_read_b128 v[2:5], v45 offset:64
	ds_read_b128 v[6:9], v45 offset:80
	s_waitcnt lgkmcnt(1)
	v_add_f64 v[2:3], v[19:20], v[2:3]
	v_add_f64 v[4:5], v[23:24], v[4:5]
	;; [unrolled: 8-line block ×3, first 2 shown]
	s_waitcnt lgkmcnt(0)
	v_add_f64 v[2:3], v[2:3], v[6:7]
	v_add_f64 v[4:5], v[4:5], v[8:9]
.LBB60_117:
	s_or_b32 exec_lo, exec_lo, s7
	s_lshl_b64 s[8:9], s[10:11], 4
	v_cmp_ne_u32_e32 vcc_lo, 1, v22
	v_sub_co_u32 v42, s7, v11, s8
	v_subrev_co_ci_u32_e64 v43, null, s9, v12, s7
	s_barrier
	buffer_gl0_inv
	s_cbranch_vccnz .LBB60_119
; %bb.118:
	flat_load_dwordx4 v[6:9], v[42:43]
	s_lshl_b64 s[8:9], s[14:15], 7
	s_movk_i32 s7, 0x1080
	v_add_co_u32 v11, vcc_lo, v42, s8
	v_add_co_ci_u32_e64 v12, null, s9, v43, vcc_lo
	s_waitcnt vmcnt(0) lgkmcnt(0)
	ds_write2_b64 v16, v[6:7], v[8:9] offset1:1
	flat_load_dwordx4 v[19:22], v[11:12]
	v_add_nc_u32_e32 v8, 8, v13
	v_add_co_u32 v11, vcc_lo, v11, s8
	v_add_co_ci_u32_e64 v12, null, s9, v12, vcc_lo
	v_mad_u32_u24 v6, 0x210, v8, v14
	v_add_nc_u32_e32 v9, 16, v13
	s_waitcnt vmcnt(0) lgkmcnt(0)
	ds_write2_b64 v6, v[19:20], v[21:22] offset1:1
	flat_load_dwordx4 v[19:22], v[11:12]
	v_mad_u32_u24 v6, 0x210, v8, s7
	v_add_co_u32 v11, vcc_lo, v11, s8
	v_add_co_ci_u32_e64 v12, null, s9, v12, vcc_lo
	v_add_nc_u32_e32 v7, v14, v6
	s_movk_i32 s7, 0x2100
	s_waitcnt vmcnt(0) lgkmcnt(0)
	ds_write2_b64 v7, v[19:20], v[21:22] offset1:1
	flat_load_dwordx4 v[19:22], v[11:12]
	v_mad_u32_u24 v12, 0x210, v8, s7
	v_mul_u32_u24_e32 v7, 0x210, v8
	v_add_nc_u32_e32 v11, 24, v13
	v_add_nc_u32_e32 v17, v14, v12
	s_waitcnt vmcnt(0) lgkmcnt(0)
	ds_write2_b64 v17, v[19:20], v[21:22] offset1:1
	s_cbranch_execz .LBB60_120
	s_branch .LBB60_137
.LBB60_119:
                                        ; implicit-def: $vgpr8
                                        ; implicit-def: $vgpr7
                                        ; implicit-def: $vgpr9
                                        ; implicit-def: $vgpr6
                                        ; implicit-def: $vgpr11
                                        ; implicit-def: $vgpr12
.LBB60_120:
	v_or_b32_e32 v6, 32, v10
	s_ashr_i32 s21, s20, 31
	v_cmp_le_i32_e64 s7, s20, v13
	s_lshl_b64 s[8:9], s[20:21], 4
	v_lshlrev_b32_e32 v7, 4, v6
	v_sub_co_u32 v7, vcc_lo, v42, v7
	v_subrev_co_ci_u32_e64 v8, null, 0, v43, vcc_lo
	v_add_co_u32 v7, vcc_lo, v7, s8
	v_add_co_ci_u32_e64 v8, null, s9, v8, vcc_lo
	v_add_co_u32 v9, vcc_lo, v7, -16
	v_add_co_ci_u32_e64 v7, null, -1, v8, vcc_lo
	v_cmp_gt_i32_e32 vcc_lo, s20, v6
	v_cndmask_b32_e32 v7, v7, v43, vcc_lo
	v_cndmask_b32_e32 v6, v9, v42, vcc_lo
	s_and_saveexec_b32 s10, s7
	s_xor_b32 s7, exec_lo, s10
	s_cbranch_execz .LBB60_122
; %bb.121:
	v_mov_b32_e32 v19, 0
	v_mov_b32_e32 v20, v19
	v_mov_b32_e32 v21, v19
	v_mov_b32_e32 v22, v19
	ds_write_b128 v16, v[19:22]
.LBB60_122:
	s_andn2_saveexec_b32 s7, s7
	s_cbranch_execz .LBB60_124
; %bb.123:
	flat_load_dwordx4 v[19:22], v[6:7]
	s_waitcnt vmcnt(0) lgkmcnt(0)
	ds_write2_b64 v16, v[19:20], v[21:22] offset1:1
.LBB60_124:
	s_or_b32 exec_lo, exec_lo, s7
	v_add_nc_u32_e32 v8, 8, v13
	v_cmp_le_i32_e64 s7, s20, v8
	s_and_saveexec_b32 s10, s7
	s_xor_b32 s7, exec_lo, s10
	s_cbranch_execz .LBB60_126
; %bb.125:
	v_mov_b32_e32 v19, 0
	v_mad_u32_u24 v9, 0x210, v8, v14
	v_mov_b32_e32 v20, v19
	v_mov_b32_e32 v21, v19
	;; [unrolled: 1-line block ×3, first 2 shown]
	ds_write_b128 v9, v[19:22]
.LBB60_126:
	s_andn2_saveexec_b32 s10, s7
	s_cbranch_execz .LBB60_128
; %bb.127:
	s_lshl_b64 s[24:25], s[14:15], 7
	v_mad_u32_u24 v9, 0x210, v8, v14
	v_add_co_u32 v11, s7, v6, s24
	v_add_co_ci_u32_e64 v12, null, s25, v7, s7
	flat_load_dwordx4 v[19:22], v[11:12]
	s_waitcnt vmcnt(0) lgkmcnt(0)
	ds_write2_b64 v9, v[19:20], v[21:22] offset1:1
.LBB60_128:
	s_or_b32 exec_lo, exec_lo, s10
	v_add_nc_u32_e32 v9, 16, v13
	v_cmp_le_i32_e64 s7, s20, v9
	s_and_saveexec_b32 s10, s7
	s_xor_b32 s7, exec_lo, s10
	s_cbranch_execz .LBB60_130
; %bb.129:
	v_mov_b32_e32 v19, 0
	v_mad_u32_u24 v11, 0x210, v9, v14
	v_mov_b32_e32 v20, v19
	v_mov_b32_e32 v21, v19
	;; [unrolled: 1-line block ×3, first 2 shown]
	ds_write_b128 v11, v[19:22]
.LBB60_130:
	s_andn2_saveexec_b32 s10, s7
	s_cbranch_execz .LBB60_132
; %bb.131:
	s_lshl_b64 s[24:25], s[14:15], 8
	v_add_co_u32 v11, s7, v6, s24
	v_add_co_ci_u32_e64 v12, null, s25, v7, s7
	flat_load_dwordx4 v[19:22], v[11:12]
	v_mad_u32_u24 v11, 0x210, v9, v14
	s_waitcnt vmcnt(0) lgkmcnt(0)
	ds_write2_b64 v11, v[19:20], v[21:22] offset1:1
.LBB60_132:
	s_or_b32 exec_lo, exec_lo, s10
	v_add_nc_u32_e32 v11, 24, v13
                                        ; implicit-def: $vgpr12
	v_cmp_le_i32_e64 s7, s20, v11
	s_and_saveexec_b32 s10, s7
	s_xor_b32 s7, exec_lo, s10
	s_cbranch_execz .LBB60_134
; %bb.133:
	v_mov_b32_e32 v19, 0
	v_mad_u32_u24 v17, 0x210, v11, v14
	v_mul_u32_u24_e32 v12, 0x210, v11
	v_mov_b32_e32 v20, v19
	v_mov_b32_e32 v21, v19
	;; [unrolled: 1-line block ×3, first 2 shown]
	ds_write_b128 v17, v[19:22]
.LBB60_134:
	s_andn2_saveexec_b32 s7, s7
	s_cbranch_execz .LBB60_136
; %bb.135:
	v_mad_u64_u32 v[19:20], null, 0x180, s14, v[6:7]
	v_mad_u32_u24 v17, 0x210, v11, v14
	v_mov_b32_e32 v12, v20
	v_mad_u64_u32 v[20:21], null, 0x180, s15, v[12:13]
	v_mul_u32_u24_e32 v12, 0x210, v11
	flat_load_dwordx4 v[19:22], v[19:20]
	s_waitcnt vmcnt(0) lgkmcnt(0)
	ds_write2_b64 v17, v[19:20], v[21:22] offset1:1
.LBB60_136:
	s_or_b32 exec_lo, exec_lo, s7
	v_lshlrev_b32_e32 v10, 4, v10
	v_add_co_u32 v6, s7, v6, v10
	v_add_co_ci_u32_e64 v7, null, 0, v7, s7
	v_sub_co_u32 v6, s7, v6, s8
	v_subrev_co_ci_u32_e64 v7, null, s9, v7, s7
	v_add_co_u32 v6, s7, 0x210, v6
	v_add_co_ci_u32_e64 v10, null, 0, v7, s7
	s_movk_i32 s7, 0x1080
	v_mul_u32_u24_e32 v7, 0x210, v8
	v_cndmask_b32_e32 v42, v6, v42, vcc_lo
	v_cndmask_b32_e32 v43, v10, v43, vcc_lo
	v_mad_u32_u24 v6, 0x210, v8, s7
.LBB60_137:
	v_lshlrev_b32_e32 v10, 4, v13
	s_waitcnt lgkmcnt(0)
	s_barrier
	buffer_gl0_inv
	v_lshlrev_b32_e32 v8, 4, v8
	ds_read_b128 v[19:22], v10 offset:18176
	ds_read_b128 v[23:26], v16
	v_add_nc_u32_e32 v7, v14, v7
	ds_read_b128 v[27:30], v8 offset:18176
	ds_read_b128 v[31:34], v7
	v_lshlrev_b32_e32 v7, 4, v9
	v_add_nc_u32_e32 v10, v14, v6
	ds_read_b128 v[6:9], v7 offset:18176
	ds_read_b128 v[47:50], v10
	v_lshlrev_b32_e32 v10, 4, v11
	v_add_nc_u32_e32 v14, v14, v12
	s_waitcnt lgkmcnt(4)
	v_mul_f64 v[16:17], v[21:22], v[25:26]
	v_mul_f64 v[25:26], v[19:20], v[25:26]
	s_waitcnt lgkmcnt(2)
	v_mul_f64 v[35:36], v[29:30], v[33:34]
	v_mul_f64 v[33:34], v[27:28], v[33:34]
	v_fma_f64 v[16:17], v[19:20], v[23:24], -v[16:17]
	v_fma_f64 v[23:24], v[21:22], v[23:24], v[25:26]
	s_waitcnt lgkmcnt(0)
	v_mul_f64 v[25:26], v[8:9], v[49:50]
	v_mul_f64 v[49:50], v[6:7], v[49:50]
	ds_read_b128 v[10:13], v10 offset:18176
	ds_read2_b64 v[19:22], v14 offset1:1
	v_fma_f64 v[27:28], v[27:28], v[31:32], -v[35:36]
	v_fma_f64 v[29:30], v[29:30], v[31:32], v[33:34]
	v_lshl_add_u32 v14, v15, 4, v45
	v_add_f64 v[16:17], v[16:17], 0
	v_add_f64 v[23:24], v[23:24], 0
	s_waitcnt lgkmcnt(0)
	v_mul_f64 v[31:32], v[12:13], v[21:22]
	v_mul_f64 v[21:22], v[10:11], v[21:22]
	v_fma_f64 v[6:7], v[6:7], v[47:48], -v[25:26]
	v_fma_f64 v[8:9], v[8:9], v[47:48], v[49:50]
	v_add_f64 v[16:17], v[16:17], v[27:28]
	v_add_f64 v[23:24], v[23:24], v[29:30]
	v_fma_f64 v[10:11], v[10:11], v[19:20], -v[31:32]
	v_fma_f64 v[12:13], v[12:13], v[19:20], v[21:22]
	v_add_f64 v[6:7], v[16:17], v[6:7]
	v_add_f64 v[8:9], v[23:24], v[8:9]
	ds_read_b128 v[30:33], v18 offset:512
	ds_read_b128 v[22:25], v18 offset:528
	v_add_f64 v[47:48], v[6:7], v[10:11]
	v_add_f64 v[49:50], v[8:9], v[12:13]
	ds_read_b128 v[10:13], v18 offset:544
	ds_read_b128 v[6:9], v18 offset:560
	ds_read_b128 v[34:37], v14
	ds_read_b128 v[26:29], v14 offset:16
	ds_read_b128 v[18:21], v14 offset:32
	;; [unrolled: 1-line block ×3, first 2 shown]
	s_waitcnt lgkmcnt(0)
	s_barrier
	buffer_gl0_inv
	ds_write_b128 v46, v[47:50]
	s_waitcnt lgkmcnt(0)
	s_barrier
	buffer_gl0_inv
	s_and_saveexec_b32 s7, s3
	s_cbranch_execz .LBB60_139
; %bb.138:
	ds_read_b128 v[47:50], v45
	ds_read_b128 v[51:54], v45 offset:16
	s_waitcnt lgkmcnt(1)
	v_add_f64 v[2:3], v[2:3], v[47:48]
	v_add_f64 v[4:5], v[4:5], v[49:50]
	s_waitcnt lgkmcnt(0)
	v_add_f64 v[51:52], v[2:3], v[51:52]
	v_add_f64 v[53:54], v[4:5], v[53:54]
	ds_read_b128 v[2:5], v45 offset:32
	ds_read_b128 v[47:50], v45 offset:48
	s_waitcnt lgkmcnt(1)
	v_add_f64 v[2:3], v[51:52], v[2:3]
	v_add_f64 v[4:5], v[53:54], v[4:5]
	s_waitcnt lgkmcnt(0)
	v_add_f64 v[51:52], v[2:3], v[47:48]
	v_add_f64 v[53:54], v[4:5], v[49:50]
	ds_read_b128 v[2:5], v45 offset:64
	ds_read_b128 v[47:50], v45 offset:80
	s_waitcnt lgkmcnt(1)
	v_add_f64 v[2:3], v[51:52], v[2:3]
	v_add_f64 v[4:5], v[53:54], v[4:5]
	s_waitcnt lgkmcnt(0)
	v_add_f64 v[51:52], v[2:3], v[47:48]
	v_add_f64 v[53:54], v[4:5], v[49:50]
	ds_read_b128 v[2:5], v45 offset:96
	ds_read_b128 v[47:50], v45 offset:112
	s_waitcnt lgkmcnt(1)
	v_add_f64 v[2:3], v[51:52], v[2:3]
	v_add_f64 v[4:5], v[53:54], v[4:5]
	s_waitcnt lgkmcnt(0)
	v_add_f64 v[2:3], v[2:3], v[47:48]
	v_add_f64 v[4:5], v[4:5], v[49:50]
.LBB60_139:
	s_or_b32 exec_lo, exec_lo, s7
	v_mul_f64 v[47:48], v[36:37], v[32:33]
	v_mul_f64 v[36:37], v[36:37], v[30:31]
	;; [unrolled: 1-line block ×4, first 2 shown]
	s_barrier
	buffer_gl0_inv
	v_fma_f64 v[30:31], v[34:35], v[30:31], v[47:48]
	v_fma_f64 v[32:33], v[34:35], v[32:33], -v[36:37]
	v_mul_f64 v[34:35], v[20:21], v[12:13]
	v_mul_f64 v[20:21], v[20:21], v[10:11]
	v_fma_f64 v[22:23], v[26:27], v[22:23], v[49:50]
	v_fma_f64 v[24:25], v[26:27], v[24:25], -v[28:29]
	v_add_f64 v[26:27], v[30:31], 0
	v_add_f64 v[28:29], v[32:33], 0
	v_mul_f64 v[30:31], v[16:17], v[8:9]
	v_mul_f64 v[16:17], v[16:17], v[6:7]
	v_fma_f64 v[10:11], v[18:19], v[10:11], v[34:35]
	v_fma_f64 v[12:13], v[18:19], v[12:13], -v[20:21]
	v_add_f64 v[18:19], v[26:27], v[22:23]
	v_add_f64 v[20:21], v[28:29], v[24:25]
	v_fma_f64 v[6:7], v[14:15], v[6:7], v[30:31]
	v_fma_f64 v[8:9], v[14:15], v[8:9], -v[16:17]
	v_add_f64 v[10:11], v[18:19], v[10:11]
	v_add_f64 v[12:13], v[20:21], v[12:13]
	v_add_f64 v[6:7], v[10:11], v[6:7]
	v_add_f64 v[8:9], v[12:13], v[8:9]
	ds_write_b128 v46, v[6:9]
	s_waitcnt lgkmcnt(0)
	s_barrier
	buffer_gl0_inv
	s_and_saveexec_b32 s3, s2
	s_cbranch_execz .LBB60_141
; %bb.140:
	ds_read_b128 v[6:9], v45
	ds_read_b128 v[10:13], v45 offset:16
	s_waitcnt lgkmcnt(1)
	v_add_f64 v[2:3], v[2:3], v[6:7]
	v_add_f64 v[4:5], v[4:5], v[8:9]
	s_waitcnt lgkmcnt(0)
	v_add_f64 v[10:11], v[2:3], v[10:11]
	v_add_f64 v[12:13], v[4:5], v[12:13]
	ds_read_b128 v[2:5], v45 offset:32
	ds_read_b128 v[6:9], v45 offset:48
	s_waitcnt lgkmcnt(1)
	v_add_f64 v[2:3], v[10:11], v[2:3]
	v_add_f64 v[4:5], v[12:13], v[4:5]
	s_waitcnt lgkmcnt(0)
	v_add_f64 v[10:11], v[2:3], v[6:7]
	v_add_f64 v[12:13], v[4:5], v[8:9]
	ds_read_b128 v[2:5], v45 offset:64
	;; [unrolled: 8-line block ×3, first 2 shown]
	ds_read_b128 v[6:9], v45 offset:112
	s_waitcnt lgkmcnt(1)
	v_add_f64 v[2:3], v[10:11], v[2:3]
	v_add_f64 v[4:5], v[12:13], v[4:5]
	s_waitcnt lgkmcnt(0)
	v_add_f64 v[2:3], v[2:3], v[6:7]
	v_add_f64 v[4:5], v[4:5], v[8:9]
.LBB60_141:
	s_or_b32 exec_lo, exec_lo, s3
	s_load_dwordx2 s[2:3], s[4:5], 0x78
	s_mul_hi_u32 s4, s17, s16
	s_mul_i32 s27, s27, s16
	s_mul_i32 s5, s17, s16
	s_add_i32 s4, s4, s27
	s_mul_hi_u32 s7, s5, s26
	s_mul_i32 s8, s4, s26
	s_mul_i32 s4, s5, s26
	s_add_i32 s5, s7, s8
	s_mul_i32 s8, s17, s6
	s_lshl_b64 s[4:5], s[4:5], 4
	v_cmp_le_i32_e32 vcc_lo, s20, v0
	v_lshlrev_b32_e32 v140, 4, v0
	s_waitcnt lgkmcnt(0)
	s_barrier
	buffer_gl0_inv
	s_add_u32 s4, s2, s4
	s_addc_u32 s5, s3, s5
	s_ashr_i32 s9, s8, 31
	s_lshl_b64 s[2:3], s[8:9], 4
	s_add_u32 s7, s4, s2
	s_addc_u32 s8, s5, s3
	s_and_b32 vcc_lo, s28, vcc_lo
	s_cmp_lt_i32 s6, 1
	s_cbranch_scc1 .LBB60_148
; %bb.142:
	v_lshlrev_b32_e32 v8, 2, v1
	s_ashr_i32 s21, s20, 31
	v_lshrrev_b32_e32 v9, 4, v44
	s_lshl_b64 s[10:11], s[20:21], 4
	s_mul_i32 s3, s12, s19
	v_mad_u64_u32 v[6:7], null, s14, v8, 0
	s_mul_hi_u32 s5, s12, s18
	v_and_b32_e32 v10, 15, v0
	s_mul_i32 s9, s13, s18
	s_add_i32 s3, s5, s3
	s_mul_i32 s4, s12, s18
	s_add_i32 s5, s3, s9
	v_mad_u64_u32 v[7:8], null, s15, v8, v[7:8]
	v_sub_co_u32 v8, s2, v42, s22
	v_subrev_co_ci_u32_e64 v11, null, s23, v43, s2
	v_or_b32_e32 v12, 0xf0, v140
	v_add_co_u32 v8, s2, 0xfffffe00, v8
	v_add_co_ci_u32_e64 v11, null, -1, v11, s2
	v_lshlrev_b64 v[6:7], 4, v[6:7]
	v_sub_co_u32 v8, s2, v8, v40
	v_sub_co_ci_u32_e64 v11, null, v11, v41, s2
	s_lshl_b64 s[4:5], s[4:5], 4
	v_add_co_u32 v6, s2, v8, v6
	v_add_co_ci_u32_e64 v7, null, v11, v7, s2
	v_mov_b32_e32 v137, 0
	v_add_co_u32 v8, s2, v6, s10
	v_add_co_ci_u32_e64 v11, null, s11, v7, s2
	v_add_co_u32 v6, s2, v6, v140
	v_add_co_ci_u32_e64 v7, null, 0, v7, s2
	v_add_co_u32 v8, s2, v8, -16
	v_add_co_ci_u32_e64 v11, null, -1, v11, s2
	v_sub_co_u32 v141, s2, v38, s4
	v_cndmask_b32_e32 v6, v6, v8, vcc_lo
	v_cndmask_b32_e32 v7, v7, v11, vcc_lo
	v_and_b32_e32 v8, 48, v0
	v_lshlrev_b32_e32 v11, 6, v9
	v_mul_i32_i24_e32 v9, 0xffffffd0, v9
	v_subrev_co_ci_u32_e64 v142, null, s5, v39, s2
	v_lshlrev_b32_e32 v8, 4, v8
	v_mad_u32_u24 v147, 0x430, v10, v11
	v_add_nc_u32_e32 v143, 0x4300, v140
	v_lshl_add_u32 v144, v1, 6, 0x4300
	v_add_nc_u32_e32 v145, 0x4700, v140
	v_mad_u32_u24 v146, 0x10c0, v1, v140
	v_cmp_gt_u32_e64 s2, 64, v44
	v_mad_u32_u24 v148, 0x430, v10, v8
	v_mad_u32_u24 v149, 0x430, v10, v12
	v_add_nc_u32_e32 v150, v147, v9
	s_mul_i32 s3, s15, 0xd0
	s_mul_hi_u32 s9, s14, 0xd0
	s_lshl_b64 s[4:5], s[14:15], 4
	s_add_i32 s9, s9, s3
	s_mul_i32 s10, s14, 0xd0
	s_mov_b32 s11, 0
	s_branch .LBB60_144
.LBB60_143:                             ;   in Loop: Header=BB60_144 Depth=1
	s_or_b32 exec_lo, exec_lo, s14
	v_mul_f64 v[151:152], v[16:17], v[24:25]
	v_mul_f64 v[24:25], v[14:15], v[24:25]
	;; [unrolled: 1-line block ×4, first 2 shown]
	s_add_i32 s6, s6, -1
	s_add_i32 s11, s11, 64
	s_cmp_eq_u32 s6, 0
	s_waitcnt_vscnt null, 0x0
	s_barrier
	buffer_gl0_inv
	v_fma_f64 v[14:15], v[14:15], v[22:23], -v[151:152]
	v_fma_f64 v[16:17], v[16:17], v[22:23], v[24:25]
	v_mul_f64 v[22:23], v[12:13], v[32:33]
	v_mul_f64 v[24:25], v[10:11], v[32:33]
	v_fma_f64 v[18:19], v[18:19], v[26:27], -v[153:154]
	v_fma_f64 v[20:21], v[20:21], v[26:27], v[28:29]
	v_add_f64 v[2:3], v[2:3], v[14:15]
	v_add_f64 v[4:5], v[4:5], v[16:17]
	v_mul_f64 v[14:15], v[8:9], v[48:49]
	v_mul_f64 v[16:17], v[6:7], v[48:49]
	v_fma_f64 v[10:11], v[10:11], v[30:31], -v[22:23]
	v_fma_f64 v[12:13], v[12:13], v[30:31], v[24:25]
	v_add_f64 v[2:3], v[2:3], v[18:19]
	v_add_f64 v[4:5], v[4:5], v[20:21]
	;; [unrolled: 6-line block ×14, first 2 shown]
	v_fma_f64 v[6:7], v[114:115], v[118:119], -v[6:7]
	v_fma_f64 v[8:9], v[116:117], v[118:119], v[8:9]
	v_add_f64 v[2:3], v[2:3], v[10:11]
	v_add_f64 v[4:5], v[4:5], v[12:13]
	;; [unrolled: 1-line block ×4, first 2 shown]
	v_add_co_u32 v6, s3, v138, s10
	v_add_co_ci_u32_e64 v7, null, s9, v139, s3
	s_cbranch_scc1 .LBB60_148
.LBB60_144:                             ; =>This Inner Loop Header: Depth=1
	s_and_saveexec_b32 s14, s1
	s_cbranch_execz .LBB60_146
; %bb.145:                              ;   in Loop: Header=BB60_144 Depth=1
	s_mul_i32 s3, s13, s11
	s_mul_hi_u32 s15, s12, s11
	s_mul_i32 s16, s12, s11
	s_add_i32 s17, s15, s3
	s_lshl_b64 s[16:17], s[16:17], 4
	v_add_co_u32 v8, s3, v141, s16
	v_add_co_ci_u32_e64 v9, null, s17, v142, s3
	flat_load_dwordx4 v[8:11], v[8:9]
	s_waitcnt vmcnt(0) lgkmcnt(0)
	ds_write2_b64 v143, v[8:9], v[10:11] offset1:1
.LBB60_146:                             ;   in Loop: Header=BB60_144 Depth=1
	s_or_b32 exec_lo, exec_lo, s14
	v_add_co_u32 v8, s3, v6, s4
	v_add_co_ci_u32_e64 v9, null, s5, v7, s3
	s_waitcnt lgkmcnt(0)
	v_add_co_u32 v10, s3, v8, s4
	v_add_co_ci_u32_e64 v11, null, s5, v9, s3
	s_barrier
	v_add_co_u32 v29, s3, v10, s4
	buffer_gl0_inv
	flat_load_dwordx4 v[14:17], v[6:7]
	v_add_co_ci_u32_e64 v30, null, s5, v11, s3
	s_clause 0x2
	flat_load_dwordx4 v[18:21], v[8:9]
	flat_load_dwordx4 v[10:13], v[10:11]
	;; [unrolled: 1-line block ×3, first 2 shown]
	ds_read_b128 v[22:25], v145
	v_add_co_u32 v54, s3, v29, s10
	v_add_co_ci_u32_e64 v55, null, s9, v30, s3
	v_add_co_u32 v56, s3, v54, s4
	v_add_co_ci_u32_e64 v57, null, s5, v55, s3
	;; [unrolled: 2-line block ×8, first 2 shown]
	s_waitcnt vmcnt(3) lgkmcnt(0)
	v_mul_f64 v[26:27], v[16:17], v[24:25]
	v_mul_f64 v[31:32], v[16:17], v[22:23]
	s_waitcnt vmcnt(2)
	v_mul_f64 v[38:39], v[20:21], v[24:25]
	v_mul_f64 v[40:41], v[20:21], v[22:23]
	s_waitcnt vmcnt(1)
	;; [unrolled: 3-line block ×3, first 2 shown]
	v_mul_f64 v[46:47], v[8:9], v[24:25]
	v_mul_f64 v[48:49], v[8:9], v[22:23]
	v_fma_f64 v[34:35], v[14:15], v[22:23], v[26:27]
	v_fma_f64 v[36:37], v[14:15], v[24:25], -v[31:32]
	v_fma_f64 v[38:39], v[18:19], v[22:23], v[38:39]
	v_fma_f64 v[40:41], v[18:19], v[24:25], -v[40:41]
	v_fma_f64 v[42:43], v[10:11], v[22:23], v[42:43]
	v_fma_f64 v[44:45], v[10:11], v[24:25], -v[44:45]
	v_fma_f64 v[50:51], v[6:7], v[22:23], v[46:47]
	v_fma_f64 v[52:53], v[6:7], v[24:25], -v[48:49]
	ds_read_b128 v[22:25], v144
	ds_read_b128 v[26:29], v144 offset:16
	ds_read_b128 v[30:33], v144 offset:32
	;; [unrolled: 1-line block ×3, first 2 shown]
	ds_write_b128 v146, v[34:37]
	ds_write_b128 v146, v[38:41] offset:1072
	ds_write_b128 v146, v[42:45] offset:2144
	;; [unrolled: 1-line block ×3, first 2 shown]
	s_waitcnt lgkmcnt(0)
	s_barrier
	buffer_gl0_inv
	ds_read_b128 v[86:89], v147
	ds_read_b128 v[90:93], v147 offset:16
	ds_read_b128 v[94:97], v147 offset:32
	;; [unrolled: 1-line block ×3, first 2 shown]
	s_waitcnt lgkmcnt(0)
	s_barrier
	buffer_gl0_inv
	s_clause 0x3
	flat_load_dwordx4 v[50:53], v[54:55]
	flat_load_dwordx4 v[42:45], v[56:57]
	;; [unrolled: 1-line block ×4, first 2 shown]
	ds_read_b128 v[54:57], v145
	v_add_f64 v[86:87], v[86:87], 0
	v_add_f64 v[88:89], v[88:89], 0
	;; [unrolled: 1-line block ×6, first 2 shown]
	s_waitcnt vmcnt(2) lgkmcnt(0)
	v_mul_f64 v[62:63], v[44:45], v[56:57]
	v_mul_f64 v[58:59], v[52:53], v[56:57]
	;; [unrolled: 1-line block ×4, first 2 shown]
	s_waitcnt vmcnt(1)
	v_mul_f64 v[66:67], v[40:41], v[56:57]
	v_mul_f64 v[71:72], v[40:41], v[54:55]
	s_waitcnt vmcnt(0)
	v_mul_f64 v[73:74], v[36:37], v[56:57]
	v_mul_f64 v[75:76], v[36:37], v[54:55]
	v_fma_f64 v[62:63], v[42:43], v[54:55], v[62:63]
	v_fma_f64 v[58:59], v[50:51], v[54:55], v[58:59]
	v_fma_f64 v[60:61], v[50:51], v[56:57], -v[60:61]
	v_fma_f64 v[64:65], v[42:43], v[56:57], -v[64:65]
	v_fma_f64 v[66:67], v[38:39], v[54:55], v[66:67]
	v_fma_f64 v[68:69], v[38:39], v[56:57], -v[71:72]
	v_fma_f64 v[54:55], v[34:35], v[54:55], v[73:74]
	v_fma_f64 v[56:57], v[34:35], v[56:57], -v[75:76]
	ds_read_b128 v[82:85], v144 offset:256
	ds_read_b128 v[78:81], v144 offset:272
	;; [unrolled: 1-line block ×4, first 2 shown]
	ds_write_b128 v146, v[58:61]
	ds_write_b128 v146, v[62:65] offset:1072
	ds_write_b128 v146, v[66:69] offset:2144
	;; [unrolled: 1-line block ×3, first 2 shown]
	s_waitcnt lgkmcnt(0)
	s_barrier
	buffer_gl0_inv
	ds_read_b128 v[98:101], v147
	ds_read_b128 v[114:117], v147 offset:16
	ds_read_b128 v[118:121], v147 offset:32
	;; [unrolled: 1-line block ×3, first 2 shown]
	s_waitcnt lgkmcnt(0)
	s_barrier
	buffer_gl0_inv
	s_clause 0x2
	flat_load_dwordx4 v[66:69], v[102:103]
	flat_load_dwordx4 v[62:65], v[104:105]
	;; [unrolled: 1-line block ×4, first 2 shown]
	ds_read_b128 v[102:105], v145
	v_add_f64 v[159:160], v[98:99], 0
	v_add_f64 v[163:164], v[100:101], 0
	v_add_f64 v[114:115], v[159:160], v[114:115]
	v_add_f64 v[116:117], v[163:164], v[116:117]
	v_add_f64 v[159:160], v[161:162], v[110:111]
	v_add_f64 v[161:162], v[165:166], v[112:113]
	v_add_f64 v[114:115], v[114:115], v[118:119]
	v_add_f64 v[116:117], v[116:117], v[120:121]
	v_add_f64 v[163:164], v[114:115], v[122:123]
	v_add_f64 v[165:166], v[116:117], v[124:125]
	s_waitcnt vmcnt(2) lgkmcnt(0)
	v_mul_f64 v[128:129], v[64:65], v[104:105]
	v_mul_f64 v[106:107], v[68:69], v[104:105]
	;; [unrolled: 1-line block ×4, first 2 shown]
	s_waitcnt vmcnt(1)
	v_mul_f64 v[132:133], v[60:61], v[104:105]
	v_mul_f64 v[138:139], v[60:61], v[102:103]
	s_waitcnt vmcnt(0)
	v_mul_f64 v[151:152], v[56:57], v[104:105]
	v_mul_f64 v[153:154], v[56:57], v[102:103]
	v_fma_f64 v[90:91], v[62:63], v[102:103], v[128:129]
	v_fma_f64 v[86:87], v[66:67], v[102:103], v[106:107]
	v_fma_f64 v[88:89], v[66:67], v[104:105], -v[126:127]
	v_fma_f64 v[92:93], v[62:63], v[104:105], -v[130:131]
	v_fma_f64 v[126:127], v[58:59], v[102:103], v[132:133]
	v_fma_f64 v[128:129], v[58:59], v[104:105], -v[138:139]
	v_fma_f64 v[130:131], v[54:55], v[102:103], v[151:152]
	v_fma_f64 v[132:133], v[54:55], v[104:105], -v[153:154]
	v_add_co_u32 v138, s3, v108, s10
	v_add_co_ci_u32_e64 v139, null, s9, v109, s3
	ds_read_b128 v[106:109], v144 offset:512
	ds_read_b128 v[102:105], v144 offset:528
	;; [unrolled: 1-line block ×4, first 2 shown]
	ds_write_b128 v146, v[86:89]
	ds_write_b128 v146, v[90:93] offset:1072
	ds_write_b128 v146, v[126:129] offset:2144
	;; [unrolled: 1-line block ×3, first 2 shown]
	s_waitcnt lgkmcnt(0)
	s_barrier
	buffer_gl0_inv
	ds_read_b128 v[126:129], v147
	ds_read_b128 v[130:133], v147 offset:16
	ds_read_b128 v[151:154], v147 offset:32
	;; [unrolled: 1-line block ×3, first 2 shown]
	s_waitcnt lgkmcnt(0)
	s_barrier
	buffer_gl0_inv
	flat_load_dwordx4 v[90:93], v[138:139]
	ds_read_b128 v[118:121], v145
	v_add_co_u32 v167, s3, v138, s4
	v_add_co_ci_u32_e64 v168, null, s5, v139, s3
	v_add_co_u32 v171, s3, v167, s4
	flat_load_dwordx4 v[86:89], v[167:168]
	v_add_co_ci_u32_e64 v172, null, s5, v168, s3
	v_add_co_u32 v138, s3, v171, s4
	v_add_f64 v[126:127], v[126:127], 0
	v_add_co_ci_u32_e64 v139, null, s5, v172, s3
	v_add_f64 v[128:129], v[128:129], 0
	v_add_f64 v[126:127], v[126:127], v[130:131]
	;; [unrolled: 1-line block ×3, first 2 shown]
	ds_read_b128 v[130:133], v144 offset:768
	v_add_f64 v[126:127], v[126:127], v[151:152]
	v_add_f64 v[128:129], v[128:129], v[153:154]
	;; [unrolled: 1-line block ×4, first 2 shown]
	ds_read_b128 v[126:129], v144 offset:784
	s_waitcnt vmcnt(1) lgkmcnt(3)
	v_mul_f64 v[110:111], v[92:93], v[120:121]
	v_mul_f64 v[112:113], v[92:93], v[118:119]
	s_waitcnt vmcnt(0) lgkmcnt(2)
	v_mul_f64 v[114:115], v[88:89], v[120:121]
	v_mul_f64 v[116:117], v[88:89], v[118:119]
	v_fma_f64 v[122:123], v[90:91], v[118:119], v[110:111]
	v_fma_f64 v[124:125], v[90:91], v[120:121], -v[112:113]
	flat_load_dwordx4 v[110:113], v[171:172]
	v_fma_f64 v[167:168], v[86:87], v[118:119], v[114:115]
	v_fma_f64 v[169:170], v[86:87], v[120:121], -v[116:117]
	ds_write_b128 v146, v[122:125]
	ds_read_b128 v[122:125], v144 offset:800
	ds_write_b128 v146, v[167:170] offset:1072
	s_waitcnt vmcnt(0) lgkmcnt(3)
	v_mul_f64 v[114:115], v[112:113], v[120:121]
	v_mul_f64 v[116:117], v[112:113], v[118:119]
	v_fma_f64 v[171:172], v[110:111], v[118:119], v[114:115]
	v_fma_f64 v[173:174], v[110:111], v[120:121], -v[116:117]
	flat_load_dwordx4 v[114:117], v[138:139]
	ds_write_b128 v146, v[171:174] offset:2144
	s_waitcnt vmcnt(0) lgkmcnt(1)
	v_mul_f64 v[175:176], v[116:117], v[120:121]
	v_mul_f64 v[177:178], v[116:117], v[118:119]
	v_fma_f64 v[118:119], v[114:115], v[118:119], v[175:176]
	v_fma_f64 v[120:121], v[114:115], v[120:121], -v[177:178]
	ds_write_b128 v146, v[118:121] offset:3216
	ds_read_b128 v[118:121], v144 offset:816
	s_waitcnt lgkmcnt(0)
	s_barrier
	buffer_gl0_inv
	ds_read_b128 v[155:158], v147
	s_waitcnt lgkmcnt(0)
	v_add_f64 v[167:168], v[155:156], 0
	v_add_f64 v[169:170], v[157:158], 0
	ds_read_b128 v[155:158], v147 offset:16
	s_waitcnt lgkmcnt(0)
	v_add_f64 v[167:168], v[167:168], v[155:156]
	v_add_f64 v[169:170], v[169:170], v[157:158]
	ds_read_b128 v[155:158], v147 offset:32
	;; [unrolled: 4-line block ×3, first 2 shown]
	s_waitcnt lgkmcnt(0)
	s_barrier
	buffer_gl0_inv
	v_add_f64 v[155:156], v[167:168], v[155:156]
	v_add_f64 v[157:158], v[169:170], v[157:158]
	ds_write_b128 v150, v[159:162]
	ds_write_b128 v150, v[163:166] offset:256
	ds_write_b128 v150, v[151:154] offset:512
	;; [unrolled: 1-line block ×3, first 2 shown]
	s_waitcnt lgkmcnt(0)
	s_barrier
	buffer_gl0_inv
	s_and_saveexec_b32 s14, s2
	s_cbranch_execz .LBB60_143
; %bb.147:                              ;   in Loop: Header=BB60_144 Depth=1
	ds_read_b128 v[151:154], v148
	ds_read_b128 v[155:158], v148 offset:16
	v_add_nc_u32_e32 v136, s11, v0
	s_waitcnt lgkmcnt(0)
	v_add_f64 v[159:160], v[155:156], v[151:152]
	v_add_f64 v[161:162], v[157:158], v[153:154]
	ds_read_b128 v[151:154], v148 offset:32
	ds_read_b128 v[155:158], v148 offset:48
	s_waitcnt lgkmcnt(1)
	v_add_f64 v[151:152], v[159:160], v[151:152]
	v_add_f64 v[153:154], v[161:162], v[153:154]
	s_waitcnt lgkmcnt(0)
	v_add_f64 v[159:160], v[151:152], v[155:156]
	v_add_f64 v[161:162], v[153:154], v[157:158]
	ds_read_b128 v[151:154], v148 offset:64
	ds_read_b128 v[155:158], v148 offset:80
	s_waitcnt lgkmcnt(1)
	v_add_f64 v[151:152], v[159:160], v[151:152]
	v_add_f64 v[153:154], v[161:162], v[153:154]
	;; [unrolled: 8-line block ×6, first 2 shown]
	s_waitcnt lgkmcnt(0)
	v_add_f64 v[159:160], v[151:152], v[155:156]
	v_add_f64 v[161:162], v[153:154], v[157:158]
	ds_read_b128 v[151:154], v148 offset:224
	ds_read_b128 v[155:158], v149
	s_waitcnt lgkmcnt(1)
	v_add_f64 v[151:152], v[159:160], v[151:152]
	v_add_f64 v[153:154], v[161:162], v[153:154]
	s_waitcnt lgkmcnt(0)
	v_add_f64 v[151:152], v[151:152], v[155:156]
	v_add_f64 v[153:154], v[153:154], v[157:158]
	v_lshlrev_b64 v[155:156], 4, v[136:137]
	v_add_co_u32 v155, s3, s7, v155
	v_add_co_ci_u32_e64 v156, null, s8, v156, s3
	global_store_dwordx4 v[155:156], v[151:154], off
	s_branch .LBB60_143
.LBB60_148:
	v_mad_u32_u24 v0, 0x430, v1, v140
	s_nor_b32 s0, s0, vcc_lo
	ds_write_b128 v0, v[2:5]
	s_waitcnt lgkmcnt(0)
	s_barrier
	buffer_gl0_inv
	s_and_saveexec_b32 s1, s0
	s_cbranch_execz .LBB60_150
; %bb.149:
	ds_read_b128 v[0:3], v140 offset:1072
	ds_read_b128 v[4:7], v140
	s_waitcnt lgkmcnt(0)
	v_add_f64 v[8:9], v[0:1], v[4:5]
	v_add_f64 v[10:11], v[2:3], v[6:7]
	ds_read_b128 v[0:3], v140 offset:2144
	ds_read_b128 v[4:7], v140 offset:3216
	s_waitcnt lgkmcnt(1)
	v_add_f64 v[0:1], v[8:9], v[0:1]
	v_add_f64 v[2:3], v[10:11], v[2:3]
	s_waitcnt lgkmcnt(0)
	v_add_f64 v[0:1], v[0:1], v[4:5]
	v_add_f64 v[2:3], v[2:3], v[6:7]
	v_lshlrev_b64 v[4:5], 4, v[134:135]
	v_add_co_u32 v4, vcc_lo, s7, v4
	v_add_co_ci_u32_e64 v5, null, s8, v5, vcc_lo
	global_store_dwordx4 v[4:5], v[0:3], off
.LBB60_150:
	s_endpgm
	.section	.rodata,"a",@progbits
	.p2align	6, 0x0
	.amdhsa_kernel _ZL26rocblas_hemvn_kernel_lowerILb1ELi64ELi4ELi33ELi32ELi16El19rocblas_complex_numIdEPKPKS1_PS1_EviT6_lT7_lT5_lS8_lS9_lS7_lT8_i
		.amdhsa_group_segment_fixed_size 19200
		.amdhsa_private_segment_fixed_size 0
		.amdhsa_kernarg_size 392
		.amdhsa_user_sgpr_count 6
		.amdhsa_user_sgpr_private_segment_buffer 1
		.amdhsa_user_sgpr_dispatch_ptr 0
		.amdhsa_user_sgpr_queue_ptr 0
		.amdhsa_user_sgpr_kernarg_segment_ptr 1
		.amdhsa_user_sgpr_dispatch_id 0
		.amdhsa_user_sgpr_flat_scratch_init 0
		.amdhsa_user_sgpr_private_segment_size 0
		.amdhsa_wavefront_size32 1
		.amdhsa_uses_dynamic_stack 0
		.amdhsa_system_sgpr_private_segment_wavefront_offset 0
		.amdhsa_system_sgpr_workgroup_id_x 1
		.amdhsa_system_sgpr_workgroup_id_y 0
		.amdhsa_system_sgpr_workgroup_id_z 1
		.amdhsa_system_sgpr_workgroup_info 0
		.amdhsa_system_vgpr_workitem_id 1
		.amdhsa_next_free_vgpr 179
		.amdhsa_next_free_sgpr 32
		.amdhsa_reserve_vcc 1
		.amdhsa_reserve_flat_scratch 1
		.amdhsa_float_round_mode_32 0
		.amdhsa_float_round_mode_16_64 0
		.amdhsa_float_denorm_mode_32 3
		.amdhsa_float_denorm_mode_16_64 3
		.amdhsa_dx10_clamp 1
		.amdhsa_ieee_mode 1
		.amdhsa_fp16_overflow 0
		.amdhsa_workgroup_processor_mode 1
		.amdhsa_memory_ordered 1
		.amdhsa_forward_progress 1
		.amdhsa_shared_vgpr_count 0
		.amdhsa_exception_fp_ieee_invalid_op 0
		.amdhsa_exception_fp_denorm_src 0
		.amdhsa_exception_fp_ieee_div_zero 0
		.amdhsa_exception_fp_ieee_overflow 0
		.amdhsa_exception_fp_ieee_underflow 0
		.amdhsa_exception_fp_ieee_inexact 0
		.amdhsa_exception_int_div_zero 0
	.end_amdhsa_kernel
	.section	.text._ZL26rocblas_hemvn_kernel_lowerILb1ELi64ELi4ELi33ELi32ELi16El19rocblas_complex_numIdEPKPKS1_PS1_EviT6_lT7_lT5_lS8_lS9_lS7_lT8_i,"axG",@progbits,_ZL26rocblas_hemvn_kernel_lowerILb1ELi64ELi4ELi33ELi32ELi16El19rocblas_complex_numIdEPKPKS1_PS1_EviT6_lT7_lT5_lS8_lS9_lS7_lT8_i,comdat
.Lfunc_end60:
	.size	_ZL26rocblas_hemvn_kernel_lowerILb1ELi64ELi4ELi33ELi32ELi16El19rocblas_complex_numIdEPKPKS1_PS1_EviT6_lT7_lT5_lS8_lS9_lS7_lT8_i, .Lfunc_end60-_ZL26rocblas_hemvn_kernel_lowerILb1ELi64ELi4ELi33ELi32ELi16El19rocblas_complex_numIdEPKPKS1_PS1_EviT6_lT7_lT5_lS8_lS9_lS7_lT8_i
                                        ; -- End function
	.set _ZL26rocblas_hemvn_kernel_lowerILb1ELi64ELi4ELi33ELi32ELi16El19rocblas_complex_numIdEPKPKS1_PS1_EviT6_lT7_lT5_lS8_lS9_lS7_lT8_i.num_vgpr, 179
	.set _ZL26rocblas_hemvn_kernel_lowerILb1ELi64ELi4ELi33ELi32ELi16El19rocblas_complex_numIdEPKPKS1_PS1_EviT6_lT7_lT5_lS8_lS9_lS7_lT8_i.num_agpr, 0
	.set _ZL26rocblas_hemvn_kernel_lowerILb1ELi64ELi4ELi33ELi32ELi16El19rocblas_complex_numIdEPKPKS1_PS1_EviT6_lT7_lT5_lS8_lS9_lS7_lT8_i.numbered_sgpr, 32
	.set _ZL26rocblas_hemvn_kernel_lowerILb1ELi64ELi4ELi33ELi32ELi16El19rocblas_complex_numIdEPKPKS1_PS1_EviT6_lT7_lT5_lS8_lS9_lS7_lT8_i.num_named_barrier, 0
	.set _ZL26rocblas_hemvn_kernel_lowerILb1ELi64ELi4ELi33ELi32ELi16El19rocblas_complex_numIdEPKPKS1_PS1_EviT6_lT7_lT5_lS8_lS9_lS7_lT8_i.private_seg_size, 0
	.set _ZL26rocblas_hemvn_kernel_lowerILb1ELi64ELi4ELi33ELi32ELi16El19rocblas_complex_numIdEPKPKS1_PS1_EviT6_lT7_lT5_lS8_lS9_lS7_lT8_i.uses_vcc, 1
	.set _ZL26rocblas_hemvn_kernel_lowerILb1ELi64ELi4ELi33ELi32ELi16El19rocblas_complex_numIdEPKPKS1_PS1_EviT6_lT7_lT5_lS8_lS9_lS7_lT8_i.uses_flat_scratch, 1
	.set _ZL26rocblas_hemvn_kernel_lowerILb1ELi64ELi4ELi33ELi32ELi16El19rocblas_complex_numIdEPKPKS1_PS1_EviT6_lT7_lT5_lS8_lS9_lS7_lT8_i.has_dyn_sized_stack, 0
	.set _ZL26rocblas_hemvn_kernel_lowerILb1ELi64ELi4ELi33ELi32ELi16El19rocblas_complex_numIdEPKPKS1_PS1_EviT6_lT7_lT5_lS8_lS9_lS7_lT8_i.has_recursion, 0
	.set _ZL26rocblas_hemvn_kernel_lowerILb1ELi64ELi4ELi33ELi32ELi16El19rocblas_complex_numIdEPKPKS1_PS1_EviT6_lT7_lT5_lS8_lS9_lS7_lT8_i.has_indirect_call, 0
	.section	.AMDGPU.csdata,"",@progbits
; Kernel info:
; codeLenInByte = 10448
; TotalNumSgprs: 34
; NumVgprs: 179
; ScratchSize: 0
; MemoryBound: 0
; FloatMode: 240
; IeeeMode: 1
; LDSByteSize: 19200 bytes/workgroup (compile time only)
; SGPRBlocks: 0
; VGPRBlocks: 22
; NumSGPRsForWavesPerEU: 34
; NumVGPRsForWavesPerEU: 179
; Occupancy: 5
; WaveLimiterHint : 0
; COMPUTE_PGM_RSRC2:SCRATCH_EN: 0
; COMPUTE_PGM_RSRC2:USER_SGPR: 6
; COMPUTE_PGM_RSRC2:TRAP_HANDLER: 0
; COMPUTE_PGM_RSRC2:TGID_X_EN: 1
; COMPUTE_PGM_RSRC2:TGID_Y_EN: 0
; COMPUTE_PGM_RSRC2:TGID_Z_EN: 1
; COMPUTE_PGM_RSRC2:TIDIG_COMP_CNT: 1
	.section	.text._ZL36rocblas_hemvn_kernel_lower_block_sumILi64El19rocblas_complex_numIdEPKPS1_S1_EviT1_lS5_lT2_lT0_lPT3_i,"axG",@progbits,_ZL36rocblas_hemvn_kernel_lower_block_sumILi64El19rocblas_complex_numIdEPKPS1_S1_EviT1_lS5_lT2_lT0_lPT3_i,comdat
	.globl	_ZL36rocblas_hemvn_kernel_lower_block_sumILi64El19rocblas_complex_numIdEPKPS1_S1_EviT1_lS5_lT2_lT0_lPT3_i ; -- Begin function _ZL36rocblas_hemvn_kernel_lower_block_sumILi64El19rocblas_complex_numIdEPKPS1_S1_EviT1_lS5_lT2_lT0_lPT3_i
	.p2align	8
	.type	_ZL36rocblas_hemvn_kernel_lower_block_sumILi64El19rocblas_complex_numIdEPKPS1_S1_EviT1_lS5_lT2_lT0_lPT3_i,@function
_ZL36rocblas_hemvn_kernel_lower_block_sumILi64El19rocblas_complex_numIdEPKPS1_S1_EviT1_lS5_lT2_lT0_lPT3_i: ; @_ZL36rocblas_hemvn_kernel_lower_block_sumILi64El19rocblas_complex_numIdEPKPS1_S1_EviT1_lS5_lT2_lT0_lPT3_i
; %bb.0:
	s_clause 0x1
	s_load_dwordx4 s[12:15], s[4:5], 0x8
	s_load_dwordx4 s[8:11], s[4:5], 0x20
	s_mov_b32 s16, s7
	s_waitcnt lgkmcnt(0)
	v_cmp_neq_f64_e64 s0, s[12:13], 0
	v_cmp_neq_f64_e64 s1, s[14:15], 0
	s_or_b32 s0, s0, s1
	s_mov_b32 s1, -1
	s_and_b32 vcc_lo, exec_lo, s0
	s_cbranch_vccnz .LBB61_2
; %bb.1:
	v_cmp_neq_f64_e64 s1, s[8:9], 1.0
	v_cmp_neq_f64_e64 s2, s[10:11], 0
	s_or_b32 s1, s1, s2
.LBB61_2:
	s_andn2_b32 vcc_lo, exec_lo, s1
	s_cbranch_vccnz .LBB61_22
; %bb.3:
	s_clause 0x1
	s_load_dwordx2 s[20:21], s[4:5], 0x38
	s_load_dword s18, s[4:5], 0x0
	s_mov_b32 s17, 0
	s_xor_b32 s19, s0, -1
	s_lshl_b64 s[22:23], s[16:17], 3
	s_load_dwordx4 s[0:3], s[4:5], 0x40
	v_lshl_or_b32 v4, s6, 6, v0
	s_waitcnt lgkmcnt(0)
	s_add_u32 s20, s20, s22
	s_addc_u32 s21, s21, s23
	s_load_dwordx2 s[20:21], s[20:21], 0x0
	s_lshl_b64 s[22:23], s[0:1], 4
	v_cmp_gt_i32_e64 s0, s18, v4
	s_waitcnt lgkmcnt(0)
	s_add_u32 s7, s20, s22
	s_addc_u32 s20, s21, s23
	s_andn2_b32 vcc_lo, exec_lo, s19
	s_cbranch_vccnz .LBB61_8
; %bb.4:
	s_mov_b32 s1, 0
                                        ; implicit-def: $vgpr2_vgpr3
                                        ; implicit-def: $vgpr5_vgpr6
	s_and_saveexec_b32 s19, s0
	s_cbranch_execz .LBB61_9
; %bb.5:
	v_cmp_neq_f64_e64 s0, s[8:9], 0
	v_cmp_neq_f64_e64 s17, s[10:11], 0
	v_ashrrev_i32_e32 v0, 31, v4
	v_mul_lo_u32 v7, s3, v4
	v_mad_u64_u32 v[5:6], null, s2, v4, 0
	v_mov_b32_e32 v2, 0
	v_mul_lo_u32 v8, s2, v0
	v_mov_b32_e32 v0, 0
	v_mov_b32_e32 v3, 0
	;; [unrolled: 1-line block ×3, first 2 shown]
	v_add3_u32 v6, v6, v8, v7
	s_or_b32 s0, s0, s17
	s_andn2_b32 vcc_lo, exec_lo, s0
	s_cbranch_vccnz .LBB61_7
; %bb.6:
	v_lshlrev_b64 v[0:1], 4, v[5:6]
	v_add_co_u32 v0, vcc_lo, s7, v0
	v_add_co_ci_u32_e64 v1, null, s20, v1, vcc_lo
	flat_load_dwordx4 v[7:10], v[0:1]
	s_waitcnt vmcnt(0) lgkmcnt(0)
	v_mul_f64 v[0:1], s[10:11], v[9:10]
	v_mul_f64 v[2:3], s[8:9], v[9:10]
	v_fma_f64 v[0:1], s[8:9], v[7:8], -v[0:1]
	v_fma_f64 v[2:3], s[10:11], v[7:8], v[2:3]
.LBB61_7:
	s_mov_b32 s17, exec_lo
	s_or_b32 exec_lo, exec_lo, s19
	s_and_b32 vcc_lo, exec_lo, s1
	s_cbranch_vccnz .LBB61_10
	s_branch .LBB61_20
.LBB61_8:
                                        ; implicit-def: $vgpr2_vgpr3
                                        ; implicit-def: $vgpr5_vgpr6
	s_cbranch_execnz .LBB61_10
	s_branch .LBB61_20
.LBB61_9:
	s_or_b32 exec_lo, exec_lo, s19
	s_and_b32 vcc_lo, exec_lo, s1
	s_cbranch_vccz .LBB61_20
.LBB61_10:
	s_mov_b32 s21, exec_lo
                                        ; implicit-def: $vgpr2_vgpr3
                                        ; implicit-def: $vgpr5_vgpr6
	v_cmpx_gt_i32_e64 s18, v4
	s_cbranch_execz .LBB61_19
; %bb.11:
	s_load_dword s22, s[4:5], 0x68
	v_mov_b32_e32 v0, 0
	v_mov_b32_e32 v2, 0
	v_mov_b32_e32 v1, 0
	v_mov_b32_e32 v3, 0
	s_waitcnt lgkmcnt(0)
	s_cmp_ge_i32 s6, s22
	s_cbranch_scc1 .LBB61_14
; %bb.12:
	s_load_dwordx2 s[0:1], s[4:5], 0x58
	v_mad_u64_u32 v[0:1], null, s18, s6, v[4:5]
	s_ashr_i32 s19, s18, 31
	s_mul_hi_u32 s4, s18, s16
	s_mul_i32 s5, s19, s16
	s_mul_i32 s16, s18, s16
	s_add_i32 s4, s4, s5
	s_mul_hi_u32 s5, s16, s22
	v_ashrrev_i32_e32 v1, 31, v0
	s_mul_i32 s23, s4, s22
	s_mul_i32 s4, s16, s22
	s_add_i32 s5, s5, s23
	v_lshlrev_b64 v[2:3], 4, v[0:1]
	s_lshl_b64 s[4:5], s[4:5], 4
	v_mov_b32_e32 v0, 0
	v_mov_b32_e32 v1, 0
	s_waitcnt lgkmcnt(0)
	s_add_u32 s0, s0, s4
	s_addc_u32 s1, s1, s5
	v_add_co_u32 v5, vcc_lo, s0, v2
	v_add_co_ci_u32_e64 v6, null, s1, v3, vcc_lo
	v_mov_b32_e32 v2, 0
	v_add_co_u32 v5, vcc_lo, v5, 8
	v_mov_b32_e32 v3, 0
	v_add_co_ci_u32_e64 v6, null, 0, v6, vcc_lo
	s_lshl_b64 s[0:1], s[18:19], 4
.LBB61_13:                              ; =>This Inner Loop Header: Depth=1
	global_load_dwordx4 v[7:10], v[5:6], off offset:-8
	v_add_co_u32 v5, vcc_lo, v5, s0
	v_add_co_ci_u32_e64 v6, null, s1, v6, vcc_lo
	s_add_i32 s6, s6, 1
	s_cmp_ge_i32 s6, s22
	s_waitcnt vmcnt(0)
	v_add_f64 v[2:3], v[2:3], v[7:8]
	v_add_f64 v[0:1], v[0:1], v[9:10]
	s_cbranch_scc0 .LBB61_13
.LBB61_14:
	v_mul_f64 v[5:6], s[14:15], v[0:1]
	v_mul_f64 v[7:8], s[12:13], v[0:1]
	v_cmp_neq_f64_e64 s0, s[8:9], 0
	v_cmp_neq_f64_e64 s1, s[10:11], 0
	v_fma_f64 v[0:1], s[12:13], v[2:3], -v[5:6]
	v_fma_f64 v[2:3], s[14:15], v[2:3], v[7:8]
	v_ashrrev_i32_e32 v5, 31, v4
	v_mul_lo_u32 v7, s3, v4
	s_or_b32 s0, s0, s1
	s_andn2_b32 vcc_lo, exec_lo, s0
	v_mul_lo_u32 v8, s2, v5
	s_cbranch_vccz .LBB61_16
; %bb.15:
	v_mad_u64_u32 v[5:6], null, s2, v4, 0
	v_add3_u32 v6, v6, v8, v7
	s_cbranch_execz .LBB61_17
	s_branch .LBB61_18
.LBB61_16:
                                        ; implicit-def: $vgpr5_vgpr6
.LBB61_17:
	v_mad_u64_u32 v[5:6], null, s2, v4, 0
	v_add3_u32 v6, v6, v8, v7
	v_lshlrev_b64 v[7:8], 4, v[5:6]
	v_add_co_u32 v7, vcc_lo, s7, v7
	v_add_co_ci_u32_e64 v8, null, s20, v8, vcc_lo
	flat_load_dwordx4 v[7:10], v[7:8]
	s_waitcnt vmcnt(0) lgkmcnt(0)
	v_mul_f64 v[11:12], s[10:11], v[9:10]
	v_mul_f64 v[9:10], s[8:9], v[9:10]
	v_fma_f64 v[11:12], s[8:9], v[7:8], -v[11:12]
	v_fma_f64 v[7:8], s[10:11], v[7:8], v[9:10]
	v_add_f64 v[0:1], v[0:1], v[11:12]
	v_add_f64 v[2:3], v[2:3], v[7:8]
.LBB61_18:
	s_or_b32 s17, s17, exec_lo
.LBB61_19:
	s_or_b32 exec_lo, exec_lo, s21
.LBB61_20:
	s_and_saveexec_b32 s0, s17
	s_cbranch_execz .LBB61_22
; %bb.21:
	v_lshlrev_b64 v[4:5], 4, v[5:6]
	v_add_co_u32 v4, vcc_lo, s7, v4
	v_add_co_ci_u32_e64 v5, null, s20, v5, vcc_lo
	flat_store_dwordx4 v[4:5], v[0:3]
.LBB61_22:
	s_endpgm
	.section	.rodata,"a",@progbits
	.p2align	6, 0x0
	.amdhsa_kernel _ZL36rocblas_hemvn_kernel_lower_block_sumILi64El19rocblas_complex_numIdEPKPS1_S1_EviT1_lS5_lT2_lT0_lPT3_i
		.amdhsa_group_segment_fixed_size 0
		.amdhsa_private_segment_fixed_size 0
		.amdhsa_kernarg_size 360
		.amdhsa_user_sgpr_count 6
		.amdhsa_user_sgpr_private_segment_buffer 1
		.amdhsa_user_sgpr_dispatch_ptr 0
		.amdhsa_user_sgpr_queue_ptr 0
		.amdhsa_user_sgpr_kernarg_segment_ptr 1
		.amdhsa_user_sgpr_dispatch_id 0
		.amdhsa_user_sgpr_flat_scratch_init 0
		.amdhsa_user_sgpr_private_segment_size 0
		.amdhsa_wavefront_size32 1
		.amdhsa_uses_dynamic_stack 0
		.amdhsa_system_sgpr_private_segment_wavefront_offset 0
		.amdhsa_system_sgpr_workgroup_id_x 1
		.amdhsa_system_sgpr_workgroup_id_y 0
		.amdhsa_system_sgpr_workgroup_id_z 1
		.amdhsa_system_sgpr_workgroup_info 0
		.amdhsa_system_vgpr_workitem_id 0
		.amdhsa_next_free_vgpr 13
		.amdhsa_next_free_sgpr 24
		.amdhsa_reserve_vcc 1
		.amdhsa_reserve_flat_scratch 0
		.amdhsa_float_round_mode_32 0
		.amdhsa_float_round_mode_16_64 0
		.amdhsa_float_denorm_mode_32 3
		.amdhsa_float_denorm_mode_16_64 3
		.amdhsa_dx10_clamp 1
		.amdhsa_ieee_mode 1
		.amdhsa_fp16_overflow 0
		.amdhsa_workgroup_processor_mode 1
		.amdhsa_memory_ordered 1
		.amdhsa_forward_progress 1
		.amdhsa_shared_vgpr_count 0
		.amdhsa_exception_fp_ieee_invalid_op 0
		.amdhsa_exception_fp_denorm_src 0
		.amdhsa_exception_fp_ieee_div_zero 0
		.amdhsa_exception_fp_ieee_overflow 0
		.amdhsa_exception_fp_ieee_underflow 0
		.amdhsa_exception_fp_ieee_inexact 0
		.amdhsa_exception_int_div_zero 0
	.end_amdhsa_kernel
	.section	.text._ZL36rocblas_hemvn_kernel_lower_block_sumILi64El19rocblas_complex_numIdEPKPS1_S1_EviT1_lS5_lT2_lT0_lPT3_i,"axG",@progbits,_ZL36rocblas_hemvn_kernel_lower_block_sumILi64El19rocblas_complex_numIdEPKPS1_S1_EviT1_lS5_lT2_lT0_lPT3_i,comdat
.Lfunc_end61:
	.size	_ZL36rocblas_hemvn_kernel_lower_block_sumILi64El19rocblas_complex_numIdEPKPS1_S1_EviT1_lS5_lT2_lT0_lPT3_i, .Lfunc_end61-_ZL36rocblas_hemvn_kernel_lower_block_sumILi64El19rocblas_complex_numIdEPKPS1_S1_EviT1_lS5_lT2_lT0_lPT3_i
                                        ; -- End function
	.set _ZL36rocblas_hemvn_kernel_lower_block_sumILi64El19rocblas_complex_numIdEPKPS1_S1_EviT1_lS5_lT2_lT0_lPT3_i.num_vgpr, 13
	.set _ZL36rocblas_hemvn_kernel_lower_block_sumILi64El19rocblas_complex_numIdEPKPS1_S1_EviT1_lS5_lT2_lT0_lPT3_i.num_agpr, 0
	.set _ZL36rocblas_hemvn_kernel_lower_block_sumILi64El19rocblas_complex_numIdEPKPS1_S1_EviT1_lS5_lT2_lT0_lPT3_i.numbered_sgpr, 24
	.set _ZL36rocblas_hemvn_kernel_lower_block_sumILi64El19rocblas_complex_numIdEPKPS1_S1_EviT1_lS5_lT2_lT0_lPT3_i.num_named_barrier, 0
	.set _ZL36rocblas_hemvn_kernel_lower_block_sumILi64El19rocblas_complex_numIdEPKPS1_S1_EviT1_lS5_lT2_lT0_lPT3_i.private_seg_size, 0
	.set _ZL36rocblas_hemvn_kernel_lower_block_sumILi64El19rocblas_complex_numIdEPKPS1_S1_EviT1_lS5_lT2_lT0_lPT3_i.uses_vcc, 1
	.set _ZL36rocblas_hemvn_kernel_lower_block_sumILi64El19rocblas_complex_numIdEPKPS1_S1_EviT1_lS5_lT2_lT0_lPT3_i.uses_flat_scratch, 0
	.set _ZL36rocblas_hemvn_kernel_lower_block_sumILi64El19rocblas_complex_numIdEPKPS1_S1_EviT1_lS5_lT2_lT0_lPT3_i.has_dyn_sized_stack, 0
	.set _ZL36rocblas_hemvn_kernel_lower_block_sumILi64El19rocblas_complex_numIdEPKPS1_S1_EviT1_lS5_lT2_lT0_lPT3_i.has_recursion, 0
	.set _ZL36rocblas_hemvn_kernel_lower_block_sumILi64El19rocblas_complex_numIdEPKPS1_S1_EviT1_lS5_lT2_lT0_lPT3_i.has_indirect_call, 0
	.section	.AMDGPU.csdata,"",@progbits
; Kernel info:
; codeLenInByte = 884
; TotalNumSgprs: 26
; NumVgprs: 13
; ScratchSize: 0
; MemoryBound: 0
; FloatMode: 240
; IeeeMode: 1
; LDSByteSize: 0 bytes/workgroup (compile time only)
; SGPRBlocks: 0
; VGPRBlocks: 1
; NumSGPRsForWavesPerEU: 26
; NumVGPRsForWavesPerEU: 13
; Occupancy: 16
; WaveLimiterHint : 1
; COMPUTE_PGM_RSRC2:SCRATCH_EN: 0
; COMPUTE_PGM_RSRC2:USER_SGPR: 6
; COMPUTE_PGM_RSRC2:TRAP_HANDLER: 0
; COMPUTE_PGM_RSRC2:TGID_X_EN: 1
; COMPUTE_PGM_RSRC2:TGID_Y_EN: 0
; COMPUTE_PGM_RSRC2:TGID_Z_EN: 1
; COMPUTE_PGM_RSRC2:TIDIG_COMP_CNT: 0
	.section	.text._ZL26rocblas_hemvn_kernel_lowerILb1ELi64ELi4ELi33ELi32ELi16Ei19rocblas_complex_numIdEPKPKS1_PS1_EviT6_lT7_lT5_lS8_lS9_lS7_lT8_i,"axG",@progbits,_ZL26rocblas_hemvn_kernel_lowerILb1ELi64ELi4ELi33ELi32ELi16Ei19rocblas_complex_numIdEPKPKS1_PS1_EviT6_lT7_lT5_lS8_lS9_lS7_lT8_i,comdat
	.globl	_ZL26rocblas_hemvn_kernel_lowerILb1ELi64ELi4ELi33ELi32ELi16Ei19rocblas_complex_numIdEPKPKS1_PS1_EviT6_lT7_lT5_lS8_lS9_lS7_lT8_i ; -- Begin function _ZL26rocblas_hemvn_kernel_lowerILb1ELi64ELi4ELi33ELi32ELi16Ei19rocblas_complex_numIdEPKPKS1_PS1_EviT6_lT7_lT5_lS8_lS9_lS7_lT8_i
	.p2align	8
	.type	_ZL26rocblas_hemvn_kernel_lowerILb1ELi64ELi4ELi33ELi32ELi16Ei19rocblas_complex_numIdEPKPKS1_PS1_EviT6_lT7_lT5_lS8_lS9_lS7_lT8_i,@function
_ZL26rocblas_hemvn_kernel_lowerILb1ELi64ELi4ELi33ELi32ELi16Ei19rocblas_complex_numIdEPKPKS1_PS1_EviT6_lT7_lT5_lS8_lS9_lS7_lT8_i: ; @_ZL26rocblas_hemvn_kernel_lowerILb1ELi64ELi4ELi33ELi32ELi16Ei19rocblas_complex_numIdEPKPKS1_PS1_EviT6_lT7_lT5_lS8_lS9_lS7_lT8_i
; %bb.0:
	s_load_dwordx2 s[0:1], s[4:5], 0x94
	s_add_u32 s8, s4, 0x88
	s_addc_u32 s9, s5, 0
	s_waitcnt lgkmcnt(0)
	s_lshr_b32 s2, s0, 16
	s_and_b32 s0, s0, 0xffff
	s_and_b32 s1, s1, 0xffff
	s_mul_i32 s0, s2, s0
	s_mul_i32 s0, s0, s1
	s_cmpk_lg_i32 s0, 0x100
	s_cbranch_scc1 .LBB62_150
; %bb.1:
	s_load_dwordx4 s[0:3], s[4:5], 0x8
	v_mov_b32_e32 v2, v1
	s_mov_b32 s12, s7
	s_waitcnt lgkmcnt(0)
	v_cmp_neq_f64_e64 s0, s[0:1], 0
	v_cmp_neq_f64_e64 s1, s[2:3], 0
	s_or_b32 s0, s0, s1
	s_and_b32 vcc_lo, exec_lo, s0
	s_mov_b32 s0, -1
	s_cbranch_vccnz .LBB62_3
; %bb.2:
	s_load_dwordx4 s[0:3], s[4:5], 0x60
	s_waitcnt lgkmcnt(0)
	v_cmp_eq_f64_e64 s0, s[0:1], 1.0
	v_cmp_eq_f64_e64 s1, s[2:3], 0
	s_and_b32 s0, s0, s1
	s_andn2_b32 vcc_lo, exec_lo, s0
	s_mov_b32 s0, 0
.LBB62_3:
	s_andn2_b32 vcc_lo, exec_lo, s0
	s_cbranch_vccnz .LBB62_150
; %bb.4:
	s_clause 0x1
	s_load_dwordx4 s[0:3], s[4:5], 0x20
	s_load_dwordx4 s[16:19], s[4:5], 0x40
	s_mov_b32 s13, 0
	s_load_dword s11, s[4:5], 0x50
	s_lshl_b64 s[14:15], s[12:13], 3
	s_waitcnt lgkmcnt(0)
	s_add_u32 s0, s0, s14
	s_addc_u32 s1, s1, s15
	s_add_u32 s14, s16, s14
	s_addc_u32 s15, s17, s15
	s_lshl_b64 s[16:17], s[18:19], 4
	s_load_dwordx2 s[14:15], s[14:15], 0x0
	s_load_dword s13, s[4:5], 0x0
	s_load_dword s26, s[8:9], 0x0
	s_load_dwordx2 s[8:9], s[0:1], 0x0
	s_waitcnt lgkmcnt(0)
	s_add_u32 s7, s14, s16
	s_addc_u32 s10, s15, s17
	s_lshl_b32 s14, s6, 6
	s_ashr_i32 s27, s13, 31
	v_add_nc_u32_e32 v135, s14, v0
	s_lshr_b32 s0, s27, 26
	s_add_i32 s15, s26, -1
	s_add_i32 s1, s13, s0
	v_cmp_ne_u32_e64 s0, 0, v2
	v_mul_lo_u32 v3, s11, v135
	s_andn2_b32 s1, s1, 63
	s_sub_i32 s16, s13, s1
	v_cmp_eq_u32_e64 s1, 0, v2
	s_cmp_eq_u32 s6, s15
	s_cselect_b32 s16, s16, 0
	v_ashrrev_i32_e32 v4, 31, v3
	v_lshlrev_b64 v[3:4], 4, v[3:4]
	v_add_co_u32 v39, vcc_lo, s7, v3
	v_add_co_ci_u32_e64 v40, null, s10, v4, vcc_lo
	s_mov_b32 s7, -1
	s_and_saveexec_b32 s10, s1
	s_cbranch_execz .LBB62_9
; %bb.5:
	v_cmp_le_i32_e32 vcc_lo, s16, v0
	s_cmp_lg_u32 s16, 0
	v_lshl_add_u32 v1, v0, 4, 0x4700
	s_cselect_b32 s15, -1, 0
	s_and_b32 s15, s15, vcc_lo
	s_and_saveexec_b32 s17, s15
	s_xor_b32 s15, exec_lo, s17
	s_cbranch_execz .LBB62_7
; %bb.6:
	v_mov_b32_e32 v3, 0
	v_mov_b32_e32 v4, v3
	v_mov_b32_e32 v5, v3
	v_mov_b32_e32 v6, v3
	ds_write_b128 v1, v[3:6]
                                        ; implicit-def: $vgpr1
.LBB62_7:
	s_andn2_saveexec_b32 s15, s15
	s_cbranch_execz .LBB62_9
; %bb.8:
	flat_load_dwordx4 v[3:6], v[39:40]
	s_waitcnt vmcnt(0) lgkmcnt(0)
	ds_write2_b64 v1, v[3:4], v[5:6] offset1:1
.LBB62_9:
	s_or_b32 exec_lo, exec_lo, s10
	s_load_dword s18, s[4:5], 0x30
	v_lshl_add_u32 v45, v2, 6, v0
	v_and_b32_e32 v1, 31, v0
	s_lshl_b64 s[2:3], s[2:3], 4
	s_add_u32 s8, s8, s2
	v_lshrrev_b32_e32 v13, 5, v45
	s_addc_u32 s9, s9, s3
	s_ashr_i32 s15, s14, 31
	s_lshl_b64 s[2:3], s[14:15], 4
	s_add_u32 s8, s8, s2
	s_addc_u32 s9, s9, s3
	s_waitcnt lgkmcnt(0)
	v_mad_u64_u32 v[3:4], null, s18, v13, v[1:2]
	s_mul_i32 s2, s18, s14
	s_ashr_i32 s3, s2, 31
	s_lshl_b64 s[20:21], s[2:3], 4
	s_cmp_lg_u32 s16, 0
	v_ashrrev_i32_e32 v4, 31, v3
	s_cselect_b32 s15, -1, 0
	s_cmp_eq_u32 s16, 0
	s_cselect_b32 s10, -1, 0
	v_lshlrev_b64 v[41:42], 4, v[3:4]
	v_add_co_u32 v3, vcc_lo, s8, v41
	v_add_co_ci_u32_e64 v4, null, s9, v42, vcc_lo
	v_add_co_u32 v7, vcc_lo, v3, s20
	v_add_co_ci_u32_e64 v8, null, s21, v4, vcc_lo
	s_and_b32 vcc_lo, exec_lo, s15
	s_cbranch_vccnz .LBB62_11
; %bb.10:
	flat_load_dwordx4 v[3:6], v[7:8]
	s_lshl_b32 s2, s18, 3
	v_mul_u32_u24_e32 v9, 0x210, v13
	s_ashr_i32 s3, s2, 31
	s_ashr_i32 s19, s18, 31
	s_lshl_b64 s[2:3], s[2:3], 4
	s_mov_b32 s7, 0
	v_lshl_add_u32 v11, v1, 4, v9
	v_add_co_u32 v9, vcc_lo, v7, s2
	v_add_co_ci_u32_e64 v10, null, s3, v8, vcc_lo
	s_lshl_b64 s[2:3], s[18:19], 7
	v_add_nc_u32_e32 v12, 0x1080, v11
	s_waitcnt vmcnt(0) lgkmcnt(0)
	ds_write2_b64 v11, v[3:4], v[5:6] offset1:1
	flat_load_dwordx4 v[3:6], v[9:10]
	v_add_co_u32 v9, vcc_lo, v9, s2
	v_add_co_ci_u32_e64 v10, null, s3, v10, vcc_lo
	s_waitcnt vmcnt(0) lgkmcnt(0)
	ds_write2_b64 v12, v[3:4], v[5:6] offset1:1
	flat_load_dwordx4 v[3:6], v[9:10]
	v_add_co_u32 v9, vcc_lo, v9, s2
	v_add_nc_u32_e32 v12, 0x2100, v11
	v_add_co_ci_u32_e64 v10, null, s3, v10, vcc_lo
	s_waitcnt vmcnt(0) lgkmcnt(0)
	ds_write2_b64 v12, v[3:4], v[5:6] offset1:1
	flat_load_dwordx4 v[3:6], v[9:10]
	v_add_nc_u32_e32 v9, 0x3180, v11
	s_waitcnt vmcnt(0) lgkmcnt(0)
	ds_write2_b64 v9, v[3:4], v[5:6] offset1:1
.LBB62_11:
	v_lshlrev_b32_e32 v14, 4, v1
	s_andn2_b32 vcc_lo, exec_lo, s7
	s_cbranch_vccnz .LBB62_29
; %bb.12:
	v_sub_co_u32 v3, vcc_lo, v7, v14
	s_ashr_i32 s17, s16, 31
	v_subrev_co_ci_u32_e64 v4, null, 0, v8, vcc_lo
	s_lshl_b64 s[8:9], s[16:17], 4
	v_cmp_le_i32_e64 s2, s16, v13
	v_add_co_u32 v3, vcc_lo, v3, s8
	v_add_co_ci_u32_e64 v4, null, s9, v4, vcc_lo
	v_mad_u32_u24 v5, 0x210, v13, v14
	v_add_co_u32 v3, vcc_lo, v3, -16
	v_add_co_ci_u32_e64 v4, null, -1, v4, vcc_lo
	v_cmp_gt_i32_e32 vcc_lo, s16, v1
	v_cndmask_b32_e32 v4, v4, v8, vcc_lo
	v_cndmask_b32_e32 v3, v3, v7, vcc_lo
	s_and_saveexec_b32 s3, s2
	s_xor_b32 s2, exec_lo, s3
	s_cbranch_execz .LBB62_14
; %bb.13:
	v_mov_b32_e32 v9, 0
	v_mov_b32_e32 v10, v9
	;; [unrolled: 1-line block ×4, first 2 shown]
	ds_write_b128 v5, v[9:12]
                                        ; implicit-def: $vgpr5
.LBB62_14:
	s_andn2_saveexec_b32 s2, s2
	s_cbranch_execz .LBB62_16
; %bb.15:
	flat_load_dwordx4 v[9:12], v[3:4]
	s_waitcnt vmcnt(0) lgkmcnt(0)
	ds_write2_b64 v5, v[9:10], v[11:12] offset1:1
.LBB62_16:
	s_or_b32 exec_lo, exec_lo, s2
	v_add_nc_u32_e32 v6, 8, v13
	v_mul_u32_u24_e32 v5, 0x210, v13
	v_cmp_le_i32_e64 s2, s16, v6
	s_and_saveexec_b32 s3, s2
	s_xor_b32 s2, exec_lo, s3
	s_cbranch_execz .LBB62_18
; %bb.17:
	v_mov_b32_e32 v9, 0
	v_add_nc_u32_e32 v6, v5, v14
	v_mov_b32_e32 v10, v9
	v_mov_b32_e32 v11, v9
	;; [unrolled: 1-line block ×3, first 2 shown]
	ds_write_b128 v6, v[9:12] offset:4224
.LBB62_18:
	s_andn2_saveexec_b32 s3, s2
	s_cbranch_execz .LBB62_20
; %bb.19:
	s_lshl_b32 s22, s18, 3
	v_add3_u32 v6, v5, v14, 0x1080
	s_ashr_i32 s23, s22, 31
	s_lshl_b64 s[22:23], s[22:23], 4
	v_add_co_u32 v9, s2, v3, s22
	v_add_co_ci_u32_e64 v10, null, s23, v4, s2
	flat_load_dwordx4 v[9:12], v[9:10]
	s_waitcnt vmcnt(0) lgkmcnt(0)
	ds_write2_b64 v6, v[9:10], v[11:12] offset1:1
.LBB62_20:
	s_or_b32 exec_lo, exec_lo, s3
	v_add_nc_u32_e32 v6, 16, v13
	v_cmp_le_i32_e64 s2, s16, v6
	s_and_saveexec_b32 s3, s2
	s_xor_b32 s2, exec_lo, s3
	s_cbranch_execz .LBB62_22
; %bb.21:
	v_mov_b32_e32 v9, 0
	v_add_nc_u32_e32 v6, v5, v14
	v_mov_b32_e32 v10, v9
	v_mov_b32_e32 v11, v9
	;; [unrolled: 1-line block ×3, first 2 shown]
	ds_write_b128 v6, v[9:12] offset:8448
.LBB62_22:
	s_andn2_saveexec_b32 s3, s2
	s_cbranch_execz .LBB62_24
; %bb.23:
	s_lshl_b32 s22, s18, 4
	v_add3_u32 v6, v5, v14, 0x2100
	s_ashr_i32 s23, s22, 31
	s_lshl_b64 s[22:23], s[22:23], 4
	v_add_co_u32 v9, s2, v3, s22
	v_add_co_ci_u32_e64 v10, null, s23, v4, s2
	flat_load_dwordx4 v[9:12], v[9:10]
	s_waitcnt vmcnt(0) lgkmcnt(0)
	ds_write2_b64 v6, v[9:10], v[11:12] offset1:1
.LBB62_24:
	s_or_b32 exec_lo, exec_lo, s3
	v_add_nc_u32_e32 v6, 24, v13
	v_cmp_le_i32_e64 s2, s16, v6
	s_and_saveexec_b32 s3, s2
	s_xor_b32 s2, exec_lo, s3
	s_cbranch_execz .LBB62_26
; %bb.25:
	v_mov_b32_e32 v9, 0
	v_add_nc_u32_e32 v5, v5, v14
	v_mov_b32_e32 v10, v9
	v_mov_b32_e32 v11, v9
	;; [unrolled: 1-line block ×3, first 2 shown]
	ds_write_b128 v5, v[9:12] offset:12672
                                        ; implicit-def: $vgpr5
.LBB62_26:
	s_andn2_saveexec_b32 s3, s2
	s_cbranch_execz .LBB62_28
; %bb.27:
	s_mul_i32 s22, s18, 24
	v_add3_u32 v5, v5, v14, 0x3180
	s_ashr_i32 s23, s22, 31
	s_lshl_b64 s[22:23], s[22:23], 4
	v_add_co_u32 v9, s2, v3, s22
	v_add_co_ci_u32_e64 v10, null, s23, v4, s2
	flat_load_dwordx4 v[9:12], v[9:10]
	s_waitcnt vmcnt(0) lgkmcnt(0)
	ds_write2_b64 v5, v[9:10], v[11:12] offset1:1
.LBB62_28:
	s_or_b32 exec_lo, exec_lo, s3
	v_add_co_u32 v3, s2, v3, v14
	v_add_co_ci_u32_e64 v4, null, 0, v4, s2
	v_sub_co_u32 v3, s2, v3, s8
	v_subrev_co_ci_u32_e64 v4, null, s9, v4, s2
	v_add_co_u32 v3, s2, v3, 16
	v_add_co_ci_u32_e64 v4, null, 0, v4, s2
	v_cndmask_b32_e32 v7, v3, v7, vcc_lo
	v_cndmask_b32_e32 v8, v4, v8, vcc_lo
.LBB62_29:
	v_lshlrev_b32_e32 v15, 2, v13
	v_mul_u32_u24_e32 v16, 0x210, v1
	s_mov_b32 s2, 0
	s_waitcnt lgkmcnt(0)
	s_barrier
	v_cmp_ge_u32_e64 s3, v15, v1
	buffer_gl0_inv
                                        ; implicit-def: $vgpr11
	s_and_saveexec_b32 s7, s3
	s_xor_b32 s7, exec_lo, s7
	s_cbranch_execz .LBB62_33
; %bb.30:
	s_mov_b32 s8, exec_lo
                                        ; implicit-def: $vgpr11
	v_cmpx_eq_u32_e64 v15, v1
	s_xor_b32 s8, exec_lo, s8
; %bb.31:
	v_add_nc_u32_e32 v11, v14, v16
	s_mov_b32 s2, exec_lo
; %bb.32:
	s_or_b32 exec_lo, exec_lo, s8
	s_and_b32 s2, s2, exec_lo
.LBB62_33:
	s_or_saveexec_b32 s7, s7
	v_mov_b32_e32 v5, 0
	v_lshl_or_b32 v9, v1, 9, v14
	v_mov_b32_e32 v6, 0
	v_mad_u32_u24 v10, 0x840, v13, v14
	s_xor_b32 exec_lo, exec_lo, s7
	s_cbranch_execz .LBB62_35
; %bb.34:
	ds_read_b128 v[3:6], v10
	v_lshl_add_u32 v11, v15, 4, v9
	s_or_b32 s2, s2, exec_lo
	s_waitcnt lgkmcnt(0)
	v_xor_b32_e32 v6, 0x80000000, v6
	ds_write_b64 v11, v[3:4]
.LBB62_35:
	s_or_b32 exec_lo, exec_lo, s7
	s_and_saveexec_b32 s7, s2
; %bb.36:
	ds_write_b64 v11, v[5:6] offset:8
; %bb.37:
	s_or_b32 exec_lo, exec_lo, s7
	v_or_b32_e32 v18, 1, v15
	s_mov_b32 s2, 0
                                        ; implicit-def: $vgpr12
	v_cmp_ge_u32_e64 s7, v18, v1
	s_and_saveexec_b32 s8, s7
	s_xor_b32 s8, exec_lo, s8
	s_cbranch_execz .LBB62_41
; %bb.38:
	s_mov_b32 s9, exec_lo
                                        ; implicit-def: $vgpr12
	v_cmpx_eq_u32_e64 v18, v1
; %bb.39:
	v_add_nc_u32_e32 v12, v14, v16
	s_mov_b32 s2, exec_lo
; %bb.40:
	s_or_b32 exec_lo, exec_lo, s9
	s_and_b32 s2, s2, exec_lo
.LBB62_41:
	s_or_saveexec_b32 s8, s8
	v_mov_b32_e32 v5, 0
	v_mov_b32_e32 v6, 0
	v_mad_u32_u24 v11, 0x210, v18, v14
	s_xor_b32 exec_lo, exec_lo, s8
	s_cbranch_execz .LBB62_43
; %bb.42:
	ds_read_b128 v[3:6], v11
	v_lshl_add_u32 v17, v15, 4, v9
	s_or_b32 s2, s2, exec_lo
	v_add_nc_u32_e32 v12, 16, v17
	s_waitcnt lgkmcnt(0)
	v_xor_b32_e32 v6, 0x80000000, v6
	ds_write_b64 v17, v[3:4] offset:16
.LBB62_43:
	s_or_b32 exec_lo, exec_lo, s8
	s_and_saveexec_b32 s8, s2
; %bb.44:
	ds_write_b64 v12, v[5:6] offset:8
; %bb.45:
	s_or_b32 exec_lo, exec_lo, s8
	v_or_b32_e32 v19, 2, v15
	s_mov_b32 s2, 0
                                        ; implicit-def: $vgpr12
	v_cmp_ge_u32_e64 s8, v19, v1
	s_and_saveexec_b32 s9, s8
	s_xor_b32 s9, exec_lo, s9
	s_cbranch_execz .LBB62_49
; %bb.46:
	s_mov_b32 s17, exec_lo
                                        ; implicit-def: $vgpr12
	v_cmpx_eq_u32_e64 v19, v1
; %bb.47:
	v_add_nc_u32_e32 v12, v14, v16
	s_mov_b32 s2, exec_lo
; %bb.48:
	s_or_b32 exec_lo, exec_lo, s17
	s_and_b32 s2, s2, exec_lo
.LBB62_49:
	s_or_saveexec_b32 s9, s9
	v_mov_b32_e32 v5, 0
	v_mov_b32_e32 v6, 0
	s_xor_b32 exec_lo, exec_lo, s9
	s_cbranch_execz .LBB62_51
; %bb.50:
	v_mad_u32_u24 v3, 0x210, v19, v14
	v_lshl_add_u32 v17, v15, 4, v9
	s_or_b32 s2, s2, exec_lo
	ds_read_b128 v[3:6], v3
	v_add_nc_u32_e32 v12, 32, v17
	s_waitcnt lgkmcnt(0)
	v_xor_b32_e32 v6, 0x80000000, v6
	ds_write_b64 v17, v[3:4] offset:32
.LBB62_51:
	s_or_b32 exec_lo, exec_lo, s9
	s_and_saveexec_b32 s9, s2
; %bb.52:
	ds_write_b64 v12, v[5:6] offset:8
; %bb.53:
	s_or_b32 exec_lo, exec_lo, s9
	v_or_b32_e32 v20, 3, v15
	s_mov_b32 s2, 0
                                        ; implicit-def: $vgpr12
	v_cmp_ge_u32_e64 s9, v20, v1
	s_and_saveexec_b32 s17, s9
	s_xor_b32 s17, exec_lo, s17
	s_cbranch_execz .LBB62_57
; %bb.54:
	s_mov_b32 s19, exec_lo
                                        ; implicit-def: $vgpr12
	v_cmpx_eq_u32_e64 v20, v1
; %bb.55:
	v_add_nc_u32_e32 v12, v14, v16
	s_mov_b32 s2, exec_lo
; %bb.56:
	s_or_b32 exec_lo, exec_lo, s19
	s_and_b32 s2, s2, exec_lo
                                        ; implicit-def: $vgpr9
.LBB62_57:
	s_or_saveexec_b32 s17, s17
	v_mov_b32_e32 v5, 0
	v_mov_b32_e32 v6, 0
	s_xor_b32 exec_lo, exec_lo, s17
	s_cbranch_execz .LBB62_59
; %bb.58:
	v_mad_u32_u24 v3, 0x210, v20, v14
	v_lshl_add_u32 v9, v15, 4, v9
	s_or_b32 s2, s2, exec_lo
	ds_read_b128 v[3:6], v3
	v_add_nc_u32_e32 v12, 48, v9
	s_waitcnt lgkmcnt(0)
	v_xor_b32_e32 v6, 0x80000000, v6
	ds_write_b64 v9, v[3:4] offset:48
.LBB62_59:
	s_or_b32 exec_lo, exec_lo, s17
	s_and_saveexec_b32 s17, s2
; %bb.60:
	ds_write_b64 v12, v[5:6] offset:8
; %bb.61:
	s_or_b32 exec_lo, exec_lo, s17
	v_lshlrev_b32_e32 v9, 4, v15
	s_waitcnt lgkmcnt(0)
	s_barrier
	buffer_gl0_inv
	ds_read_b128 v[3:6], v10
	ds_read_b128 v[21:24], v9 offset:18176
	ds_read_b128 v[25:28], v11
	ds_read_b128 v[29:32], v11 offset:1056
	ds_read_b128 v[33:36], v9 offset:18192
	;; [unrolled: 1-line block ×4, first 2 shown]
	v_cmp_gt_u32_e64 s2, 32, v45
	s_waitcnt lgkmcnt(5)
	v_mul_f64 v[37:38], v[23:24], v[5:6]
	v_mul_f64 v[5:6], v[21:22], v[5:6]
	s_waitcnt lgkmcnt(2)
	v_mul_f64 v[10:11], v[35:36], v[27:28]
	v_mul_f64 v[27:28], v[33:34], v[27:28]
	s_waitcnt lgkmcnt(0)
	v_mul_f64 v[43:44], v[50:51], v[48:49]
	v_fma_f64 v[21:22], v[21:22], v[3:4], -v[37:38]
	v_fma_f64 v[23:24], v[23:24], v[3:4], v[5:6]
	v_mul_f64 v[37:38], v[52:53], v[48:49]
	v_fma_f64 v[10:11], v[33:34], v[25:26], -v[10:11]
	v_fma_f64 v[25:26], v[35:36], v[25:26], v[27:28]
	ds_read_b128 v[3:6], v9 offset:18224
	v_fma_f64 v[35:36], v[52:53], v[46:47], v[43:44]
	s_waitcnt lgkmcnt(0)
	s_barrier
	buffer_gl0_inv
	v_add_f64 v[21:22], v[21:22], 0
	v_add_f64 v[23:24], v[23:24], 0
	v_fma_f64 v[33:34], v[50:51], v[46:47], -v[37:38]
	v_mul_f64 v[27:28], v[5:6], v[31:32]
	v_mul_f64 v[31:32], v[3:4], v[31:32]
	v_add_f64 v[10:11], v[21:22], v[10:11]
	v_add_f64 v[21:22], v[23:24], v[25:26]
	v_fma_f64 v[3:4], v[3:4], v[29:30], -v[27:28]
	v_fma_f64 v[5:6], v[5:6], v[29:30], v[31:32]
	v_add_f64 v[10:11], v[10:11], v[33:34]
	v_add_f64 v[23:24], v[21:22], v[35:36]
	;; [unrolled: 1-line block ×4, first 2 shown]
	v_mul_u32_u24_e32 v3, 33, v1
	v_mov_b32_e32 v5, 0
	v_mov_b32_e32 v6, 0
	v_lshlrev_b32_e32 v46, 4, v3
	v_mov_b32_e32 v3, 0
	v_mov_b32_e32 v4, 0
	v_lshl_add_u32 v47, v13, 4, v46
	ds_write_b128 v47, v[21:24]
	s_waitcnt lgkmcnt(0)
	s_barrier
	buffer_gl0_inv
	s_and_saveexec_b32 s17, s2
	s_cbranch_execz .LBB62_63
; %bb.62:
	ds_read_b128 v[3:6], v46
	ds_read_b128 v[21:24], v46 offset:16
	s_waitcnt lgkmcnt(0)
	v_add_f64 v[10:11], v[21:22], v[3:4]
	v_add_f64 v[25:26], v[23:24], v[5:6]
	ds_read_b128 v[3:6], v46 offset:32
	ds_read_b128 v[21:24], v46 offset:48
	s_waitcnt lgkmcnt(1)
	v_add_f64 v[3:4], v[10:11], v[3:4]
	v_add_f64 v[5:6], v[25:26], v[5:6]
	s_waitcnt lgkmcnt(0)
	v_add_f64 v[10:11], v[3:4], v[21:22]
	v_add_f64 v[25:26], v[5:6], v[23:24]
	ds_read_b128 v[3:6], v46 offset:64
	ds_read_b128 v[21:24], v46 offset:80
	s_waitcnt lgkmcnt(1)
	v_add_f64 v[3:4], v[10:11], v[3:4]
	v_add_f64 v[5:6], v[25:26], v[5:6]
	;; [unrolled: 8-line block ×3, first 2 shown]
	s_waitcnt lgkmcnt(0)
	v_add_f64 v[3:4], v[3:4], v[21:22]
	v_add_f64 v[5:6], v[5:6], v[23:24]
.LBB62_63:
	s_or_b32 exec_lo, exec_lo, s17
	s_lshl_b32 s22, s18, 5
	v_cndmask_b32_e64 v21, 0, 1, s10
	s_ashr_i32 s23, s22, 31
	s_lshl_b64 s[22:23], s[22:23], 4
	s_barrier
	v_add_co_u32 v7, vcc_lo, v7, s22
	v_add_co_ci_u32_e64 v8, null, s23, v8, vcc_lo
	buffer_gl0_inv
	v_add_co_u32 v11, vcc_lo, 0x200, v7
	v_add_co_ci_u32_e64 v12, null, 0, v8, vcc_lo
	s_andn2_b32 vcc_lo, exec_lo, s10
	s_mov_b32 s10, -1
	s_cbranch_vccnz .LBB62_65
; %bb.64:
	flat_load_dwordx4 v[22:25], v[11:12]
	s_lshl_b32 s24, s18, 3
	v_mad_u32_u24 v10, 0x210, v13, v14
	s_ashr_i32 s25, s24, 31
	s_ashr_i32 s19, s18, 31
	s_lshl_b64 s[24:25], s[24:25], 4
	s_mov_b32 s10, 0
	v_add_co_u32 v26, vcc_lo, v7, s24
	v_add_co_ci_u32_e64 v27, null, s25, v8, vcc_lo
	s_lshl_b64 s[24:25], s[18:19], 7
	v_add_nc_u32_e32 v17, 0x1080, v10
	s_waitcnt vmcnt(0) lgkmcnt(0)
	ds_write2_b64 v10, v[22:23], v[24:25] offset1:1
	flat_load_dwordx4 v[22:25], v[26:27] offset:512
	v_add_co_u32 v26, vcc_lo, v26, s24
	v_add_co_ci_u32_e64 v27, null, s25, v27, vcc_lo
	s_waitcnt vmcnt(0) lgkmcnt(0)
	ds_write2_b64 v17, v[22:23], v[24:25] offset1:1
	flat_load_dwordx4 v[22:25], v[26:27] offset:512
	v_add_co_u32 v26, vcc_lo, v26, s24
	v_add_nc_u32_e32 v17, 0x2100, v10
	v_add_co_ci_u32_e64 v27, null, s25, v27, vcc_lo
	v_add_nc_u32_e32 v10, 0x3180, v10
	s_waitcnt vmcnt(0) lgkmcnt(0)
	ds_write2_b64 v17, v[22:23], v[24:25] offset1:1
	flat_load_dwordx4 v[22:25], v[26:27] offset:512
	s_waitcnt vmcnt(0) lgkmcnt(0)
	ds_write2_b64 v10, v[22:23], v[24:25] offset1:1
.LBB62_65:
	s_andn2_b32 vcc_lo, exec_lo, s10
	s_cbranch_vccnz .LBB62_83
; %bb.66:
	v_sub_co_u32 v7, vcc_lo, v7, v14
	s_ashr_i32 s17, s16, 31
	v_subrev_co_ci_u32_e64 v8, null, 0, v8, vcc_lo
	s_lshl_b64 s[24:25], s[16:17], 4
	v_or_b32_e32 v10, 32, v1
	v_add_co_u32 v7, vcc_lo, v7, s24
	v_add_co_ci_u32_e64 v8, null, s25, v8, vcc_lo
	s_sub_i32 s17, s16, 32
	v_add_co_u32 v7, vcc_lo, v7, -16
	v_add_co_ci_u32_e64 v8, null, -1, v8, vcc_lo
	v_cmp_gt_i32_e32 vcc_lo, s16, v10
	v_cmp_le_i32_e64 s10, s17, v13
	v_mad_u32_u24 v10, 0x210, v13, v14
	v_cndmask_b32_e32 v8, v8, v12, vcc_lo
	v_cndmask_b32_e32 v7, v7, v11, vcc_lo
	s_and_saveexec_b32 s19, s10
	s_xor_b32 s10, exec_lo, s19
	s_cbranch_execz .LBB62_68
; %bb.67:
	v_mov_b32_e32 v22, 0
	v_mov_b32_e32 v23, v22
	;; [unrolled: 1-line block ×4, first 2 shown]
	ds_write_b128 v10, v[22:25]
                                        ; implicit-def: $vgpr10
.LBB62_68:
	s_andn2_saveexec_b32 s10, s10
	s_cbranch_execz .LBB62_70
; %bb.69:
	flat_load_dwordx4 v[22:25], v[7:8]
	s_waitcnt vmcnt(0) lgkmcnt(0)
	ds_write2_b64 v10, v[22:23], v[24:25] offset1:1
.LBB62_70:
	s_or_b32 exec_lo, exec_lo, s10
	v_add_nc_u32_e32 v17, 8, v13
	v_mul_u32_u24_e32 v10, 0x210, v13
	v_cmp_le_i32_e64 s10, s17, v17
	s_and_saveexec_b32 s19, s10
	s_xor_b32 s10, exec_lo, s19
	s_cbranch_execz .LBB62_72
; %bb.71:
	v_mov_b32_e32 v22, 0
	v_add_nc_u32_e32 v17, v10, v14
	v_mov_b32_e32 v23, v22
	v_mov_b32_e32 v24, v22
	;; [unrolled: 1-line block ×3, first 2 shown]
	ds_write_b128 v17, v[22:25] offset:4224
.LBB62_72:
	s_andn2_saveexec_b32 s19, s10
	s_cbranch_execz .LBB62_74
; %bb.73:
	s_lshl_b32 s28, s18, 3
	v_add3_u32 v17, v10, v14, 0x1080
	s_ashr_i32 s29, s28, 31
	s_lshl_b64 s[28:29], s[28:29], 4
	v_add_co_u32 v22, s10, v7, s28
	v_add_co_ci_u32_e64 v23, null, s29, v8, s10
	flat_load_dwordx4 v[22:25], v[22:23]
	s_waitcnt vmcnt(0) lgkmcnt(0)
	ds_write2_b64 v17, v[22:23], v[24:25] offset1:1
.LBB62_74:
	s_or_b32 exec_lo, exec_lo, s19
	v_add_nc_u32_e32 v17, 16, v13
	v_cmp_le_i32_e64 s10, s17, v17
	s_and_saveexec_b32 s19, s10
	s_xor_b32 s10, exec_lo, s19
	s_cbranch_execz .LBB62_76
; %bb.75:
	v_mov_b32_e32 v22, 0
	v_add_nc_u32_e32 v17, v10, v14
	v_mov_b32_e32 v23, v22
	v_mov_b32_e32 v24, v22
	;; [unrolled: 1-line block ×3, first 2 shown]
	ds_write_b128 v17, v[22:25] offset:8448
.LBB62_76:
	s_andn2_saveexec_b32 s19, s10
	s_cbranch_execz .LBB62_78
; %bb.77:
	s_lshl_b32 s28, s18, 4
	v_add3_u32 v17, v10, v14, 0x2100
	s_ashr_i32 s29, s28, 31
	s_lshl_b64 s[28:29], s[28:29], 4
	v_add_co_u32 v22, s10, v7, s28
	v_add_co_ci_u32_e64 v23, null, s29, v8, s10
	flat_load_dwordx4 v[22:25], v[22:23]
	s_waitcnt vmcnt(0) lgkmcnt(0)
	ds_write2_b64 v17, v[22:23], v[24:25] offset1:1
.LBB62_78:
	s_or_b32 exec_lo, exec_lo, s19
	v_add_nc_u32_e32 v17, 24, v13
	v_cmp_le_i32_e64 s10, s17, v17
	s_and_saveexec_b32 s17, s10
	s_xor_b32 s10, exec_lo, s17
	s_cbranch_execz .LBB62_80
; %bb.79:
	v_mov_b32_e32 v22, 0
	v_add_nc_u32_e32 v10, v10, v14
	v_mov_b32_e32 v23, v22
	v_mov_b32_e32 v24, v22
	;; [unrolled: 1-line block ×3, first 2 shown]
	ds_write_b128 v10, v[22:25] offset:12672
                                        ; implicit-def: $vgpr10
.LBB62_80:
	s_andn2_saveexec_b32 s17, s10
	s_cbranch_execz .LBB62_82
; %bb.81:
	s_mul_i32 s28, s18, 24
	v_add3_u32 v10, v10, v14, 0x3180
	s_ashr_i32 s29, s28, 31
	s_lshl_b64 s[28:29], s[28:29], 4
	v_add_co_u32 v22, s10, v7, s28
	v_add_co_ci_u32_e64 v23, null, s29, v8, s10
	flat_load_dwordx4 v[22:25], v[22:23]
	s_waitcnt vmcnt(0) lgkmcnt(0)
	ds_write2_b64 v10, v[22:23], v[24:25] offset1:1
.LBB62_82:
	s_or_b32 exec_lo, exec_lo, s17
	v_add_co_u32 v7, s10, v7, v14
	v_add_co_ci_u32_e64 v8, null, 0, v8, s10
	v_sub_co_u32 v7, s10, v7, s24
	v_subrev_co_ci_u32_e64 v8, null, s25, v8, s10
	v_add_co_u32 v7, s10, 0x210, v7
	v_add_co_ci_u32_e64 v8, null, 0, v8, s10
	v_cndmask_b32_e32 v11, v7, v11, vcc_lo
	v_cndmask_b32_e32 v12, v8, v12, vcc_lo
.LBB62_83:
	v_mul_u32_u24_e32 v7, 0x840, v13
	v_add_nc_u32_e32 v17, 0x4700, v9
	v_mul_u32_u24_e32 v23, 0x210, v18
	s_mov_b32 s10, 0
	s_waitcnt lgkmcnt(0)
	s_barrier
	buffer_gl0_inv
                                        ; implicit-def: $vgpr24
	s_and_saveexec_b32 s17, s3
	s_xor_b32 s3, exec_lo, s17
	s_cbranch_execz .LBB62_87
; %bb.84:
	s_mov_b32 s17, exec_lo
                                        ; implicit-def: $vgpr24
	v_cmpx_eq_u32_e64 v15, v1
	s_xor_b32 s17, exec_lo, s17
; %bb.85:
	s_mov_b32 s10, exec_lo
	v_add_nc_u32_e32 v24, v14, v16
; %bb.86:
	s_or_b32 exec_lo, exec_lo, s17
	s_and_b32 s10, s10, exec_lo
.LBB62_87:
	s_or_saveexec_b32 s3, s3
	v_mov_b32_e32 v9, 0
	v_mov_b32_e32 v10, 0
	v_add_nc_u32_e32 v22, v14, v7
	s_xor_b32 exec_lo, exec_lo, s3
	s_cbranch_execz .LBB62_89
; %bb.88:
	ds_read_b128 v[7:10], v22
	v_lshl_add_u32 v24, v15, 4, v46
	s_or_b32 s10, s10, exec_lo
	s_waitcnt lgkmcnt(0)
	v_xor_b32_e32 v10, 0x80000000, v10
	ds_write_b64 v24, v[7:8]
.LBB62_89:
	s_or_b32 exec_lo, exec_lo, s3
	s_and_saveexec_b32 s3, s10
; %bb.90:
	ds_write_b64 v24, v[9:10] offset:8
; %bb.91:
	s_or_b32 exec_lo, exec_lo, s3
	s_mov_b32 s3, 0
                                        ; implicit-def: $vgpr24
	s_and_saveexec_b32 s10, s7
	s_xor_b32 s7, exec_lo, s10
	s_cbranch_execz .LBB62_95
; %bb.92:
	s_mov_b32 s10, exec_lo
                                        ; implicit-def: $vgpr24
	v_cmpx_eq_u32_e64 v18, v1
; %bb.93:
	v_add_nc_u32_e32 v24, v14, v16
	s_mov_b32 s3, exec_lo
; %bb.94:
	s_or_b32 exec_lo, exec_lo, s10
	s_and_b32 s3, s3, exec_lo
.LBB62_95:
	s_or_saveexec_b32 s7, s7
	v_mov_b32_e32 v9, 0
	v_mov_b32_e32 v10, 0
	v_add_nc_u32_e32 v18, v14, v23
	s_xor_b32 exec_lo, exec_lo, s7
	s_cbranch_execz .LBB62_97
; %bb.96:
	ds_read_b128 v[7:10], v18
	v_lshl_add_u32 v23, v15, 4, v46
	s_or_b32 s3, s3, exec_lo
	v_add_nc_u32_e32 v24, 16, v23
	s_waitcnt lgkmcnt(0)
	v_xor_b32_e32 v10, 0x80000000, v10
	ds_write_b64 v23, v[7:8] offset:16
.LBB62_97:
	s_or_b32 exec_lo, exec_lo, s7
	s_and_saveexec_b32 s7, s3
; %bb.98:
	ds_write_b64 v24, v[9:10] offset:8
; %bb.99:
	s_or_b32 exec_lo, exec_lo, s7
	s_mov_b32 s3, 0
                                        ; implicit-def: $vgpr23
	s_and_saveexec_b32 s7, s8
	s_xor_b32 s7, exec_lo, s7
	s_cbranch_execz .LBB62_103
; %bb.100:
	s_mov_b32 s8, exec_lo
                                        ; implicit-def: $vgpr23
	v_cmpx_eq_u32_e64 v19, v1
; %bb.101:
	v_add_nc_u32_e32 v23, v14, v16
	s_mov_b32 s3, exec_lo
; %bb.102:
	s_or_b32 exec_lo, exec_lo, s8
	s_and_b32 s3, s3, exec_lo
.LBB62_103:
	s_or_saveexec_b32 s7, s7
	v_mov_b32_e32 v9, 0
	v_mov_b32_e32 v10, 0
	s_xor_b32 exec_lo, exec_lo, s7
	s_cbranch_execz .LBB62_105
; %bb.104:
	ds_read_b128 v[7:10], v18 offset:528
	v_lshl_add_u32 v19, v15, 4, v46
	s_or_b32 s3, s3, exec_lo
	v_add_nc_u32_e32 v23, 32, v19
	s_waitcnt lgkmcnt(0)
	v_xor_b32_e32 v10, 0x80000000, v10
	ds_write_b64 v19, v[7:8] offset:32
.LBB62_105:
	s_or_b32 exec_lo, exec_lo, s7
	s_and_saveexec_b32 s7, s3
; %bb.106:
	ds_write_b64 v23, v[9:10] offset:8
; %bb.107:
	s_or_b32 exec_lo, exec_lo, s7
	s_mov_b32 s3, 0
                                        ; implicit-def: $vgpr19
	s_and_saveexec_b32 s7, s9
	s_xor_b32 s7, exec_lo, s7
	s_cbranch_execz .LBB62_111
; %bb.108:
	s_mov_b32 s8, exec_lo
                                        ; implicit-def: $vgpr19
	v_cmpx_eq_u32_e64 v20, v1
; %bb.109:
	v_add_nc_u32_e32 v19, v14, v16
	s_mov_b32 s3, exec_lo
; %bb.110:
	s_or_b32 exec_lo, exec_lo, s8
	s_and_b32 s3, s3, exec_lo
.LBB62_111:
	s_or_saveexec_b32 s7, s7
	v_mov_b32_e32 v9, 0
	v_mov_b32_e32 v10, 0
	s_xor_b32 exec_lo, exec_lo, s7
	s_cbranch_execz .LBB62_113
; %bb.112:
	ds_read_b128 v[7:10], v18 offset:1056
	v_lshl_add_u32 v16, v15, 4, v46
	s_or_b32 s3, s3, exec_lo
	v_add_nc_u32_e32 v19, 48, v16
	s_waitcnt lgkmcnt(0)
	v_xor_b32_e32 v10, 0x80000000, v10
	ds_write_b64 v16, v[7:8] offset:48
.LBB62_113:
	s_or_b32 exec_lo, exec_lo, s7
	s_and_saveexec_b32 s7, s3
; %bb.114:
	ds_write_b64 v19, v[9:10] offset:8
; %bb.115:
	s_or_b32 exec_lo, exec_lo, s7
	s_waitcnt lgkmcnt(0)
	s_barrier
	buffer_gl0_inv
	ds_read_b128 v[7:10], v22
	ds_read_b128 v[22:25], v17 offset:512
	ds_read_b128 v[26:29], v17 offset:528
	ds_read_b128 v[30:33], v18
	ds_read_b128 v[34:37], v18 offset:1056
	ds_read_b128 v[48:51], v17 offset:544
	;; [unrolled: 1-line block ×3, first 2 shown]
	v_cmp_eq_u32_e64 s3, 1, v13
	s_waitcnt lgkmcnt(5)
	v_mul_f64 v[19:20], v[24:25], v[9:10]
	v_mul_f64 v[9:10], v[22:23], v[9:10]
	s_waitcnt lgkmcnt(3)
	v_mul_f64 v[43:44], v[28:29], v[32:33]
	v_mul_f64 v[32:33], v[26:27], v[32:33]
	v_fma_f64 v[18:19], v[22:23], v[7:8], -v[19:20]
	v_fma_f64 v[22:23], v[24:25], v[7:8], v[9:10]
	s_waitcnt lgkmcnt(0)
	v_mul_f64 v[24:25], v[50:51], v[54:55]
	v_mul_f64 v[54:55], v[48:49], v[54:55]
	v_fma_f64 v[26:27], v[26:27], v[30:31], -v[43:44]
	v_fma_f64 v[28:29], v[28:29], v[30:31], v[32:33]
	ds_read_b128 v[7:10], v17 offset:560
	s_waitcnt lgkmcnt(0)
	s_barrier
	buffer_gl0_inv
	v_add_f64 v[18:19], v[18:19], 0
	v_add_f64 v[22:23], v[22:23], 0
	v_fma_f64 v[24:25], v[48:49], v[52:53], -v[24:25]
	v_mul_f64 v[30:31], v[9:10], v[36:37]
	v_mul_f64 v[32:33], v[7:8], v[36:37]
	v_fma_f64 v[36:37], v[50:51], v[52:53], v[54:55]
	v_add_f64 v[18:19], v[18:19], v[26:27]
	v_add_f64 v[22:23], v[22:23], v[28:29]
	v_fma_f64 v[7:8], v[7:8], v[34:35], -v[30:31]
	v_fma_f64 v[9:10], v[9:10], v[34:35], v[32:33]
	v_add_f64 v[18:19], v[18:19], v[24:25]
	v_add_f64 v[22:23], v[22:23], v[36:37]
	;; [unrolled: 1-line block ×4, first 2 shown]
	ds_write_b128 v47, v[7:10]
	s_waitcnt lgkmcnt(0)
	s_barrier
	buffer_gl0_inv
	s_and_saveexec_b32 s7, s3
	s_cbranch_execz .LBB62_117
; %bb.116:
	ds_read_b128 v[3:6], v46
	ds_read_b128 v[7:10], v46 offset:16
	s_waitcnt lgkmcnt(0)
	v_add_f64 v[18:19], v[7:8], v[3:4]
	v_add_f64 v[22:23], v[9:10], v[5:6]
	ds_read_b128 v[3:6], v46 offset:32
	ds_read_b128 v[7:10], v46 offset:48
	s_waitcnt lgkmcnt(1)
	v_add_f64 v[3:4], v[18:19], v[3:4]
	v_add_f64 v[5:6], v[22:23], v[5:6]
	s_waitcnt lgkmcnt(0)
	v_add_f64 v[18:19], v[3:4], v[7:8]
	v_add_f64 v[22:23], v[5:6], v[9:10]
	ds_read_b128 v[3:6], v46 offset:64
	ds_read_b128 v[7:10], v46 offset:80
	s_waitcnt lgkmcnt(1)
	v_add_f64 v[3:4], v[18:19], v[3:4]
	v_add_f64 v[5:6], v[22:23], v[5:6]
	;; [unrolled: 8-line block ×3, first 2 shown]
	s_waitcnt lgkmcnt(0)
	v_add_f64 v[3:4], v[3:4], v[7:8]
	v_add_f64 v[5:6], v[5:6], v[9:10]
.LBB62_117:
	s_or_b32 exec_lo, exec_lo, s7
	v_cmp_ne_u32_e32 vcc_lo, 1, v21
	v_sub_co_u32 v43, s7, v11, s22
	v_subrev_co_ci_u32_e64 v44, null, s23, v12, s7
	s_barrier
	buffer_gl0_inv
	s_cbranch_vccnz .LBB62_119
; %bb.118:
	flat_load_dwordx4 v[7:10], v[43:44]
	s_lshl_b32 s8, s18, 3
	v_mad_u32_u24 v11, 0x210, v13, v14
	s_ashr_i32 s9, s8, 31
	s_movk_i32 s7, 0x1080
	s_lshl_b64 s[8:9], s[8:9], 4
	s_ashr_i32 s19, s18, 31
	v_add_co_u32 v18, vcc_lo, v43, s8
	v_add_co_ci_u32_e64 v19, null, s9, v44, vcc_lo
	s_lshl_b64 s[8:9], s[18:19], 7
	s_waitcnt vmcnt(0) lgkmcnt(0)
	ds_write2_b64 v11, v[7:8], v[9:10] offset1:1
	flat_load_dwordx4 v[9:12], v[18:19]
	v_mad_u32_u24 v8, 0x210, v13, s7
	v_add_co_u32 v18, vcc_lo, v18, s8
	v_add_co_ci_u32_e64 v19, null, s9, v19, vcc_lo
	v_add_nc_u32_e32 v7, v14, v8
	s_movk_i32 s7, 0x2100
	s_waitcnt vmcnt(0) lgkmcnt(0)
	ds_write2_b64 v7, v[9:10], v[11:12] offset1:1
	flat_load_dwordx4 v[9:12], v[18:19]
	v_mad_u32_u24 v7, 0x210, v13, s7
	v_add_co_u32 v18, vcc_lo, v18, s8
	v_add_co_ci_u32_e64 v19, null, s9, v19, vcc_lo
	v_add_nc_u32_e32 v16, v14, v7
	s_movk_i32 s7, 0x3180
	s_waitcnt vmcnt(0) lgkmcnt(0)
	ds_write2_b64 v16, v[9:10], v[11:12] offset1:1
	flat_load_dwordx4 v[18:21], v[18:19]
	v_mad_u32_u24 v16, 0x210, v13, s7
	v_mul_u32_u24_e32 v11, 0x210, v13
	v_add_nc_u32_e32 v10, 8, v13
	v_add_nc_u32_e32 v9, 16, v13
	;; [unrolled: 1-line block ×4, first 2 shown]
	s_waitcnt vmcnt(0) lgkmcnt(0)
	ds_write2_b64 v22, v[18:19], v[20:21] offset1:1
	s_cbranch_execz .LBB62_120
	s_branch .LBB62_137
.LBB62_119:
                                        ; implicit-def: $vgpr11
                                        ; implicit-def: $vgpr10
                                        ; implicit-def: $vgpr8
                                        ; implicit-def: $vgpr9
                                        ; implicit-def: $vgpr7
                                        ; implicit-def: $vgpr12
                                        ; implicit-def: $vgpr16
.LBB62_120:
	v_or_b32_e32 v1, 32, v1
	s_ashr_i32 s17, s16, 31
	v_cmp_le_i32_e64 s7, s16, v13
	s_lshl_b64 s[8:9], s[16:17], 4
	v_lshlrev_b32_e32 v7, 4, v1
	v_sub_co_u32 v7, vcc_lo, v43, v7
	v_subrev_co_ci_u32_e64 v8, null, 0, v44, vcc_lo
	v_add_co_u32 v7, vcc_lo, v7, s8
	v_add_co_ci_u32_e64 v8, null, s9, v8, vcc_lo
	v_add_co_u32 v7, vcc_lo, v7, -16
	v_add_co_ci_u32_e64 v8, null, -1, v8, vcc_lo
	v_cmp_gt_i32_e32 vcc_lo, s16, v1
	v_mad_u32_u24 v1, 0x210, v13, v14
	v_cndmask_b32_e32 v8, v8, v44, vcc_lo
	v_cndmask_b32_e32 v7, v7, v43, vcc_lo
	s_and_saveexec_b32 s10, s7
	s_xor_b32 s7, exec_lo, s10
	s_cbranch_execz .LBB62_122
; %bb.121:
	v_mov_b32_e32 v9, 0
	v_mov_b32_e32 v10, v9
	;; [unrolled: 1-line block ×4, first 2 shown]
	ds_write_b128 v1, v[9:12]
                                        ; implicit-def: $vgpr1
.LBB62_122:
	s_andn2_saveexec_b32 s7, s7
	s_cbranch_execz .LBB62_124
; %bb.123:
	flat_load_dwordx4 v[9:12], v[7:8]
	s_waitcnt vmcnt(0) lgkmcnt(0)
	ds_write2_b64 v1, v[9:10], v[11:12] offset1:1
.LBB62_124:
	s_or_b32 exec_lo, exec_lo, s7
	v_add_nc_u32_e32 v10, 8, v13
	v_mul_u32_u24_e32 v11, 0x210, v13
	v_cmp_le_i32_e64 s7, s16, v10
	s_and_saveexec_b32 s10, s7
	s_xor_b32 s7, exec_lo, s10
	s_cbranch_execz .LBB62_126
; %bb.125:
	v_mov_b32_e32 v18, 0
	v_add_nc_u32_e32 v1, v11, v14
	v_mov_b32_e32 v19, v18
	v_mov_b32_e32 v20, v18
	;; [unrolled: 1-line block ×3, first 2 shown]
	ds_write_b128 v1, v[18:21] offset:4224
.LBB62_126:
	s_andn2_saveexec_b32 s10, s7
	s_cbranch_execz .LBB62_128
; %bb.127:
	s_lshl_b32 s22, s18, 3
	v_add3_u32 v1, v11, v14, 0x1080
	s_ashr_i32 s23, s22, 31
	s_lshl_b64 s[22:23], s[22:23], 4
	v_add_co_u32 v18, s7, v7, s22
	v_add_co_ci_u32_e64 v19, null, s23, v8, s7
	flat_load_dwordx4 v[18:21], v[18:19]
	s_waitcnt vmcnt(0) lgkmcnt(0)
	ds_write2_b64 v1, v[18:19], v[20:21] offset1:1
.LBB62_128:
	s_or_b32 exec_lo, exec_lo, s10
	v_add_nc_u32_e32 v9, 16, v13
	v_cmp_le_i32_e64 s7, s16, v9
	s_and_saveexec_b32 s10, s7
	s_xor_b32 s7, exec_lo, s10
	s_cbranch_execz .LBB62_130
; %bb.129:
	v_mov_b32_e32 v18, 0
	v_add_nc_u32_e32 v1, v11, v14
	v_mov_b32_e32 v19, v18
	v_mov_b32_e32 v20, v18
	;; [unrolled: 1-line block ×3, first 2 shown]
	ds_write_b128 v1, v[18:21] offset:8448
.LBB62_130:
	s_andn2_saveexec_b32 s10, s7
	s_cbranch_execz .LBB62_132
; %bb.131:
	s_lshl_b32 s22, s18, 4
	v_add3_u32 v1, v11, v14, 0x2100
	s_ashr_i32 s23, s22, 31
	s_lshl_b64 s[22:23], s[22:23], 4
	v_add_co_u32 v18, s7, v7, s22
	v_add_co_ci_u32_e64 v19, null, s23, v8, s7
	flat_load_dwordx4 v[18:21], v[18:19]
	s_waitcnt vmcnt(0) lgkmcnt(0)
	ds_write2_b64 v1, v[18:19], v[20:21] offset1:1
.LBB62_132:
	s_or_b32 exec_lo, exec_lo, s10
	v_add_nc_u32_e32 v12, 24, v13
                                        ; implicit-def: $vgpr16
	v_cmp_le_i32_e64 s7, s16, v12
	s_and_saveexec_b32 s10, s7
	s_xor_b32 s7, exec_lo, s10
	s_cbranch_execz .LBB62_134
; %bb.133:
	v_add_nc_u32_e32 v16, 0x3180, v11
	v_mov_b32_e32 v18, 0
	v_add_nc_u32_e32 v1, v14, v16
	v_mov_b32_e32 v19, v18
	v_mov_b32_e32 v20, v18
	;; [unrolled: 1-line block ×3, first 2 shown]
	ds_write_b128 v1, v[18:21]
.LBB62_134:
	s_andn2_saveexec_b32 s10, s7
	s_cbranch_execz .LBB62_136
; %bb.135:
	s_mul_i32 s22, s18, 24
	v_add_nc_u32_e32 v16, 0x3180, v11
	s_ashr_i32 s23, s22, 31
	s_lshl_b64 s[22:23], s[22:23], 4
	v_add_nc_u32_e32 v1, v14, v16
	v_add_co_u32 v18, s7, v7, s22
	v_add_co_ci_u32_e64 v19, null, s23, v8, s7
	flat_load_dwordx4 v[18:21], v[18:19]
	s_waitcnt vmcnt(0) lgkmcnt(0)
	ds_write2_b64 v1, v[18:19], v[20:21] offset1:1
.LBB62_136:
	s_or_b32 exec_lo, exec_lo, s10
	v_add_co_u32 v1, s7, v7, v14
	v_add_co_ci_u32_e64 v7, null, 0, v8, s7
	v_add_nc_u32_e32 v8, 0x1080, v11
	v_sub_co_u32 v1, s7, v1, s8
	v_subrev_co_ci_u32_e64 v7, null, s9, v7, s7
	v_add_co_u32 v1, s7, 0x210, v1
	v_add_co_ci_u32_e64 v7, null, 0, v7, s7
	v_cndmask_b32_e32 v43, v1, v43, vcc_lo
	v_cndmask_b32_e32 v44, v7, v44, vcc_lo
	v_add_nc_u32_e32 v7, 0x2100, v11
.LBB62_137:
	v_lshlrev_b32_e32 v1, 4, v13
	v_add_nc_u32_e32 v11, v14, v11
	s_waitcnt lgkmcnt(0)
	s_barrier
	buffer_gl0_inv
	ds_read_b128 v[18:21], v1 offset:18176
	ds_read_b128 v[22:25], v11
	v_lshlrev_b32_e32 v1, 4, v10
	v_add_nc_u32_e32 v8, v14, v8
	v_add_nc_u32_e32 v11, v14, v7
	v_add_nc_u32_e32 v16, v14, v16
	ds_read_b128 v[26:29], v1 offset:18176
	ds_read_b128 v[30:33], v8
	v_lshlrev_b32_e32 v1, 4, v9
	ds_read_b128 v[7:10], v1 offset:18176
	ds_read_b128 v[34:37], v11
	v_lshlrev_b32_e32 v1, 4, v12
	s_waitcnt lgkmcnt(4)
	v_mul_f64 v[48:49], v[20:21], v[24:25]
	v_mul_f64 v[24:25], v[18:19], v[24:25]
	s_waitcnt lgkmcnt(2)
	v_mul_f64 v[50:51], v[28:29], v[32:33]
	v_mul_f64 v[32:33], v[26:27], v[32:33]
	v_fma_f64 v[48:49], v[18:19], v[22:23], -v[48:49]
	v_fma_f64 v[22:23], v[20:21], v[22:23], v[24:25]
	s_waitcnt lgkmcnt(0)
	v_mul_f64 v[24:25], v[9:10], v[36:37]
	v_mul_f64 v[36:37], v[7:8], v[36:37]
	ds_read_b128 v[11:14], v1 offset:18176
	ds_read2_b64 v[18:21], v16 offset1:1
	v_lshl_add_u32 v1, v15, 4, v46
	v_fma_f64 v[26:27], v[26:27], v[30:31], -v[50:51]
	v_fma_f64 v[28:29], v[28:29], v[30:31], v[32:33]
	v_add_f64 v[30:31], v[48:49], 0
	v_add_f64 v[22:23], v[22:23], 0
	s_waitcnt lgkmcnt(0)
	v_mul_f64 v[32:33], v[13:14], v[20:21]
	v_mul_f64 v[20:21], v[11:12], v[20:21]
	v_fma_f64 v[7:8], v[7:8], v[34:35], -v[24:25]
	v_fma_f64 v[9:10], v[9:10], v[34:35], v[36:37]
	v_add_f64 v[24:25], v[30:31], v[26:27]
	v_add_f64 v[22:23], v[22:23], v[28:29]
	v_fma_f64 v[11:12], v[11:12], v[18:19], -v[32:33]
	v_fma_f64 v[13:14], v[13:14], v[18:19], v[20:21]
	v_add_f64 v[7:8], v[24:25], v[7:8]
	v_add_f64 v[9:10], v[22:23], v[9:10]
	ds_read_b128 v[31:34], v17 offset:512
	ds_read_b128 v[23:26], v17 offset:528
	v_add_f64 v[48:49], v[7:8], v[11:12]
	v_add_f64 v[50:51], v[9:10], v[13:14]
	ds_read_b128 v[11:14], v17 offset:544
	ds_read_b128 v[7:10], v17 offset:560
	ds_read_b128 v[35:38], v1
	ds_read_b128 v[27:30], v1 offset:16
	ds_read_b128 v[19:22], v1 offset:32
	;; [unrolled: 1-line block ×3, first 2 shown]
	s_waitcnt lgkmcnt(0)
	s_barrier
	buffer_gl0_inv
	ds_write_b128 v47, v[48:51]
	s_waitcnt lgkmcnt(0)
	s_barrier
	buffer_gl0_inv
	s_and_saveexec_b32 s7, s3
	s_cbranch_execz .LBB62_139
; %bb.138:
	ds_read_b128 v[48:51], v46
	ds_read_b128 v[52:55], v46 offset:16
	s_waitcnt lgkmcnt(1)
	v_add_f64 v[3:4], v[3:4], v[48:49]
	v_add_f64 v[5:6], v[5:6], v[50:51]
	s_waitcnt lgkmcnt(0)
	v_add_f64 v[52:53], v[3:4], v[52:53]
	v_add_f64 v[54:55], v[5:6], v[54:55]
	ds_read_b128 v[3:6], v46 offset:32
	ds_read_b128 v[48:51], v46 offset:48
	s_waitcnt lgkmcnt(1)
	v_add_f64 v[3:4], v[52:53], v[3:4]
	v_add_f64 v[5:6], v[54:55], v[5:6]
	s_waitcnt lgkmcnt(0)
	v_add_f64 v[52:53], v[3:4], v[48:49]
	v_add_f64 v[54:55], v[5:6], v[50:51]
	ds_read_b128 v[3:6], v46 offset:64
	;; [unrolled: 8-line block ×3, first 2 shown]
	ds_read_b128 v[48:51], v46 offset:112
	s_waitcnt lgkmcnt(1)
	v_add_f64 v[3:4], v[52:53], v[3:4]
	v_add_f64 v[5:6], v[54:55], v[5:6]
	s_waitcnt lgkmcnt(0)
	v_add_f64 v[3:4], v[3:4], v[48:49]
	v_add_f64 v[5:6], v[5:6], v[50:51]
.LBB62_139:
	s_or_b32 exec_lo, exec_lo, s7
	v_mul_f64 v[48:49], v[37:38], v[33:34]
	v_mul_f64 v[37:38], v[37:38], v[31:32]
	;; [unrolled: 1-line block ×4, first 2 shown]
	s_barrier
	buffer_gl0_inv
	v_fma_f64 v[31:32], v[35:36], v[31:32], v[48:49]
	v_fma_f64 v[33:34], v[35:36], v[33:34], -v[37:38]
	v_mul_f64 v[35:36], v[21:22], v[13:14]
	v_mul_f64 v[21:22], v[21:22], v[11:12]
	v_fma_f64 v[23:24], v[27:28], v[23:24], v[50:51]
	v_fma_f64 v[25:26], v[27:28], v[25:26], -v[29:30]
	v_add_f64 v[27:28], v[31:32], 0
	v_add_f64 v[29:30], v[33:34], 0
	v_mul_f64 v[31:32], v[17:18], v[9:10]
	v_mul_f64 v[17:18], v[17:18], v[7:8]
	v_fma_f64 v[11:12], v[19:20], v[11:12], v[35:36]
	v_fma_f64 v[13:14], v[19:20], v[13:14], -v[21:22]
	v_add_f64 v[19:20], v[27:28], v[23:24]
	v_add_f64 v[21:22], v[29:30], v[25:26]
	v_fma_f64 v[7:8], v[15:16], v[7:8], v[31:32]
	v_fma_f64 v[9:10], v[15:16], v[9:10], -v[17:18]
	v_add_f64 v[11:12], v[19:20], v[11:12]
	v_add_f64 v[13:14], v[21:22], v[13:14]
	;; [unrolled: 1-line block ×4, first 2 shown]
	ds_write_b128 v47, v[7:10]
	s_waitcnt lgkmcnt(0)
	s_barrier
	buffer_gl0_inv
	s_and_saveexec_b32 s3, s2
	s_cbranch_execz .LBB62_141
; %bb.140:
	ds_read_b128 v[7:10], v46
	ds_read_b128 v[11:14], v46 offset:16
	s_waitcnt lgkmcnt(1)
	v_add_f64 v[3:4], v[3:4], v[7:8]
	v_add_f64 v[5:6], v[5:6], v[9:10]
	s_waitcnt lgkmcnt(0)
	v_add_f64 v[11:12], v[3:4], v[11:12]
	v_add_f64 v[13:14], v[5:6], v[13:14]
	ds_read_b128 v[3:6], v46 offset:32
	ds_read_b128 v[7:10], v46 offset:48
	s_waitcnt lgkmcnt(1)
	v_add_f64 v[3:4], v[11:12], v[3:4]
	v_add_f64 v[5:6], v[13:14], v[5:6]
	s_waitcnt lgkmcnt(0)
	v_add_f64 v[11:12], v[3:4], v[7:8]
	v_add_f64 v[13:14], v[5:6], v[9:10]
	ds_read_b128 v[3:6], v46 offset:64
	;; [unrolled: 8-line block ×3, first 2 shown]
	ds_read_b128 v[7:10], v46 offset:112
	s_waitcnt lgkmcnt(1)
	v_add_f64 v[3:4], v[11:12], v[3:4]
	v_add_f64 v[5:6], v[13:14], v[5:6]
	s_waitcnt lgkmcnt(0)
	v_add_f64 v[3:4], v[3:4], v[7:8]
	v_add_f64 v[5:6], v[5:6], v[9:10]
.LBB62_141:
	s_or_b32 exec_lo, exec_lo, s3
	s_load_dwordx2 s[2:3], s[4:5], 0x78
	s_mul_hi_u32 s4, s13, s12
	s_mul_i32 s27, s27, s12
	s_mul_i32 s5, s13, s12
	s_add_i32 s4, s4, s27
	s_mul_hi_u32 s7, s5, s26
	s_mul_i32 s8, s4, s26
	s_mul_i32 s4, s5, s26
	s_add_i32 s5, s7, s8
	s_mul_i32 s8, s13, s6
	s_lshl_b64 s[4:5], s[4:5], 4
	v_cmp_le_i32_e32 vcc_lo, s16, v0
	v_lshlrev_b32_e32 v138, 4, v0
	s_waitcnt lgkmcnt(0)
	s_barrier
	buffer_gl0_inv
	s_add_u32 s4, s2, s4
	s_addc_u32 s5, s3, s5
	s_ashr_i32 s9, s8, 31
	s_lshl_b64 s[2:3], s[8:9], 4
	s_add_u32 s7, s4, s2
	s_addc_u32 s10, s5, s3
	s_and_b32 vcc_lo, s15, vcc_lo
	s_cmp_lt_i32 s6, 1
	s_cbranch_scc1 .LBB62_148
; %bb.142:
	v_mul_lo_u32 v1, v2, s18
	v_sub_co_u32 v11, s2, v43, s20
	v_subrev_co_ci_u32_e64 v12, null, s21, v44, s2
	s_ashr_i32 s17, s16, 31
	v_add_co_u32 v11, s2, 0xfffffe00, v11
	v_lshl_add_u32 v7, v1, 2, v0
	v_add_co_ci_u32_e64 v12, null, -1, v12, s2
	v_sub_co_u32 v11, s2, v11, v41
	v_ashrrev_i32_e32 v8, 31, v7
	v_sub_co_ci_u32_e64 v12, null, v12, v42, s2
	v_lshrrev_b32_e32 v9, 4, v45
	v_and_b32_e32 v10, 15, v0
	v_lshlrev_b64 v[7:8], 4, v[7:8]
	s_mul_i32 s4, s11, s14
	v_mov_b32_e32 v1, 0
	s_ashr_i32 s5, s4, 31
	v_add_nc_u32_e32 v141, 0x4300, v138
	s_lshl_b64 s[4:5], s[4:5], 4
	v_add_co_u32 v7, s2, v11, v7
	v_add_co_ci_u32_e64 v8, null, v12, v8, s2
	v_lshl_add_u32 v142, v2, 6, 0x4300
	v_sub_co_u32 v11, s2, v7, v138
	v_subrev_co_ci_u32_e64 v12, null, 0, v8, s2
	s_lshl_b64 s[2:3], s[16:17], 4
	v_add_nc_u32_e32 v143, 0x4700, v138
	v_add_co_u32 v11, s2, v11, s2
	v_add_co_ci_u32_e64 v12, null, s3, v12, s2
	v_mad_u32_u24 v144, 0x10c0, v2, v138
	v_add_co_u32 v11, s2, v11, -16
	v_add_co_ci_u32_e64 v12, null, -1, v12, s2
	v_sub_co_u32 v139, s2, v39, s4
	v_cndmask_b32_e32 v7, v7, v11, vcc_lo
	v_cndmask_b32_e32 v8, v8, v12, vcc_lo
	v_and_b32_e32 v11, 48, v0
	v_lshlrev_b32_e32 v12, 6, v9
	v_mul_i32_i24_e32 v9, 0xffffffd0, v9
	v_subrev_co_ci_u32_e64 v140, null, s5, v40, s2
	v_lshlrev_b32_e32 v11, 4, v11
	v_mad_u32_u24 v145, 0x430, v10, v12
	v_or_b32_e32 v12, 0xf0, v138
	v_cmp_gt_u32_e64 s2, 64, v45
	s_ashr_i32 s19, s18, 31
	v_mad_u32_u24 v146, 0x430, v10, v11
	v_add_nc_u32_e32 v148, v145, v9
	v_mad_u32_u24 v147, 0x430, v10, v12
	s_lshl_b32 s11, s11, 6
	s_lshl_b64 s[4:5], s[18:19], 4
	s_mul_hi_i32 s12, s18, 0xd0
	s_mul_i32 s13, s18, 0xd0
	s_mov_b32 s8, 0
	s_branch .LBB62_144
.LBB62_143:                             ;   in Loop: Header=BB62_144 Depth=1
	s_or_b32 exec_lo, exec_lo, s9
	v_mul_f64 v[149:150], v[17:18], v[25:26]
	v_mul_f64 v[25:26], v[15:16], v[25:26]
	;; [unrolled: 1-line block ×4, first 2 shown]
	v_add_nc_u32_e32 v0, 64, v0
	s_add_i32 s6, s6, -1
	s_add_i32 s8, s8, s11
	s_cmp_eq_u32 s6, 0
	s_waitcnt_vscnt null, 0x0
	s_barrier
	buffer_gl0_inv
	v_fma_f64 v[15:16], v[15:16], v[23:24], -v[149:150]
	v_fma_f64 v[17:18], v[17:18], v[23:24], v[25:26]
	v_mul_f64 v[23:24], v[13:14], v[33:34]
	v_mul_f64 v[25:26], v[11:12], v[33:34]
	v_fma_f64 v[19:20], v[19:20], v[27:28], -v[151:152]
	v_fma_f64 v[21:22], v[21:22], v[27:28], v[29:30]
	v_add_f64 v[3:4], v[3:4], v[15:16]
	v_add_f64 v[5:6], v[5:6], v[17:18]
	v_mul_f64 v[15:16], v[9:10], v[49:50]
	v_mul_f64 v[17:18], v[7:8], v[49:50]
	v_fma_f64 v[11:12], v[11:12], v[31:32], -v[23:24]
	v_fma_f64 v[13:14], v[13:14], v[31:32], v[25:26]
	v_add_f64 v[3:4], v[3:4], v[19:20]
	v_add_f64 v[5:6], v[5:6], v[21:22]
	;; [unrolled: 6-line block ×14, first 2 shown]
	v_fma_f64 v[7:8], v[115:116], v[119:120], -v[7:8]
	v_fma_f64 v[9:10], v[117:118], v[119:120], v[9:10]
	v_add_f64 v[3:4], v[3:4], v[11:12]
	v_add_f64 v[5:6], v[5:6], v[13:14]
	;; [unrolled: 1-line block ×4, first 2 shown]
	v_add_co_u32 v7, s3, v136, s13
	v_add_co_ci_u32_e64 v8, null, s12, v137, s3
	s_cbranch_scc1 .LBB62_148
.LBB62_144:                             ; =>This Inner Loop Header: Depth=1
	s_and_saveexec_b32 s14, s1
	s_cbranch_execz .LBB62_146
; %bb.145:                              ;   in Loop: Header=BB62_144 Depth=1
	s_ashr_i32 s9, s8, 31
	s_lshl_b64 s[16:17], s[8:9], 4
	v_add_co_u32 v9, s3, v139, s16
	v_add_co_ci_u32_e64 v10, null, s17, v140, s3
	flat_load_dwordx4 v[9:12], v[9:10]
	s_waitcnt vmcnt(0) lgkmcnt(0)
	ds_write2_b64 v141, v[9:10], v[11:12] offset1:1
.LBB62_146:                             ;   in Loop: Header=BB62_144 Depth=1
	s_or_b32 exec_lo, exec_lo, s14
	v_add_co_u32 v9, s3, v7, s4
	v_add_co_ci_u32_e64 v10, null, s5, v8, s3
	s_waitcnt lgkmcnt(0)
	v_add_co_u32 v11, s3, v9, s4
	v_add_co_ci_u32_e64 v12, null, s5, v10, s3
	s_barrier
	v_add_co_u32 v30, s3, v11, s4
	buffer_gl0_inv
	flat_load_dwordx4 v[15:18], v[7:8]
	v_add_co_ci_u32_e64 v31, null, s5, v12, s3
	s_clause 0x2
	flat_load_dwordx4 v[19:22], v[9:10]
	flat_load_dwordx4 v[11:14], v[11:12]
	flat_load_dwordx4 v[7:10], v[30:31]
	ds_read_b128 v[23:26], v143
	v_add_co_u32 v55, s3, v30, s13
	v_add_co_ci_u32_e64 v56, null, s12, v31, s3
	v_add_co_u32 v57, s3, v55, s4
	v_add_co_ci_u32_e64 v58, null, s5, v56, s3
	;; [unrolled: 2-line block ×8, first 2 shown]
	s_waitcnt vmcnt(3) lgkmcnt(0)
	v_mul_f64 v[27:28], v[17:18], v[25:26]
	v_mul_f64 v[32:33], v[17:18], v[23:24]
	s_waitcnt vmcnt(2)
	v_mul_f64 v[39:40], v[21:22], v[25:26]
	v_mul_f64 v[41:42], v[21:22], v[23:24]
	s_waitcnt vmcnt(1)
	;; [unrolled: 3-line block ×3, first 2 shown]
	v_mul_f64 v[47:48], v[9:10], v[25:26]
	v_mul_f64 v[49:50], v[9:10], v[23:24]
	v_fma_f64 v[35:36], v[15:16], v[23:24], v[27:28]
	v_fma_f64 v[37:38], v[15:16], v[25:26], -v[32:33]
	v_fma_f64 v[39:40], v[19:20], v[23:24], v[39:40]
	v_fma_f64 v[41:42], v[19:20], v[25:26], -v[41:42]
	;; [unrolled: 2-line block ×4, first 2 shown]
	ds_read_b128 v[23:26], v142
	ds_read_b128 v[27:30], v142 offset:16
	ds_read_b128 v[31:34], v142 offset:32
	;; [unrolled: 1-line block ×3, first 2 shown]
	ds_write_b128 v144, v[35:38]
	ds_write_b128 v144, v[39:42] offset:1072
	ds_write_b128 v144, v[43:46] offset:2144
	ds_write_b128 v144, v[51:54] offset:3216
	s_waitcnt lgkmcnt(0)
	s_barrier
	buffer_gl0_inv
	ds_read_b128 v[87:90], v145
	ds_read_b128 v[91:94], v145 offset:16
	ds_read_b128 v[95:98], v145 offset:32
	;; [unrolled: 1-line block ×3, first 2 shown]
	s_waitcnt lgkmcnt(0)
	s_barrier
	buffer_gl0_inv
	s_clause 0x3
	flat_load_dwordx4 v[51:54], v[55:56]
	flat_load_dwordx4 v[43:46], v[57:58]
	;; [unrolled: 1-line block ×4, first 2 shown]
	ds_read_b128 v[55:58], v143
	v_add_f64 v[87:88], v[87:88], 0
	v_add_f64 v[89:90], v[89:90], 0
	;; [unrolled: 1-line block ×6, first 2 shown]
	s_waitcnt vmcnt(2) lgkmcnt(0)
	v_mul_f64 v[63:64], v[45:46], v[57:58]
	v_mul_f64 v[59:60], v[53:54], v[57:58]
	;; [unrolled: 1-line block ×4, first 2 shown]
	s_waitcnt vmcnt(1)
	v_mul_f64 v[67:68], v[41:42], v[57:58]
	v_mul_f64 v[72:73], v[41:42], v[55:56]
	s_waitcnt vmcnt(0)
	v_mul_f64 v[74:75], v[37:38], v[57:58]
	v_mul_f64 v[76:77], v[37:38], v[55:56]
	v_fma_f64 v[63:64], v[43:44], v[55:56], v[63:64]
	v_fma_f64 v[59:60], v[51:52], v[55:56], v[59:60]
	v_fma_f64 v[61:62], v[51:52], v[57:58], -v[61:62]
	v_fma_f64 v[65:66], v[43:44], v[57:58], -v[65:66]
	v_fma_f64 v[67:68], v[39:40], v[55:56], v[67:68]
	v_fma_f64 v[69:70], v[39:40], v[57:58], -v[72:73]
	v_fma_f64 v[55:56], v[35:36], v[55:56], v[74:75]
	v_fma_f64 v[57:58], v[35:36], v[57:58], -v[76:77]
	ds_read_b128 v[83:86], v142 offset:256
	ds_read_b128 v[79:82], v142 offset:272
	;; [unrolled: 1-line block ×4, first 2 shown]
	ds_write_b128 v144, v[59:62]
	ds_write_b128 v144, v[63:66] offset:1072
	ds_write_b128 v144, v[67:70] offset:2144
	;; [unrolled: 1-line block ×3, first 2 shown]
	s_waitcnt lgkmcnt(0)
	s_barrier
	buffer_gl0_inv
	ds_read_b128 v[99:102], v145
	ds_read_b128 v[115:118], v145 offset:16
	ds_read_b128 v[119:122], v145 offset:32
	;; [unrolled: 1-line block ×3, first 2 shown]
	s_waitcnt lgkmcnt(0)
	s_barrier
	buffer_gl0_inv
	s_clause 0x2
	flat_load_dwordx4 v[67:70], v[103:104]
	flat_load_dwordx4 v[63:66], v[105:106]
	;; [unrolled: 1-line block ×4, first 2 shown]
	ds_read_b128 v[103:106], v143
	v_add_f64 v[157:158], v[99:100], 0
	v_add_f64 v[161:162], v[101:102], 0
	;; [unrolled: 1-line block ×10, first 2 shown]
	s_waitcnt vmcnt(2) lgkmcnt(0)
	v_mul_f64 v[129:130], v[65:66], v[105:106]
	v_mul_f64 v[107:108], v[69:70], v[105:106]
	;; [unrolled: 1-line block ×4, first 2 shown]
	s_waitcnt vmcnt(1)
	v_mul_f64 v[133:134], v[61:62], v[105:106]
	v_mul_f64 v[136:137], v[61:62], v[103:104]
	s_waitcnt vmcnt(0)
	v_mul_f64 v[149:150], v[57:58], v[105:106]
	v_mul_f64 v[151:152], v[57:58], v[103:104]
	v_fma_f64 v[91:92], v[63:64], v[103:104], v[129:130]
	v_fma_f64 v[87:88], v[67:68], v[103:104], v[107:108]
	v_fma_f64 v[89:90], v[67:68], v[105:106], -v[127:128]
	v_fma_f64 v[93:94], v[63:64], v[105:106], -v[131:132]
	v_fma_f64 v[127:128], v[59:60], v[103:104], v[133:134]
	v_fma_f64 v[129:130], v[59:60], v[105:106], -v[136:137]
	v_fma_f64 v[131:132], v[55:56], v[103:104], v[149:150]
	v_fma_f64 v[133:134], v[55:56], v[105:106], -v[151:152]
	v_add_co_u32 v136, s3, v109, s13
	v_add_co_ci_u32_e64 v137, null, s12, v110, s3
	ds_read_b128 v[107:110], v142 offset:512
	ds_read_b128 v[103:106], v142 offset:528
	ds_read_b128 v[99:102], v142 offset:544
	ds_read_b128 v[95:98], v142 offset:560
	ds_write_b128 v144, v[87:90]
	ds_write_b128 v144, v[91:94] offset:1072
	ds_write_b128 v144, v[127:130] offset:2144
	;; [unrolled: 1-line block ×3, first 2 shown]
	s_waitcnt lgkmcnt(0)
	s_barrier
	buffer_gl0_inv
	ds_read_b128 v[127:130], v145
	ds_read_b128 v[131:134], v145 offset:16
	ds_read_b128 v[149:152], v145 offset:32
	ds_read_b128 v[153:156], v145 offset:48
	s_waitcnt lgkmcnt(0)
	s_barrier
	buffer_gl0_inv
	flat_load_dwordx4 v[91:94], v[136:137]
	ds_read_b128 v[119:122], v143
	v_add_co_u32 v165, s3, v136, s4
	v_add_co_ci_u32_e64 v166, null, s5, v137, s3
	v_add_co_u32 v169, s3, v165, s4
	flat_load_dwordx4 v[87:90], v[165:166]
	v_add_co_ci_u32_e64 v170, null, s5, v166, s3
	v_add_co_u32 v136, s3, v169, s4
	v_add_f64 v[127:128], v[127:128], 0
	v_add_co_ci_u32_e64 v137, null, s5, v170, s3
	v_add_f64 v[129:130], v[129:130], 0
	v_add_f64 v[127:128], v[127:128], v[131:132]
	;; [unrolled: 1-line block ×3, first 2 shown]
	ds_read_b128 v[131:134], v142 offset:768
	v_add_f64 v[127:128], v[127:128], v[149:150]
	v_add_f64 v[129:130], v[129:130], v[151:152]
	;; [unrolled: 1-line block ×4, first 2 shown]
	ds_read_b128 v[127:130], v142 offset:784
	s_waitcnt vmcnt(1) lgkmcnt(3)
	v_mul_f64 v[111:112], v[93:94], v[121:122]
	v_mul_f64 v[113:114], v[93:94], v[119:120]
	s_waitcnt vmcnt(0) lgkmcnt(2)
	v_mul_f64 v[115:116], v[89:90], v[121:122]
	v_mul_f64 v[117:118], v[89:90], v[119:120]
	v_fma_f64 v[123:124], v[91:92], v[119:120], v[111:112]
	v_fma_f64 v[125:126], v[91:92], v[121:122], -v[113:114]
	flat_load_dwordx4 v[111:114], v[169:170]
	v_fma_f64 v[165:166], v[87:88], v[119:120], v[115:116]
	v_fma_f64 v[167:168], v[87:88], v[121:122], -v[117:118]
	ds_write_b128 v144, v[123:126]
	ds_read_b128 v[123:126], v142 offset:800
	ds_write_b128 v144, v[165:168] offset:1072
	s_waitcnt vmcnt(0) lgkmcnt(3)
	v_mul_f64 v[115:116], v[113:114], v[121:122]
	v_mul_f64 v[117:118], v[113:114], v[119:120]
	v_fma_f64 v[169:170], v[111:112], v[119:120], v[115:116]
	v_fma_f64 v[171:172], v[111:112], v[121:122], -v[117:118]
	flat_load_dwordx4 v[115:118], v[136:137]
	ds_write_b128 v144, v[169:172] offset:2144
	s_waitcnt vmcnt(0) lgkmcnt(1)
	v_mul_f64 v[173:174], v[117:118], v[121:122]
	v_mul_f64 v[175:176], v[117:118], v[119:120]
	v_fma_f64 v[119:120], v[115:116], v[119:120], v[173:174]
	v_fma_f64 v[121:122], v[115:116], v[121:122], -v[175:176]
	ds_write_b128 v144, v[119:122] offset:3216
	ds_read_b128 v[119:122], v142 offset:816
	s_waitcnt lgkmcnt(0)
	s_barrier
	buffer_gl0_inv
	ds_read_b128 v[153:156], v145
	s_waitcnt lgkmcnt(0)
	v_add_f64 v[165:166], v[153:154], 0
	v_add_f64 v[167:168], v[155:156], 0
	ds_read_b128 v[153:156], v145 offset:16
	s_waitcnt lgkmcnt(0)
	v_add_f64 v[165:166], v[165:166], v[153:154]
	v_add_f64 v[167:168], v[167:168], v[155:156]
	ds_read_b128 v[153:156], v145 offset:32
	;; [unrolled: 4-line block ×3, first 2 shown]
	s_waitcnt lgkmcnt(0)
	s_barrier
	buffer_gl0_inv
	v_add_f64 v[153:154], v[165:166], v[153:154]
	v_add_f64 v[155:156], v[167:168], v[155:156]
	ds_write_b128 v148, v[157:160]
	ds_write_b128 v148, v[161:164] offset:256
	ds_write_b128 v148, v[149:152] offset:512
	;; [unrolled: 1-line block ×3, first 2 shown]
	s_waitcnt lgkmcnt(0)
	s_barrier
	buffer_gl0_inv
	s_and_saveexec_b32 s9, s2
	s_cbranch_execz .LBB62_143
; %bb.147:                              ;   in Loop: Header=BB62_144 Depth=1
	ds_read_b128 v[149:152], v146
	ds_read_b128 v[153:156], v146 offset:16
	s_waitcnt lgkmcnt(0)
	v_add_f64 v[157:158], v[153:154], v[149:150]
	v_add_f64 v[159:160], v[155:156], v[151:152]
	ds_read_b128 v[149:152], v146 offset:32
	ds_read_b128 v[153:156], v146 offset:48
	s_waitcnt lgkmcnt(1)
	v_add_f64 v[149:150], v[157:158], v[149:150]
	v_add_f64 v[151:152], v[159:160], v[151:152]
	s_waitcnt lgkmcnt(0)
	v_add_f64 v[157:158], v[149:150], v[153:154]
	v_add_f64 v[159:160], v[151:152], v[155:156]
	ds_read_b128 v[149:152], v146 offset:64
	ds_read_b128 v[153:156], v146 offset:80
	s_waitcnt lgkmcnt(1)
	v_add_f64 v[149:150], v[157:158], v[149:150]
	v_add_f64 v[151:152], v[159:160], v[151:152]
	;; [unrolled: 8-line block ×6, first 2 shown]
	s_waitcnt lgkmcnt(0)
	v_add_f64 v[157:158], v[149:150], v[153:154]
	v_add_f64 v[159:160], v[151:152], v[155:156]
	ds_read_b128 v[149:152], v146 offset:224
	ds_read_b128 v[153:156], v147
	s_waitcnt lgkmcnt(1)
	v_add_f64 v[149:150], v[157:158], v[149:150]
	v_add_f64 v[151:152], v[159:160], v[151:152]
	s_waitcnt lgkmcnt(0)
	v_add_f64 v[149:150], v[149:150], v[153:154]
	v_add_f64 v[151:152], v[151:152], v[155:156]
	v_lshlrev_b64 v[153:154], 4, v[0:1]
	v_add_co_u32 v153, s3, s7, v153
	v_add_co_ci_u32_e64 v154, null, s10, v154, s3
	global_store_dwordx4 v[153:154], v[149:152], off
	s_branch .LBB62_143
.LBB62_148:
	v_mad_u32_u24 v0, 0x430, v2, v138
	s_nor_b32 s0, s0, vcc_lo
	ds_write_b128 v0, v[3:6]
	s_waitcnt lgkmcnt(0)
	s_barrier
	buffer_gl0_inv
	s_and_saveexec_b32 s1, s0
	s_cbranch_execz .LBB62_150
; %bb.149:
	ds_read_b128 v[0:3], v138 offset:1072
	ds_read_b128 v[4:7], v138
	v_ashrrev_i32_e32 v136, 31, v135
	s_waitcnt lgkmcnt(0)
	v_add_f64 v[8:9], v[0:1], v[4:5]
	v_add_f64 v[10:11], v[2:3], v[6:7]
	ds_read_b128 v[0:3], v138 offset:2144
	ds_read_b128 v[4:7], v138 offset:3216
	s_waitcnt lgkmcnt(1)
	v_add_f64 v[0:1], v[8:9], v[0:1]
	v_add_f64 v[2:3], v[10:11], v[2:3]
	s_waitcnt lgkmcnt(0)
	v_add_f64 v[0:1], v[0:1], v[4:5]
	v_add_f64 v[2:3], v[2:3], v[6:7]
	v_lshlrev_b64 v[4:5], 4, v[135:136]
	v_add_co_u32 v4, vcc_lo, s7, v4
	v_add_co_ci_u32_e64 v5, null, s10, v5, vcc_lo
	global_store_dwordx4 v[4:5], v[0:3], off
.LBB62_150:
	s_endpgm
	.section	.rodata,"a",@progbits
	.p2align	6, 0x0
	.amdhsa_kernel _ZL26rocblas_hemvn_kernel_lowerILb1ELi64ELi4ELi33ELi32ELi16Ei19rocblas_complex_numIdEPKPKS1_PS1_EviT6_lT7_lT5_lS8_lS9_lS7_lT8_i
		.amdhsa_group_segment_fixed_size 19200
		.amdhsa_private_segment_fixed_size 0
		.amdhsa_kernarg_size 392
		.amdhsa_user_sgpr_count 6
		.amdhsa_user_sgpr_private_segment_buffer 1
		.amdhsa_user_sgpr_dispatch_ptr 0
		.amdhsa_user_sgpr_queue_ptr 0
		.amdhsa_user_sgpr_kernarg_segment_ptr 1
		.amdhsa_user_sgpr_dispatch_id 0
		.amdhsa_user_sgpr_flat_scratch_init 0
		.amdhsa_user_sgpr_private_segment_size 0
		.amdhsa_wavefront_size32 1
		.amdhsa_uses_dynamic_stack 0
		.amdhsa_system_sgpr_private_segment_wavefront_offset 0
		.amdhsa_system_sgpr_workgroup_id_x 1
		.amdhsa_system_sgpr_workgroup_id_y 0
		.amdhsa_system_sgpr_workgroup_id_z 1
		.amdhsa_system_sgpr_workgroup_info 0
		.amdhsa_system_vgpr_workitem_id 1
		.amdhsa_next_free_vgpr 177
		.amdhsa_next_free_sgpr 30
		.amdhsa_reserve_vcc 1
		.amdhsa_reserve_flat_scratch 1
		.amdhsa_float_round_mode_32 0
		.amdhsa_float_round_mode_16_64 0
		.amdhsa_float_denorm_mode_32 3
		.amdhsa_float_denorm_mode_16_64 3
		.amdhsa_dx10_clamp 1
		.amdhsa_ieee_mode 1
		.amdhsa_fp16_overflow 0
		.amdhsa_workgroup_processor_mode 1
		.amdhsa_memory_ordered 1
		.amdhsa_forward_progress 1
		.amdhsa_shared_vgpr_count 0
		.amdhsa_exception_fp_ieee_invalid_op 0
		.amdhsa_exception_fp_denorm_src 0
		.amdhsa_exception_fp_ieee_div_zero 0
		.amdhsa_exception_fp_ieee_overflow 0
		.amdhsa_exception_fp_ieee_underflow 0
		.amdhsa_exception_fp_ieee_inexact 0
		.amdhsa_exception_int_div_zero 0
	.end_amdhsa_kernel
	.section	.text._ZL26rocblas_hemvn_kernel_lowerILb1ELi64ELi4ELi33ELi32ELi16Ei19rocblas_complex_numIdEPKPKS1_PS1_EviT6_lT7_lT5_lS8_lS9_lS7_lT8_i,"axG",@progbits,_ZL26rocblas_hemvn_kernel_lowerILb1ELi64ELi4ELi33ELi32ELi16Ei19rocblas_complex_numIdEPKPKS1_PS1_EviT6_lT7_lT5_lS8_lS9_lS7_lT8_i,comdat
.Lfunc_end62:
	.size	_ZL26rocblas_hemvn_kernel_lowerILb1ELi64ELi4ELi33ELi32ELi16Ei19rocblas_complex_numIdEPKPKS1_PS1_EviT6_lT7_lT5_lS8_lS9_lS7_lT8_i, .Lfunc_end62-_ZL26rocblas_hemvn_kernel_lowerILb1ELi64ELi4ELi33ELi32ELi16Ei19rocblas_complex_numIdEPKPKS1_PS1_EviT6_lT7_lT5_lS8_lS9_lS7_lT8_i
                                        ; -- End function
	.set _ZL26rocblas_hemvn_kernel_lowerILb1ELi64ELi4ELi33ELi32ELi16Ei19rocblas_complex_numIdEPKPKS1_PS1_EviT6_lT7_lT5_lS8_lS9_lS7_lT8_i.num_vgpr, 177
	.set _ZL26rocblas_hemvn_kernel_lowerILb1ELi64ELi4ELi33ELi32ELi16Ei19rocblas_complex_numIdEPKPKS1_PS1_EviT6_lT7_lT5_lS8_lS9_lS7_lT8_i.num_agpr, 0
	.set _ZL26rocblas_hemvn_kernel_lowerILb1ELi64ELi4ELi33ELi32ELi16Ei19rocblas_complex_numIdEPKPKS1_PS1_EviT6_lT7_lT5_lS8_lS9_lS7_lT8_i.numbered_sgpr, 30
	.set _ZL26rocblas_hemvn_kernel_lowerILb1ELi64ELi4ELi33ELi32ELi16Ei19rocblas_complex_numIdEPKPKS1_PS1_EviT6_lT7_lT5_lS8_lS9_lS7_lT8_i.num_named_barrier, 0
	.set _ZL26rocblas_hemvn_kernel_lowerILb1ELi64ELi4ELi33ELi32ELi16Ei19rocblas_complex_numIdEPKPKS1_PS1_EviT6_lT7_lT5_lS8_lS9_lS7_lT8_i.private_seg_size, 0
	.set _ZL26rocblas_hemvn_kernel_lowerILb1ELi64ELi4ELi33ELi32ELi16Ei19rocblas_complex_numIdEPKPKS1_PS1_EviT6_lT7_lT5_lS8_lS9_lS7_lT8_i.uses_vcc, 1
	.set _ZL26rocblas_hemvn_kernel_lowerILb1ELi64ELi4ELi33ELi32ELi16Ei19rocblas_complex_numIdEPKPKS1_PS1_EviT6_lT7_lT5_lS8_lS9_lS7_lT8_i.uses_flat_scratch, 1
	.set _ZL26rocblas_hemvn_kernel_lowerILb1ELi64ELi4ELi33ELi32ELi16Ei19rocblas_complex_numIdEPKPKS1_PS1_EviT6_lT7_lT5_lS8_lS9_lS7_lT8_i.has_dyn_sized_stack, 0
	.set _ZL26rocblas_hemvn_kernel_lowerILb1ELi64ELi4ELi33ELi32ELi16Ei19rocblas_complex_numIdEPKPKS1_PS1_EviT6_lT7_lT5_lS8_lS9_lS7_lT8_i.has_recursion, 0
	.set _ZL26rocblas_hemvn_kernel_lowerILb1ELi64ELi4ELi33ELi32ELi16Ei19rocblas_complex_numIdEPKPKS1_PS1_EviT6_lT7_lT5_lS8_lS9_lS7_lT8_i.has_indirect_call, 0
	.section	.AMDGPU.csdata,"",@progbits
; Kernel info:
; codeLenInByte = 10476
; TotalNumSgprs: 32
; NumVgprs: 177
; ScratchSize: 0
; MemoryBound: 0
; FloatMode: 240
; IeeeMode: 1
; LDSByteSize: 19200 bytes/workgroup (compile time only)
; SGPRBlocks: 0
; VGPRBlocks: 22
; NumSGPRsForWavesPerEU: 32
; NumVGPRsForWavesPerEU: 177
; Occupancy: 5
; WaveLimiterHint : 0
; COMPUTE_PGM_RSRC2:SCRATCH_EN: 0
; COMPUTE_PGM_RSRC2:USER_SGPR: 6
; COMPUTE_PGM_RSRC2:TRAP_HANDLER: 0
; COMPUTE_PGM_RSRC2:TGID_X_EN: 1
; COMPUTE_PGM_RSRC2:TGID_Y_EN: 0
; COMPUTE_PGM_RSRC2:TGID_Z_EN: 1
; COMPUTE_PGM_RSRC2:TIDIG_COMP_CNT: 1
	.section	.text._ZL36rocblas_hemvn_kernel_lower_block_sumILi64Ei19rocblas_complex_numIdEPKPS1_S1_EviT1_lS5_lT2_lT0_lPT3_i,"axG",@progbits,_ZL36rocblas_hemvn_kernel_lower_block_sumILi64Ei19rocblas_complex_numIdEPKPS1_S1_EviT1_lS5_lT2_lT0_lPT3_i,comdat
	.globl	_ZL36rocblas_hemvn_kernel_lower_block_sumILi64Ei19rocblas_complex_numIdEPKPS1_S1_EviT1_lS5_lT2_lT0_lPT3_i ; -- Begin function _ZL36rocblas_hemvn_kernel_lower_block_sumILi64Ei19rocblas_complex_numIdEPKPS1_S1_EviT1_lS5_lT2_lT0_lPT3_i
	.p2align	8
	.type	_ZL36rocblas_hemvn_kernel_lower_block_sumILi64Ei19rocblas_complex_numIdEPKPS1_S1_EviT1_lS5_lT2_lT0_lPT3_i,@function
_ZL36rocblas_hemvn_kernel_lower_block_sumILi64Ei19rocblas_complex_numIdEPKPS1_S1_EviT1_lS5_lT2_lT0_lPT3_i: ; @_ZL36rocblas_hemvn_kernel_lower_block_sumILi64Ei19rocblas_complex_numIdEPKPS1_S1_EviT1_lS5_lT2_lT0_lPT3_i
; %bb.0:
	s_clause 0x1
	s_load_dwordx4 s[12:15], s[4:5], 0x8
	s_load_dwordx4 s[8:11], s[4:5], 0x20
	s_mov_b32 s2, s7
	s_waitcnt lgkmcnt(0)
	v_cmp_neq_f64_e64 s0, s[12:13], 0
	v_cmp_neq_f64_e64 s1, s[14:15], 0
	s_or_b32 s0, s0, s1
	s_mov_b32 s1, -1
	s_and_b32 vcc_lo, exec_lo, s0
	s_cbranch_vccnz .LBB63_2
; %bb.1:
	v_cmp_neq_f64_e64 s1, s[8:9], 1.0
	v_cmp_neq_f64_e64 s3, s[10:11], 0
	s_or_b32 s1, s1, s3
.LBB63_2:
	s_andn2_b32 vcc_lo, exec_lo, s1
	s_cbranch_vccnz .LBB63_22
; %bb.3:
	s_load_dwordx4 s[20:23], s[4:5], 0x38
	s_mov_b32 s3, 0
	s_xor_b32 s17, s0, -1
	s_lshl_b64 s[0:1], s[2:3], 3
	s_clause 0x1
	s_load_dword s19, s[4:5], 0x48
	s_load_dword s16, s[4:5], 0x0
	v_lshl_or_b32 v4, s6, 6, v0
	s_waitcnt lgkmcnt(0)
	s_add_u32 s0, s20, s0
	s_addc_u32 s1, s21, s1
	s_lshl_b64 s[22:23], s[22:23], 4
	s_load_dwordx2 s[20:21], s[0:1], 0x0
	v_cmp_gt_i32_e64 s0, s16, v4
	s_waitcnt lgkmcnt(0)
	s_add_u32 s7, s20, s22
	s_addc_u32 s18, s21, s23
	s_andn2_b32 vcc_lo, exec_lo, s17
	s_cbranch_vccnz .LBB63_8
; %bb.4:
	s_mov_b32 s1, 0
                                        ; implicit-def: $vgpr2_vgpr3
                                        ; implicit-def: $vgpr5_vgpr6
	s_and_saveexec_b32 s17, s0
	s_cbranch_execz .LBB63_9
; %bb.5:
	v_cmp_neq_f64_e64 s0, s[8:9], 0
	v_cmp_neq_f64_e64 s3, s[10:11], 0
	v_mul_lo_u32 v5, s19, v4
	v_mov_b32_e32 v2, 0
	v_mov_b32_e32 v0, 0
	;; [unrolled: 1-line block ×4, first 2 shown]
	v_ashrrev_i32_e32 v6, 31, v5
	s_or_b32 s0, s0, s3
	s_andn2_b32 vcc_lo, exec_lo, s0
	s_cbranch_vccnz .LBB63_7
; %bb.6:
	v_lshlrev_b64 v[0:1], 4, v[5:6]
	v_add_co_u32 v0, vcc_lo, s7, v0
	v_add_co_ci_u32_e64 v1, null, s18, v1, vcc_lo
	flat_load_dwordx4 v[7:10], v[0:1]
	s_waitcnt vmcnt(0) lgkmcnt(0)
	v_mul_f64 v[0:1], s[10:11], v[9:10]
	v_mul_f64 v[2:3], s[8:9], v[9:10]
	v_fma_f64 v[0:1], s[8:9], v[7:8], -v[0:1]
	v_fma_f64 v[2:3], s[10:11], v[7:8], v[2:3]
.LBB63_7:
	s_mov_b32 s3, exec_lo
	s_or_b32 exec_lo, exec_lo, s17
	s_and_b32 vcc_lo, exec_lo, s1
	s_cbranch_vccnz .LBB63_10
	s_branch .LBB63_20
.LBB63_8:
                                        ; implicit-def: $vgpr2_vgpr3
                                        ; implicit-def: $vgpr5_vgpr6
	s_cbranch_execnz .LBB63_10
	s_branch .LBB63_20
.LBB63_9:
	s_or_b32 exec_lo, exec_lo, s17
	s_and_b32 vcc_lo, exec_lo, s1
	s_cbranch_vccz .LBB63_20
.LBB63_10:
	s_mov_b32 s20, exec_lo
                                        ; implicit-def: $vgpr2_vgpr3
                                        ; implicit-def: $vgpr5_vgpr6
	v_cmpx_gt_i32_e64 s16, v4
	s_cbranch_execz .LBB63_19
; %bb.11:
	s_load_dword s21, s[4:5], 0x68
	v_mov_b32_e32 v0, 0
	v_mov_b32_e32 v2, 0
	;; [unrolled: 1-line block ×4, first 2 shown]
	s_waitcnt lgkmcnt(0)
	s_cmp_ge_i32 s6, s21
	s_cbranch_scc1 .LBB63_14
; %bb.12:
	s_load_dwordx2 s[0:1], s[4:5], 0x58
	v_mad_u64_u32 v[0:1], null, s16, s6, v[4:5]
	s_ashr_i32 s17, s16, 31
	s_mul_hi_u32 s4, s16, s2
	s_mul_i32 s5, s17, s2
	s_mul_i32 s2, s16, s2
	s_add_i32 s4, s4, s5
	s_mul_hi_u32 s5, s2, s21
	v_ashrrev_i32_e32 v1, 31, v0
	s_mul_i32 s22, s4, s21
	s_mul_i32 s4, s2, s21
	s_add_i32 s5, s5, s22
	v_lshlrev_b64 v[2:3], 4, v[0:1]
	s_lshl_b64 s[4:5], s[4:5], 4
	v_mov_b32_e32 v0, 0
	v_mov_b32_e32 v1, 0
	s_waitcnt lgkmcnt(0)
	s_add_u32 s0, s0, s4
	s_addc_u32 s1, s1, s5
	v_add_co_u32 v5, vcc_lo, s0, v2
	v_add_co_ci_u32_e64 v6, null, s1, v3, vcc_lo
	v_mov_b32_e32 v2, 0
	v_add_co_u32 v5, vcc_lo, v5, 8
	v_mov_b32_e32 v3, 0
	v_add_co_ci_u32_e64 v6, null, 0, v6, vcc_lo
	s_lshl_b64 s[0:1], s[16:17], 4
.LBB63_13:                              ; =>This Inner Loop Header: Depth=1
	global_load_dwordx4 v[7:10], v[5:6], off offset:-8
	v_add_co_u32 v5, vcc_lo, v5, s0
	v_add_co_ci_u32_e64 v6, null, s1, v6, vcc_lo
	s_add_i32 s6, s6, 1
	s_cmp_ge_i32 s6, s21
	s_waitcnt vmcnt(0)
	v_add_f64 v[2:3], v[2:3], v[7:8]
	v_add_f64 v[0:1], v[0:1], v[9:10]
	s_cbranch_scc0 .LBB63_13
.LBB63_14:
	v_mul_f64 v[5:6], s[14:15], v[0:1]
	v_mul_f64 v[7:8], s[12:13], v[0:1]
	v_cmp_neq_f64_e64 s0, s[8:9], 0
	v_cmp_neq_f64_e64 s1, s[10:11], 0
	v_fma_f64 v[0:1], s[12:13], v[2:3], -v[5:6]
	v_fma_f64 v[2:3], s[14:15], v[2:3], v[7:8]
	v_mul_lo_u32 v5, s19, v4
	s_or_b32 s0, s0, s1
	s_andn2_b32 vcc_lo, exec_lo, s0
	v_ashrrev_i32_e32 v6, 31, v5
	s_cbranch_vccz .LBB63_16
; %bb.15:
	s_cbranch_execz .LBB63_17
	s_branch .LBB63_18
.LBB63_16:
.LBB63_17:
	v_lshlrev_b64 v[7:8], 4, v[5:6]
	v_add_co_u32 v7, vcc_lo, s7, v7
	v_add_co_ci_u32_e64 v8, null, s18, v8, vcc_lo
	flat_load_dwordx4 v[7:10], v[7:8]
	s_waitcnt vmcnt(0) lgkmcnt(0)
	v_mul_f64 v[11:12], s[10:11], v[9:10]
	v_mul_f64 v[9:10], s[8:9], v[9:10]
	v_fma_f64 v[11:12], s[8:9], v[7:8], -v[11:12]
	v_fma_f64 v[7:8], s[10:11], v[7:8], v[9:10]
	v_add_f64 v[0:1], v[0:1], v[11:12]
	v_add_f64 v[2:3], v[2:3], v[7:8]
.LBB63_18:
	s_or_b32 s3, s3, exec_lo
.LBB63_19:
	s_or_b32 exec_lo, exec_lo, s20
.LBB63_20:
	s_and_saveexec_b32 s0, s3
	s_cbranch_execz .LBB63_22
; %bb.21:
	v_lshlrev_b64 v[4:5], 4, v[5:6]
	v_add_co_u32 v4, vcc_lo, s7, v4
	v_add_co_ci_u32_e64 v5, null, s18, v5, vcc_lo
	flat_store_dwordx4 v[4:5], v[0:3]
.LBB63_22:
	s_endpgm
	.section	.rodata,"a",@progbits
	.p2align	6, 0x0
	.amdhsa_kernel _ZL36rocblas_hemvn_kernel_lower_block_sumILi64Ei19rocblas_complex_numIdEPKPS1_S1_EviT1_lS5_lT2_lT0_lPT3_i
		.amdhsa_group_segment_fixed_size 0
		.amdhsa_private_segment_fixed_size 0
		.amdhsa_kernarg_size 360
		.amdhsa_user_sgpr_count 6
		.amdhsa_user_sgpr_private_segment_buffer 1
		.amdhsa_user_sgpr_dispatch_ptr 0
		.amdhsa_user_sgpr_queue_ptr 0
		.amdhsa_user_sgpr_kernarg_segment_ptr 1
		.amdhsa_user_sgpr_dispatch_id 0
		.amdhsa_user_sgpr_flat_scratch_init 0
		.amdhsa_user_sgpr_private_segment_size 0
		.amdhsa_wavefront_size32 1
		.amdhsa_uses_dynamic_stack 0
		.amdhsa_system_sgpr_private_segment_wavefront_offset 0
		.amdhsa_system_sgpr_workgroup_id_x 1
		.amdhsa_system_sgpr_workgroup_id_y 0
		.amdhsa_system_sgpr_workgroup_id_z 1
		.amdhsa_system_sgpr_workgroup_info 0
		.amdhsa_system_vgpr_workitem_id 0
		.amdhsa_next_free_vgpr 13
		.amdhsa_next_free_sgpr 24
		.amdhsa_reserve_vcc 1
		.amdhsa_reserve_flat_scratch 0
		.amdhsa_float_round_mode_32 0
		.amdhsa_float_round_mode_16_64 0
		.amdhsa_float_denorm_mode_32 3
		.amdhsa_float_denorm_mode_16_64 3
		.amdhsa_dx10_clamp 1
		.amdhsa_ieee_mode 1
		.amdhsa_fp16_overflow 0
		.amdhsa_workgroup_processor_mode 1
		.amdhsa_memory_ordered 1
		.amdhsa_forward_progress 1
		.amdhsa_shared_vgpr_count 0
		.amdhsa_exception_fp_ieee_invalid_op 0
		.amdhsa_exception_fp_denorm_src 0
		.amdhsa_exception_fp_ieee_div_zero 0
		.amdhsa_exception_fp_ieee_overflow 0
		.amdhsa_exception_fp_ieee_underflow 0
		.amdhsa_exception_fp_ieee_inexact 0
		.amdhsa_exception_int_div_zero 0
	.end_amdhsa_kernel
	.section	.text._ZL36rocblas_hemvn_kernel_lower_block_sumILi64Ei19rocblas_complex_numIdEPKPS1_S1_EviT1_lS5_lT2_lT0_lPT3_i,"axG",@progbits,_ZL36rocblas_hemvn_kernel_lower_block_sumILi64Ei19rocblas_complex_numIdEPKPS1_S1_EviT1_lS5_lT2_lT0_lPT3_i,comdat
.Lfunc_end63:
	.size	_ZL36rocblas_hemvn_kernel_lower_block_sumILi64Ei19rocblas_complex_numIdEPKPS1_S1_EviT1_lS5_lT2_lT0_lPT3_i, .Lfunc_end63-_ZL36rocblas_hemvn_kernel_lower_block_sumILi64Ei19rocblas_complex_numIdEPKPS1_S1_EviT1_lS5_lT2_lT0_lPT3_i
                                        ; -- End function
	.set _ZL36rocblas_hemvn_kernel_lower_block_sumILi64Ei19rocblas_complex_numIdEPKPS1_S1_EviT1_lS5_lT2_lT0_lPT3_i.num_vgpr, 13
	.set _ZL36rocblas_hemvn_kernel_lower_block_sumILi64Ei19rocblas_complex_numIdEPKPS1_S1_EviT1_lS5_lT2_lT0_lPT3_i.num_agpr, 0
	.set _ZL36rocblas_hemvn_kernel_lower_block_sumILi64Ei19rocblas_complex_numIdEPKPS1_S1_EviT1_lS5_lT2_lT0_lPT3_i.numbered_sgpr, 24
	.set _ZL36rocblas_hemvn_kernel_lower_block_sumILi64Ei19rocblas_complex_numIdEPKPS1_S1_EviT1_lS5_lT2_lT0_lPT3_i.num_named_barrier, 0
	.set _ZL36rocblas_hemvn_kernel_lower_block_sumILi64Ei19rocblas_complex_numIdEPKPS1_S1_EviT1_lS5_lT2_lT0_lPT3_i.private_seg_size, 0
	.set _ZL36rocblas_hemvn_kernel_lower_block_sumILi64Ei19rocblas_complex_numIdEPKPS1_S1_EviT1_lS5_lT2_lT0_lPT3_i.uses_vcc, 1
	.set _ZL36rocblas_hemvn_kernel_lower_block_sumILi64Ei19rocblas_complex_numIdEPKPS1_S1_EviT1_lS5_lT2_lT0_lPT3_i.uses_flat_scratch, 0
	.set _ZL36rocblas_hemvn_kernel_lower_block_sumILi64Ei19rocblas_complex_numIdEPKPS1_S1_EviT1_lS5_lT2_lT0_lPT3_i.has_dyn_sized_stack, 0
	.set _ZL36rocblas_hemvn_kernel_lower_block_sumILi64Ei19rocblas_complex_numIdEPKPS1_S1_EviT1_lS5_lT2_lT0_lPT3_i.has_recursion, 0
	.set _ZL36rocblas_hemvn_kernel_lower_block_sumILi64Ei19rocblas_complex_numIdEPKPS1_S1_EviT1_lS5_lT2_lT0_lPT3_i.has_indirect_call, 0
	.section	.AMDGPU.csdata,"",@progbits
; Kernel info:
; codeLenInByte = 820
; TotalNumSgprs: 26
; NumVgprs: 13
; ScratchSize: 0
; MemoryBound: 0
; FloatMode: 240
; IeeeMode: 1
; LDSByteSize: 0 bytes/workgroup (compile time only)
; SGPRBlocks: 0
; VGPRBlocks: 1
; NumSGPRsForWavesPerEU: 26
; NumVGPRsForWavesPerEU: 13
; Occupancy: 16
; WaveLimiterHint : 1
; COMPUTE_PGM_RSRC2:SCRATCH_EN: 0
; COMPUTE_PGM_RSRC2:USER_SGPR: 6
; COMPUTE_PGM_RSRC2:TRAP_HANDLER: 0
; COMPUTE_PGM_RSRC2:TGID_X_EN: 1
; COMPUTE_PGM_RSRC2:TGID_Y_EN: 0
; COMPUTE_PGM_RSRC2:TGID_Z_EN: 1
; COMPUTE_PGM_RSRC2:TIDIG_COMP_CNT: 0
	.section	.text._ZL50rocblas_symv_kernel_upper_double_buffered_diagonalILi32ELi4E24rocblas_internal_val_ptrIfEPKfPfEvbiT1_lT2_lllS6_lllS5_lT3_llli,"axG",@progbits,_ZL50rocblas_symv_kernel_upper_double_buffered_diagonalILi32ELi4E24rocblas_internal_val_ptrIfEPKfPfEvbiT1_lT2_lllS6_lllS5_lT3_llli,comdat
	.globl	_ZL50rocblas_symv_kernel_upper_double_buffered_diagonalILi32ELi4E24rocblas_internal_val_ptrIfEPKfPfEvbiT1_lT2_lllS6_lllS5_lT3_llli ; -- Begin function _ZL50rocblas_symv_kernel_upper_double_buffered_diagonalILi32ELi4E24rocblas_internal_val_ptrIfEPKfPfEvbiT1_lT2_lllS6_lllS5_lT3_llli
	.p2align	8
	.type	_ZL50rocblas_symv_kernel_upper_double_buffered_diagonalILi32ELi4E24rocblas_internal_val_ptrIfEPKfPfEvbiT1_lT2_lllS6_lllS5_lT3_llli,@function
_ZL50rocblas_symv_kernel_upper_double_buffered_diagonalILi32ELi4E24rocblas_internal_val_ptrIfEPKfPfEvbiT1_lT2_lllS6_lllS5_lT3_llli: ; @_ZL50rocblas_symv_kernel_upper_double_buffered_diagonalILi32ELi4E24rocblas_internal_val_ptrIfEPKfPfEvbiT1_lT2_lllS6_lllS5_lT3_llli
; %bb.0:
	s_clause 0x1
	s_load_dword s0, s[4:5], 0x0
	s_load_dwordx16 s[8:23], s[4:5], 0x8
	s_mov_b32 s1, -1
                                        ; implicit-def: $sgpr33
	s_waitcnt lgkmcnt(0)
	s_bitcmp1_b32 s0, 0
	s_cselect_b32 s0, -1, 0
	s_xor_b32 s0, s0, -1
	s_and_b32 vcc_lo, exec_lo, s0
	s_cbranch_vccnz .LBB64_10
; %bb.1:
	s_load_dwordx8 s[24:31], s[4:5], 0x48
	s_andn2_b32 vcc_lo, exec_lo, s1
	s_cbranch_vccz .LBB64_11
.LBB64_2:
	s_andn2_b32 vcc_lo, exec_lo, s0
	s_cbranch_vccnz .LBB64_4
.LBB64_3:
	s_waitcnt lgkmcnt(0)
	s_mul_i32 s0, s31, s7
	s_mul_hi_u32 s1, s30, s7
	s_add_i32 s1, s1, s0
	s_mul_i32 s0, s30, s7
	s_lshl_b64 s[0:1], s[0:1], 2
	s_add_u32 s0, s28, s0
	s_addc_u32 s1, s29, s1
	s_load_dword s28, s[0:1], 0x0
.LBB64_4:
	s_waitcnt lgkmcnt(0)
	v_cmp_eq_f32_e64 s0, s33, 0
	v_cmp_eq_f32_e64 s1, s28, 1.0
	s_and_b32 s0, s0, s1
	s_and_b32 vcc_lo, exec_lo, s0
	s_cbranch_vccnz .LBB64_9
; %bb.5:
	s_clause 0x2
	s_load_dwordx2 s[8:9], s[4:5], 0x80
	s_load_dwordx2 s[10:11], s[4:5], 0x68
	s_load_dwordx4 s[0:3], s[4:5], 0x70
	s_waitcnt lgkmcnt(0)
	s_mul_i32 s5, s9, s7
	s_mul_hi_u32 s9, s8, s7
	s_mul_i32 s4, s8, s7
	s_add_i32 s5, s9, s5
	s_lshl_b64 s[4:5], s[4:5], 2
	s_add_u32 s4, s10, s4
	s_addc_u32 s5, s11, s5
	s_lshl_b64 s[0:1], s[0:1], 2
	s_add_u32 s10, s4, s0
	s_addc_u32 s11, s5, s1
	s_lshl_b32 s4, s6, 5
	s_ashr_i32 s5, s4, 31
	s_mul_hi_u32 s0, s2, s4
	s_mul_i32 s1, s2, s5
	s_mul_i32 s6, s3, s4
	s_add_i32 s1, s0, s1
	s_mul_i32 s0, s2, s4
	s_add_i32 s1, s1, s6
	v_cmp_neq_f32_e64 s6, s33, 0
	s_lshl_b64 s[8:9], s[0:1], 2
	v_cmp_eq_u32_e64 s0, 0, v1
	s_add_u32 s1, s10, s8
	s_addc_u32 s10, s11, s9
	s_and_b32 vcc_lo, exec_lo, s6
	s_cbranch_vccnz .LBB64_12
; %bb.6:
	s_mov_b32 s6, 0
	s_and_saveexec_b32 s8, s0
	s_cbranch_execz .LBB64_8
; %bb.7:
	v_mad_u64_u32 v[2:3], null, s2, v0, 0
	v_mad_u64_u32 v[3:4], null, s3, v0, v[3:4]
	v_lshlrev_b64 v[2:3], 2, v[2:3]
	v_add_co_u32 v2, vcc_lo, s1, v2
	v_add_co_ci_u32_e64 v3, null, s10, v3, vcc_lo
	global_load_dword v4, v[2:3], off
	s_waitcnt vmcnt(0)
	v_mul_f32_e32 v4, s28, v4
	global_store_dword v[2:3], v4, off
.LBB64_8:
	s_or_b32 exec_lo, exec_lo, s8
	s_andn2_b32 vcc_lo, exec_lo, s6
	s_cbranch_vccz .LBB64_13
.LBB64_9:
	s_endpgm
.LBB64_10:
	s_mul_i32 s1, s11, s7
	s_mul_hi_u32 s2, s10, s7
	s_add_i32 s3, s2, s1
	s_mul_i32 s2, s10, s7
	s_lshl_b64 s[2:3], s[2:3], 2
	s_add_u32 s2, s8, s2
	s_addc_u32 s3, s9, s3
	s_load_dword s33, s[2:3], 0x0
	s_load_dwordx8 s[24:31], s[4:5], 0x48
	s_cbranch_execnz .LBB64_2
.LBB64_11:
	s_waitcnt lgkmcnt(0)
	s_mov_b32 s33, s8
	s_andn2_b32 vcc_lo, exec_lo, s0
	s_cbranch_vccz .LBB64_3
	s_branch .LBB64_4
.LBB64_12:
.LBB64_13:
	v_mov_b32_e32 v10, 0
	v_cmp_eq_u32_e64 s0, 0, v1
	s_and_saveexec_b32 s6, s0
	s_cbranch_execz .LBB64_17
; %bb.14:
	v_cmp_eq_f32_e64 s8, s28, 0
	v_mov_b32_e32 v10, 0
	s_and_b32 vcc_lo, exec_lo, s8
	s_cbranch_vccnz .LBB64_16
; %bb.15:
	v_mad_u64_u32 v[2:3], null, s2, v0, 0
	v_mad_u64_u32 v[3:4], null, s3, v0, v[3:4]
	v_lshlrev_b64 v[2:3], 2, v[2:3]
	v_add_co_u32 v2, vcc_lo, s1, v2
	v_add_co_ci_u32_e64 v3, null, s10, v3, vcc_lo
	global_load_dword v2, v[2:3], off
	s_waitcnt vmcnt(0)
	v_mul_f32_e32 v10, s28, v2
.LBB64_16:
	v_mad_u64_u32 v[2:3], null, s24, v0, 0
	s_mul_i32 s9, s27, s7
	s_mul_hi_u32 s11, s26, s7
	s_mul_i32 s8, s26, s7
	s_add_i32 s9, s11, s9
	s_mul_i32 s26, s24, s5
	s_lshl_b64 s[8:9], s[8:9], 2
	v_mad_u64_u32 v[3:4], null, s25, v0, v[3:4]
	s_add_u32 s20, s20, s8
	s_addc_u32 s21, s21, s9
	s_lshl_b64 s[8:9], s[22:23], 2
	s_mul_hi_u32 s11, s24, s4
	s_add_u32 s20, s20, s8
	s_mul_i32 s22, s25, s4
	s_addc_u32 s21, s21, s9
	s_add_i32 s9, s11, s26
	s_mul_i32 s8, s24, s4
	s_add_i32 s9, s9, s22
	v_lshlrev_b64 v[2:3], 2, v[2:3]
	s_lshl_b64 s[8:9], s[8:9], 2
	s_add_u32 s8, s20, s8
	s_addc_u32 s9, s21, s9
	v_add_co_u32 v2, vcc_lo, s8, v2
	v_add_co_ci_u32_e64 v3, null, s9, v3, vcc_lo
	global_load_dword v2, v[2:3], off
	v_lshlrev_b32_e32 v3, 2, v0
	s_waitcnt vmcnt(0)
	ds_write_b32 v3, v2 offset:5120
.LBB64_17:
	s_or_b32 exec_lo, exec_lo, s6
	s_mul_i32 s8, s19, s7
	s_mul_hi_u32 s9, s18, s7
	v_mad_u64_u32 v[2:3], null, s16, v1, 0
	s_mul_i32 s6, s18, s7
	s_add_i32 s7, s9, s8
	v_lshlrev_b32_e32 v11, 2, v0
	s_lshl_b64 s[6:7], s[6:7], 2
	s_add_u32 s8, s12, s6
	s_addc_u32 s9, s13, s7
	s_lshl_b64 s[6:7], s[14:15], 2
	v_mad_u64_u32 v[3:4], null, s17, v1, v[3:4]
	s_add_u32 s6, s8, s6
	s_addc_u32 s7, s9, s7
	s_add_u32 s8, s16, 1
	s_addc_u32 s9, s17, 0
	s_mul_i32 s5, s8, s5
	s_mul_hi_u32 s11, s8, s4
	s_mul_i32 s9, s9, s4
	s_add_i32 s5, s11, s5
	s_mul_i32 s4, s8, s4
	s_add_i32 s5, s5, s9
	v_lshlrev_b64 v[2:3], 2, v[2:3]
	s_lshl_b64 s[4:5], s[4:5], 2
	s_mul_i32 s11, s17, 12
	s_add_u32 s4, s6, s4
	s_addc_u32 s5, s7, s5
	s_mul_hi_u32 s12, s16, 12
	v_add_co_u32 v2, vcc_lo, s4, v2
	v_add_co_ci_u32_e64 v3, null, s5, v3, vcc_lo
	s_mul_i32 s4, s16, 12
	v_add_co_u32 v2, vcc_lo, v2, v11
	v_add_co_ci_u32_e64 v3, null, 0, v3, vcc_lo
	s_mov_b32 s5, exec_lo
                                        ; implicit-def: $sgpr6_sgpr7
                                        ; implicit-def: $sgpr8_sgpr9
	v_cmpx_lt_u32_e32 15, v0
	s_xor_b32 s13, exec_lo, s5
; %bb.18:
	s_lshl_b64 s[6:7], s[16:17], 2
	s_lshl_b64 s[8:9], s[16:17], 3
	s_add_i32 s5, s12, s11
; %bb.19:
	s_or_saveexec_b32 s13, s13
	v_mov_b32_e32 v4, s4
	v_mov_b32_e32 v6, s8
	;; [unrolled: 1-line block ×6, first 2 shown]
	v_lshlrev_b32_e32 v12, 7, v1
	s_xor_b32 exec_lo, exec_lo, s13
	s_cbranch_execz .LBB64_21
; %bb.20:
	s_lshl_b64 s[6:7], s[16:17], 4
	s_lshl_b64 s[8:9], s[16:17], 3
	v_add_co_u32 v4, vcc_lo, v2, s6
	v_add_co_ci_u32_e64 v5, null, s7, v3, vcc_lo
	s_add_i32 s5, s12, s11
	v_add_co_u32 v6, vcc_lo, v4, s6
	v_add_co_ci_u32_e64 v7, null, s7, v5, vcc_lo
	v_lshl_add_u32 v17, v0, 2, v12
	v_add_co_u32 v8, vcc_lo, v6, s6
	v_add_co_ci_u32_e64 v9, null, s7, v7, vcc_lo
	s_clause 0x3
	global_load_dword v13, v[2:3], off
	global_load_dword v14, v[4:5], off
	global_load_dword v15, v[6:7], off
	global_load_dword v16, v[8:9], off
	s_lshl_b64 s[6:7], s[16:17], 2
	v_mov_b32_e32 v4, s4
	v_mov_b32_e32 v6, s8
	;; [unrolled: 1-line block ×6, first 2 shown]
	s_waitcnt vmcnt(2)
	ds_write2st64_b32 v17, v13, v14 offset1:2
	s_waitcnt vmcnt(0)
	ds_write2st64_b32 v17, v15, v16 offset0:4 offset1:6
.LBB64_21:
	s_or_b32 exec_lo, exec_lo, s13
	s_lshl_b64 s[4:5], s[16:17], 6
	v_lshlrev_b64 v[8:9], 2, v[8:9]
	v_add_co_u32 v2, vcc_lo, v2, s4
	v_lshlrev_b64 v[6:7], 2, v[6:7]
	v_add_co_ci_u32_e64 v3, null, s5, v3, vcc_lo
	v_lshlrev_b64 v[4:5], 2, v[4:5]
	v_add_co_u32 v8, vcc_lo, v2, v8
	v_add_co_ci_u32_e64 v9, null, v3, v9, vcc_lo
	v_add_co_u32 v6, vcc_lo, v2, v6
	v_add_co_ci_u32_e64 v7, null, v3, v7, vcc_lo
	;; [unrolled: 2-line block ×3, first 2 shown]
	s_clause 0x3
	global_load_dword v13, v[2:3], off
	global_load_dword v8, v[8:9], off
	;; [unrolled: 1-line block ×4, first 2 shown]
	v_sub_nc_u32_e32 v2, v0, v1
	v_add_nc_u32_e32 v3, 0x800, v12
	v_add_nc_u32_e32 v4, 0xa00, v12
	;; [unrolled: 1-line block ×4, first 2 shown]
	v_sub_nc_u32_e32 v6, 0, v2
	v_mad_u32_u24 v16, 0x7c, v0, v11
	v_add_nc_u32_e32 v5, v11, v3
	v_add_nc_u32_e32 v4, v11, v4
	;; [unrolled: 1-line block ×3, first 2 shown]
	v_max_i32_e32 v7, v2, v6
	v_add_nc_u32_e32 v2, v11, v12
	v_lshl_add_u32 v6, v1, 2, v16
	s_mov_b32 s4, exec_lo
	s_waitcnt vmcnt(3)
	ds_write_b32 v5, v13
	s_waitcnt vmcnt(2)
	ds_write_b32 v4, v8
	;; [unrolled: 2-line block ×4, first 2 shown]
	s_waitcnt lgkmcnt(0)
	s_waitcnt_vscnt null, 0x0
	s_barrier
	buffer_gl0_inv
	v_cmpx_lt_u32_e32 16, v7
	s_cbranch_execz .LBB64_23
; %bb.22:
	ds_read_b32 v8, v6 offset:64
	s_waitcnt lgkmcnt(0)
	ds_write_b32 v5, v8
.LBB64_23:
	s_or_b32 exec_lo, exec_lo, s4
	s_mov_b32 s4, exec_lo
	v_cmpx_lt_u32_e32 20, v7
	s_cbranch_execz .LBB64_25
; %bb.24:
	ds_read_b32 v8, v6 offset:80
	s_waitcnt lgkmcnt(0)
	ds_write_b32 v4, v8
.LBB64_25:
	s_or_b32 exec_lo, exec_lo, s4
	s_mov_b32 s4, exec_lo
	;; [unrolled: 9-line block ×3, first 2 shown]
	v_cmpx_lt_u32_e32 28, v7
	s_cbranch_execz .LBB64_29
; %bb.28:
	ds_read_b32 v8, v6 offset:112
	s_waitcnt lgkmcnt(0)
	ds_write_b32 v2, v8
.LBB64_29:
	s_or_b32 exec_lo, exec_lo, s4
	v_lshlrev_b32_e32 v8, 5, v1
	s_mov_b32 s4, exec_lo
	v_cmpx_ge_u32_e64 v0, v1
	s_cbranch_execz .LBB64_31
; %bb.30:
	ds_read_b32 v9, v6
	v_lshl_add_u32 v12, v8, 2, v11
	s_waitcnt lgkmcnt(0)
	ds_write_b32 v12, v9
.LBB64_31:
	s_or_b32 exec_lo, exec_lo, s4
	v_lshl_add_u32 v9, v1, 7, v11
	s_mov_b32 s4, exec_lo
	v_cmpx_lt_u32_e32 4, v7
	s_cbranch_execz .LBB64_33
; %bb.32:
	ds_read_b32 v12, v6 offset:16
	s_waitcnt lgkmcnt(0)
	ds_write_b32 v9, v12 offset:512
.LBB64_33:
	s_or_b32 exec_lo, exec_lo, s4
	s_mov_b32 s4, exec_lo
	v_cmpx_lt_u32_e32 8, v7
	s_cbranch_execz .LBB64_35
; %bb.34:
	ds_read_b32 v12, v6 offset:32
	s_waitcnt lgkmcnt(0)
	ds_write_b32 v9, v12 offset:1024
.LBB64_35:
	s_or_b32 exec_lo, exec_lo, s4
	v_lshl_add_u32 v12, v1, 7, 0x600
	v_cmp_lt_u32_e32 vcc_lo, 12, v7
	v_add_nc_u32_e32 v7, v11, v12
	s_and_saveexec_b32 s4, vcc_lo
	s_cbranch_execz .LBB64_37
; %bb.36:
	ds_read_b32 v6, v6 offset:48
	s_waitcnt lgkmcnt(0)
	ds_write_b32 v7, v6
.LBB64_37:
	s_or_b32 exec_lo, exec_lo, s4
	v_lshlrev_b32_e32 v1, 2, v1
	s_waitcnt lgkmcnt(0)
	s_barrier
	buffer_gl0_inv
	v_add_nc_u32_e32 v1, 0x1400, v1
	ds_read2st64_b32 v[12:13], v9 offset1:2
	ds_read2_b32 v[14:15], v1 offset1:4
	ds_read2_b32 v[16:17], v1 offset0:8 offset1:12
	ds_read_b32 v9, v9 offset:1024
	ds_read_b32 v7, v7
	ds_read_b32 v18, v5
	ds_read2_b32 v[5:6], v1 offset0:16 offset1:20
	s_waitcnt lgkmcnt(5)
	v_fma_f32 v14, v12, v14, 0
	v_fmac_f32_e32 v14, v13, v15
	ds_read_b32 v4, v4
	ds_read2_b32 v[12:13], v1 offset0:24 offset1:28
	ds_read_b32 v1, v3
	ds_read_b32 v2, v2
	s_waitcnt lgkmcnt(7)
	v_fmac_f32_e32 v14, v9, v16
	s_waitcnt lgkmcnt(6)
	v_fmac_f32_e32 v14, v7, v17
	;; [unrolled: 2-line block ×5, first 2 shown]
	v_add_lshl_u32 v1, v8, v0, 2
	s_waitcnt lgkmcnt(0)
	v_fmac_f32_e32 v14, v2, v13
	ds_write_b32 v1, v14 offset:4096
	s_waitcnt lgkmcnt(0)
	s_barrier
	buffer_gl0_inv
	s_and_saveexec_b32 s4, s0
	s_cbranch_execz .LBB64_9
; %bb.38:
	v_add_nc_u32_e32 v3, 0x1000, v11
	v_mad_u64_u32 v[5:6], null, s2, v0, 0
	v_cmp_neq_f32_e64 vcc_lo, s28, 0
	ds_read2_b32 v[1:2], v3 offset1:32
	ds_read2_b32 v[3:4], v3 offset0:64 offset1:96
	s_waitcnt lgkmcnt(1)
	v_add_f32_e32 v7, 0, v1
	v_mov_b32_e32 v1, v6
	v_add_f32_e32 v2, v7, v2
	v_mad_u64_u32 v[0:1], null, s3, v0, v[1:2]
	s_waitcnt lgkmcnt(0)
	v_add_f32_e32 v1, v2, v3
	v_add_f32_e32 v1, v1, v4
	v_mov_b32_e32 v6, v0
	v_mul_f32_e32 v2, s33, v1
	v_fmac_f32_e32 v10, s33, v1
	v_lshlrev_b64 v[0:1], 2, v[5:6]
	v_cndmask_b32_e32 v2, v2, v10, vcc_lo
	v_add_co_u32 v0, vcc_lo, s1, v0
	v_add_co_ci_u32_e64 v1, null, s10, v1, vcc_lo
	global_store_dword v[0:1], v2, off
	s_endpgm
	.section	.rodata,"a",@progbits
	.p2align	6, 0x0
	.amdhsa_kernel _ZL50rocblas_symv_kernel_upper_double_buffered_diagonalILi32ELi4E24rocblas_internal_val_ptrIfEPKfPfEvbiT1_lT2_lllS6_lllS5_lT3_llli
		.amdhsa_group_segment_fixed_size 5248
		.amdhsa_private_segment_fixed_size 0
		.amdhsa_kernarg_size 140
		.amdhsa_user_sgpr_count 6
		.amdhsa_user_sgpr_private_segment_buffer 1
		.amdhsa_user_sgpr_dispatch_ptr 0
		.amdhsa_user_sgpr_queue_ptr 0
		.amdhsa_user_sgpr_kernarg_segment_ptr 1
		.amdhsa_user_sgpr_dispatch_id 0
		.amdhsa_user_sgpr_flat_scratch_init 0
		.amdhsa_user_sgpr_private_segment_size 0
		.amdhsa_wavefront_size32 1
		.amdhsa_uses_dynamic_stack 0
		.amdhsa_system_sgpr_private_segment_wavefront_offset 0
		.amdhsa_system_sgpr_workgroup_id_x 1
		.amdhsa_system_sgpr_workgroup_id_y 0
		.amdhsa_system_sgpr_workgroup_id_z 1
		.amdhsa_system_sgpr_workgroup_info 0
		.amdhsa_system_vgpr_workitem_id 1
		.amdhsa_next_free_vgpr 19
		.amdhsa_next_free_sgpr 34
		.amdhsa_reserve_vcc 1
		.amdhsa_reserve_flat_scratch 0
		.amdhsa_float_round_mode_32 0
		.amdhsa_float_round_mode_16_64 0
		.amdhsa_float_denorm_mode_32 3
		.amdhsa_float_denorm_mode_16_64 3
		.amdhsa_dx10_clamp 1
		.amdhsa_ieee_mode 1
		.amdhsa_fp16_overflow 0
		.amdhsa_workgroup_processor_mode 1
		.amdhsa_memory_ordered 1
		.amdhsa_forward_progress 1
		.amdhsa_shared_vgpr_count 0
		.amdhsa_exception_fp_ieee_invalid_op 0
		.amdhsa_exception_fp_denorm_src 0
		.amdhsa_exception_fp_ieee_div_zero 0
		.amdhsa_exception_fp_ieee_overflow 0
		.amdhsa_exception_fp_ieee_underflow 0
		.amdhsa_exception_fp_ieee_inexact 0
		.amdhsa_exception_int_div_zero 0
	.end_amdhsa_kernel
	.section	.text._ZL50rocblas_symv_kernel_upper_double_buffered_diagonalILi32ELi4E24rocblas_internal_val_ptrIfEPKfPfEvbiT1_lT2_lllS6_lllS5_lT3_llli,"axG",@progbits,_ZL50rocblas_symv_kernel_upper_double_buffered_diagonalILi32ELi4E24rocblas_internal_val_ptrIfEPKfPfEvbiT1_lT2_lllS6_lllS5_lT3_llli,comdat
.Lfunc_end64:
	.size	_ZL50rocblas_symv_kernel_upper_double_buffered_diagonalILi32ELi4E24rocblas_internal_val_ptrIfEPKfPfEvbiT1_lT2_lllS6_lllS5_lT3_llli, .Lfunc_end64-_ZL50rocblas_symv_kernel_upper_double_buffered_diagonalILi32ELi4E24rocblas_internal_val_ptrIfEPKfPfEvbiT1_lT2_lllS6_lllS5_lT3_llli
                                        ; -- End function
	.set _ZL50rocblas_symv_kernel_upper_double_buffered_diagonalILi32ELi4E24rocblas_internal_val_ptrIfEPKfPfEvbiT1_lT2_lllS6_lllS5_lT3_llli.num_vgpr, 19
	.set _ZL50rocblas_symv_kernel_upper_double_buffered_diagonalILi32ELi4E24rocblas_internal_val_ptrIfEPKfPfEvbiT1_lT2_lllS6_lllS5_lT3_llli.num_agpr, 0
	.set _ZL50rocblas_symv_kernel_upper_double_buffered_diagonalILi32ELi4E24rocblas_internal_val_ptrIfEPKfPfEvbiT1_lT2_lllS6_lllS5_lT3_llli.numbered_sgpr, 34
	.set _ZL50rocblas_symv_kernel_upper_double_buffered_diagonalILi32ELi4E24rocblas_internal_val_ptrIfEPKfPfEvbiT1_lT2_lllS6_lllS5_lT3_llli.num_named_barrier, 0
	.set _ZL50rocblas_symv_kernel_upper_double_buffered_diagonalILi32ELi4E24rocblas_internal_val_ptrIfEPKfPfEvbiT1_lT2_lllS6_lllS5_lT3_llli.private_seg_size, 0
	.set _ZL50rocblas_symv_kernel_upper_double_buffered_diagonalILi32ELi4E24rocblas_internal_val_ptrIfEPKfPfEvbiT1_lT2_lllS6_lllS5_lT3_llli.uses_vcc, 1
	.set _ZL50rocblas_symv_kernel_upper_double_buffered_diagonalILi32ELi4E24rocblas_internal_val_ptrIfEPKfPfEvbiT1_lT2_lllS6_lllS5_lT3_llli.uses_flat_scratch, 0
	.set _ZL50rocblas_symv_kernel_upper_double_buffered_diagonalILi32ELi4E24rocblas_internal_val_ptrIfEPKfPfEvbiT1_lT2_lllS6_lllS5_lT3_llli.has_dyn_sized_stack, 0
	.set _ZL50rocblas_symv_kernel_upper_double_buffered_diagonalILi32ELi4E24rocblas_internal_val_ptrIfEPKfPfEvbiT1_lT2_lllS6_lllS5_lT3_llli.has_recursion, 0
	.set _ZL50rocblas_symv_kernel_upper_double_buffered_diagonalILi32ELi4E24rocblas_internal_val_ptrIfEPKfPfEvbiT1_lT2_lllS6_lllS5_lT3_llli.has_indirect_call, 0
	.section	.AMDGPU.csdata,"",@progbits
; Kernel info:
; codeLenInByte = 2016
; TotalNumSgprs: 36
; NumVgprs: 19
; ScratchSize: 0
; MemoryBound: 0
; FloatMode: 240
; IeeeMode: 1
; LDSByteSize: 5248 bytes/workgroup (compile time only)
; SGPRBlocks: 0
; VGPRBlocks: 2
; NumSGPRsForWavesPerEU: 36
; NumVGPRsForWavesPerEU: 19
; Occupancy: 16
; WaveLimiterHint : 0
; COMPUTE_PGM_RSRC2:SCRATCH_EN: 0
; COMPUTE_PGM_RSRC2:USER_SGPR: 6
; COMPUTE_PGM_RSRC2:TRAP_HANDLER: 0
; COMPUTE_PGM_RSRC2:TGID_X_EN: 1
; COMPUTE_PGM_RSRC2:TGID_Y_EN: 0
; COMPUTE_PGM_RSRC2:TGID_Z_EN: 1
; COMPUTE_PGM_RSRC2:TIDIG_COMP_CNT: 1
	.section	.text._ZL54rocblas_symv_kernel_upper_double_buffered_non_diagonalILi32ELi4ELi4E24rocblas_internal_val_ptrIfEPKfPfEvbiT2_lT3_lllS6_lllT4_llli,"axG",@progbits,_ZL54rocblas_symv_kernel_upper_double_buffered_non_diagonalILi32ELi4ELi4E24rocblas_internal_val_ptrIfEPKfPfEvbiT2_lT3_lllS6_lllT4_llli,comdat
	.globl	_ZL54rocblas_symv_kernel_upper_double_buffered_non_diagonalILi32ELi4ELi4E24rocblas_internal_val_ptrIfEPKfPfEvbiT2_lT3_lllS6_lllT4_llli ; -- Begin function _ZL54rocblas_symv_kernel_upper_double_buffered_non_diagonalILi32ELi4ELi4E24rocblas_internal_val_ptrIfEPKfPfEvbiT2_lT3_lllS6_lllT4_llli
	.p2align	8
	.type	_ZL54rocblas_symv_kernel_upper_double_buffered_non_diagonalILi32ELi4ELi4E24rocblas_internal_val_ptrIfEPKfPfEvbiT2_lT3_lllS6_lllT4_llli,@function
_ZL54rocblas_symv_kernel_upper_double_buffered_non_diagonalILi32ELi4ELi4E24rocblas_internal_val_ptrIfEPKfPfEvbiT2_lT3_lllS6_lllT4_llli: ; @_ZL54rocblas_symv_kernel_upper_double_buffered_non_diagonalILi32ELi4ELi4E24rocblas_internal_val_ptrIfEPKfPfEvbiT2_lT3_lllS6_lllT4_llli
; %bb.0:
	s_clause 0x1
	s_load_dword s0, s[4:5], 0x0
	s_load_dwordx16 s[12:27], s[4:5], 0x8
	s_waitcnt lgkmcnt(0)
	s_bitcmp0_b32 s0, 0
	s_mov_b32 s0, 0
	s_cbranch_scc0 .LBB65_2
; %bb.1:
	s_mul_i32 s1, s15, s8
	s_mul_hi_u32 s2, s14, s8
	s_add_i32 s3, s2, s1
	s_mul_i32 s2, s14, s8
	s_lshl_b64 s[2:3], s[2:3], 2
	s_add_u32 s2, s12, s2
	s_addc_u32 s3, s13, s3
	s_load_dword s28, s[2:3], 0x0
	s_andn2_b32 vcc_lo, exec_lo, s0
	s_cbranch_vccz .LBB65_3
	s_branch .LBB65_4
.LBB65_2:
                                        ; implicit-def: $sgpr28
.LBB65_3:
	s_waitcnt lgkmcnt(0)
	s_mov_b32 s28, s12
.LBB65_4:
	s_waitcnt lgkmcnt(0)
	v_cmp_eq_f32_e64 s0, s28, 0
	s_and_b32 vcc_lo, exec_lo, s0
	s_cbranch_vccnz .LBB65_29
; %bb.5:
	s_load_dword s1, s[4:5], 0x84
	s_cmp_eq_u32 s6, 0
	s_waitcnt lgkmcnt(0)
	v_cvt_f32_u32_e32 v2, s1
	v_rcp_iflag_f32_e32 v2, v2
	v_mul_f32_e32 v2, 0x4f7ffffe, v2
	v_cvt_u32_f32_e32 v2, v2
	v_readfirstlane_b32 s0, v2
	s_cbranch_scc1 .LBB65_29
; %bb.6:
	s_load_dwordx4 s[12:15], s[4:5], 0x48
	s_sub_i32 s2, 0, s1
	v_cmp_eq_u32_e32 vcc_lo, 0, v1
	s_mul_i32 s9, s2, s0
	s_mul_hi_u32 s9, s0, s9
	s_add_i32 s0, s0, s9
	s_waitcnt lgkmcnt(0)
	s_mul_i32 s3, s15, s8
	s_mul_hi_u32 s10, s14, s8
	s_mul_i32 s2, s14, s8
	s_add_i32 s3, s10, s3
	s_lshl_b64 s[2:3], s[2:3], 2
	s_add_u32 s9, s24, s2
	s_addc_u32 s10, s25, s3
	s_lshl_b64 s[2:3], s[26:27], 2
	s_add_u32 s9, s9, s2
	s_addc_u32 s25, s10, s3
	s_lshl_b32 s14, s6, 5
	s_mul_hi_u32 s2, s6, s0
	s_ashr_i32 s15, s14, 31
	s_and_saveexec_b32 s3, vcc_lo
	s_cbranch_execz .LBB65_8
; %bb.7:
	v_mad_u64_u32 v[2:3], null, s12, v0, 0
	s_mul_i32 s0, s12, s15
	s_mul_hi_u32 s10, s12, s14
	s_mul_i32 s11, s13, s14
	s_add_i32 s0, s10, s0
	s_mul_i32 s10, s12, s14
	s_add_i32 s11, s0, s11
	v_mad_u64_u32 v[3:4], null, s13, v0, v[3:4]
	s_lshl_b64 s[10:11], s[10:11], 2
	s_add_u32 s0, s9, s10
	s_addc_u32 s10, s25, s11
	v_lshlrev_b64 v[2:3], 2, v[2:3]
	v_add_co_u32 v2, s0, s0, v2
	v_add_co_ci_u32_e64 v3, null, s10, v3, s0
	global_load_dword v2, v[2:3], off
	v_lshlrev_b32_e32 v3, 2, v0
	s_waitcnt vmcnt(0)
	ds_write_b32 v3, v2 offset:3072
.LBB65_8:
	s_or_b32 exec_lo, exec_lo, s3
	s_mul_i32 s0, s2, s1
	s_add_i32 s3, s2, 1
	s_sub_i32 s0, s6, s0
	s_sub_i32 s10, s0, s1
	s_cmp_ge_u32 s0, s1
	s_cselect_b32 s2, s3, s2
	s_cselect_b32 s0, s10, s0
	s_add_i32 s3, s2, 1
	s_cmp_ge_u32 s0, s1
	s_cselect_b32 s10, s3, s2
	s_add_i32 s0, s1, -1
	s_mov_b32 s26, s10
	s_cmp_lg_u32 s7, s0
	s_cbranch_scc1 .LBB65_10
; %bb.9:
	s_mul_i32 s0, s10, s1
	s_sub_i32 s0, s6, s0
	s_add_i32 s26, s0, s10
.LBB65_10:
	s_cmp_eq_u32 s26, 0
	s_cbranch_scc1 .LBB65_29
; %bb.11:
	s_clause 0x2
	s_load_dwordx2 s[30:31], s[4:5], 0x70
	s_load_dwordx2 s[34:35], s[4:5], 0x58
	s_load_dwordx4 s[0:3], s[4:5], 0x60
	v_lshl_add_u32 v2, v1, 5, v0
	v_and_b32_e32 v1, 15, v0
	s_waitcnt lgkmcnt(0)
	s_barrier
	buffer_gl0_inv
	v_lshrrev_b32_e32 v17, 4, v2
	s_mul_i32 s5, s31, s8
	s_mul_hi_u32 s6, s30, s8
	s_mul_i32 s4, s30, s8
	s_add_i32 s5, s6, s5
	s_lshl_b64 s[4:5], s[4:5], 2
	s_add_u32 s6, s34, s4
	s_addc_u32 s11, s35, s5
	s_lshl_b64 s[4:5], s[0:1], 2
	s_add_u32 s1, s6, s4
	s_addc_u32 s24, s11, s5
	s_cmp_lt_i32 s26, 1
	s_cbranch_scc1 .LBB65_20
; %bb.12:
	v_lshlrev_b32_e32 v5, 2, v17
	v_mov_b32_e32 v2, 0
	s_mul_i32 s0, s23, s8
	s_mul_hi_u32 s4, s22, s8
	s_mul_i32 s7, s7, s10
	s_add_i32 s5, s4, s0
	v_mad_u64_u32 v[3:4], null, s20, v5, v[1:2]
	s_mul_i32 s4, s22, s8
	s_lshl_b32 s6, s7, 5
	s_lshl_b64 s[4:5], s[4:5], 2
	s_ashr_i32 s7, s6, 31
	s_add_u32 s0, s16, s4
	s_addc_u32 s8, s17, s5
	s_lshl_b64 s[4:5], s[18:19], 2
	v_mad_u64_u32 v[4:5], null, s21, v5, v[4:5]
	s_add_u32 s0, s0, s4
	s_addc_u32 s8, s8, s5
	s_mul_i32 s4, s20, s15
	s_mul_hi_u32 s5, s20, s14
	v_mad_u64_u32 v[5:6], null, s12, v1, 0
	s_add_i32 s4, s5, s4
	s_mul_i32 s5, s21, s14
	v_lshlrev_b64 v[3:4], 2, v[3:4]
	s_add_i32 s5, s4, s5
	s_mul_i32 s4, s20, s14
	s_mul_i32 s10, s2, s6
	s_lshl_b64 s[4:5], s[4:5], 2
	v_lshl_add_u32 v23, v17, 4, 0xc00
	s_add_u32 s0, s0, s4
	s_addc_u32 s8, s8, s5
	s_lshl_b64 s[4:5], s[6:7], 2
	v_lshl_or_b32 v21, v0, 2, 0x800
	s_add_u32 s16, s0, s4
	s_addc_u32 s17, s8, s5
	v_add_co_u32 v7, s0, s16, v3
	v_add_co_ci_u32_e64 v8, null, s17, v4, s0
	s_mul_i32 s0, s2, s7
	v_mad_u64_u32 v[9:10], null, s13, v1, v[6:7]
	s_mul_hi_u32 s4, s2, s6
	s_mul_i32 s8, s3, s6
	s_add_i32 s0, s4, s0
	s_lshl_b64 s[4:5], s[20:21], 2
	s_add_i32 s11, s0, s8
	v_add_co_u32 v13, s0, v7, s4
	s_lshl_b64 s[10:11], s[10:11], 2
	v_add_co_ci_u32_e64 v14, null, s5, v8, s0
	s_mul_i32 s0, s12, s7
	s_mul_hi_u32 s7, s12, s6
	v_mov_b32_e32 v6, v9
	s_add_u32 s10, s1, s10
	s_addc_u32 s11, s24, s11
	s_add_i32 s0, s7, s0
	s_mul_i32 s7, s13, s6
	s_mul_i32 s6, s12, s6
	s_add_i32 s7, s0, s7
	v_add_co_u32 v9, s0, v13, s4
	v_lshlrev_b64 v[11:12], 2, v[5:6]
	v_add_co_ci_u32_e64 v10, null, s5, v14, s0
	s_lshl_b64 s[6:7], s[6:7], 2
	v_add_co_u32 v5, s0, v9, s4
	s_add_u32 s18, s9, s6
	v_add_co_ci_u32_e64 v6, null, s5, v10, s0
	s_addc_u32 s19, s25, s7
	v_add_co_u32 v15, s0, s18, v11
	v_add_co_ci_u32_e64 v16, null, s19, v12, s0
	s_clause 0x3
	global_load_dword v25, v[7:8], off
	global_load_dword v26, v[13:14], off
	;; [unrolled: 1-line block ×5, first 2 shown]
	v_or_b32_e32 v8, 16, v1
	v_mad_u64_u32 v[5:6], null, s2, v0, 0
	v_lshlrev_b32_e32 v15, 7, v17
	s_cmp_eq_u32 s26, 1
	v_mad_u64_u32 v[9:10], null, s12, v8, 0
	v_mov_b32_e32 v7, v10
	v_mad_u64_u32 v[7:8], null, s13, v8, v[7:8]
	v_mad_u64_u32 v[13:14], null, s3, v0, v[6:7]
	v_mov_b32_e32 v10, v7
	v_lshl_or_b32 v14, v1, 2, 0x800
	v_lshlrev_b64 v[9:10], 2, v[9:10]
	v_mov_b32_e32 v6, v13
	v_add_nc_u32_e32 v22, v14, v15
	s_cbranch_scc1 .LBB65_21
; %bb.13:
	v_mov_b32_e32 v18, 0
	v_mov_b32_e32 v7, s10
	s_lshl_b64 s[20:21], s[20:21], 3
	v_mov_b32_e32 v8, s11
	v_mov_b32_e32 v20, 0
	v_mov_b32_e32 v19, 0
	v_mov_b32_e32 v2, v18
	s_lshl_b64 s[6:7], s[12:13], 7
	s_lshl_b64 s[8:9], s[2:3], 7
	s_add_i32 s12, s26, -2
	s_sub_u32 s10, 0, s20
	s_subb_u32 s11, 0, s21
	s_mov_b32 s13, 0
.LBB65_14:                              ; =>This Loop Header: Depth=1
                                        ;     Child Loop BB65_16 Depth 2
	v_add_co_u32 v13, s0, s16, v3
	v_add_co_ci_u32_e64 v14, null, s17, v4, s0
	v_add_co_u32 v15, s0, v13, s4
	v_add_co_ci_u32_e64 v16, null, s5, v14, s0
	;; [unrolled: 2-line block ×5, first 2 shown]
	global_load_dword v34, v[31:32], off
	s_clause 0x3
	global_load_dword v38, v[13:14], off offset:64
	global_load_dword v36, v[15:16], off offset:64
	;; [unrolled: 1-line block ×4, first 2 shown]
	v_add_co_u32 v15, s0, v39, s10
	v_add_co_ci_u32_e64 v16, null, s11, v40, s0
	s_add_u32 s18, s18, s6
	v_add_co_u32 v29, s0, v15, s4
	v_add_co_ci_u32_e64 v30, null, s5, v16, s0
	s_addc_u32 s19, s19, s7
	v_add_co_u32 v32, s0, v29, s4
	v_add_co_ci_u32_e64 v33, null, s5, v30, s0
	v_add_co_u32 v39, s0, s18, v11
	v_add_co_ci_u32_e64 v40, null, s19, v12, s0
	s_clause 0x3
	global_load_dword v31, v[15:16], off offset:128
	global_load_dword v30, v[29:30], off offset:128
	;; [unrolled: 1-line block ×4, first 2 shown]
	global_load_dword v33, v[39:40], off
	ds_read_b128 v[13:16], v23
	s_waitcnt vmcnt(0) lgkmcnt(0)
	s_barrier
	buffer_gl0_inv
	v_fma_f32 v39, v25, v13, 0
	v_fmac_f32_e32 v39, v26, v14
	v_fmac_f32_e32 v39, v27, v15
	;; [unrolled: 1-line block ×3, first 2 shown]
	v_fma_f32 v13, v38, v13, 0
	v_fmac_f32_e32 v13, v36, v14
	v_fmac_f32_e32 v13, v35, v15
	;; [unrolled: 1-line block ×3, first 2 shown]
	ds_write2_b32 v22, v39, v13 offset1:16
	s_waitcnt lgkmcnt(0)
	s_barrier
	buffer_gl0_inv
	s_and_saveexec_b32 s20, vcc_lo
	s_cbranch_execz .LBB65_18
; %bb.15:                               ;   in Loop: Header=BB65_14 Depth=1
	v_lshlrev_b64 v[13:14], 2, v[5:6]
	s_mov_b32 s21, 0
	v_add_co_u32 v13, s0, v7, v13
	v_add_co_ci_u32_e64 v14, null, v8, v14, s0
	global_load_dword v16, v[13:14], off
	ds_read2_b32 v[39:40], v21 offset1:32
	ds_read2_b32 v[41:42], v21 offset0:64 offset1:96
	ds_read2_b32 v[43:44], v21 offset0:128 offset1:160
	s_waitcnt lgkmcnt(2)
	v_add_f32_e32 v15, 0, v39
	v_add_f32_e32 v15, v15, v40
	ds_read2_b32 v[39:40], v21 offset0:192 offset1:224
	s_waitcnt lgkmcnt(2)
	v_add_f32_e32 v15, v15, v41
	v_add_f32_e32 v15, v15, v42
	s_waitcnt lgkmcnt(1)
	v_add_f32_e32 v15, v15, v43
	v_add_f32_e32 v15, v15, v44
	;; [unrolled: 3-line block ×3, first 2 shown]
	v_mul_f32_e32 v39, s28, v15
.LBB65_16:                              ;   Parent Loop BB65_14 Depth=1
                                        ; =>  This Inner Loop Header: Depth=2
	s_waitcnt vmcnt(0)
	v_add_f32_e32 v15, v16, v39
	global_atomic_cmpswap v15, v[13:14], v[15:16], off glc
	s_waitcnt vmcnt(0)
	v_cmp_eq_u32_e64 s0, v15, v16
	v_mov_b32_e32 v16, v15
	s_or_b32 s21, s0, s21
	s_andn2_b32 exec_lo, exec_lo, s21
	s_cbranch_execnz .LBB65_16
; %bb.17:                               ;   in Loop: Header=BB65_14 Depth=1
	s_or_b32 exec_lo, exec_lo, s21
	v_add_co_u32 v7, s0, v7, s8
	v_add_co_ci_u32_e64 v8, null, s9, v8, s0
.LBB65_18:                              ;   in Loop: Header=BB65_14 Depth=1
	s_or_b32 exec_lo, exec_lo, s20
	v_fmac_f32_e32 v18, v24, v25
	v_fmac_f32_e32 v20, v24, v26
	v_fmac_f32_e32 v19, v24, v27
	v_fmac_f32_e32 v2, v24, v28
	s_add_u32 s16, s16, 0x80
	v_fmac_f32_e32 v18, v34, v38
	v_fmac_f32_e32 v20, v34, v36
	;; [unrolled: 1-line block ×4, first 2 shown]
	s_addc_u32 s17, s17, 0
	s_add_i32 s0, s13, 1
	s_cmp_eq_u32 s13, s12
	s_cbranch_scc1 .LBB65_22
; %bb.19:                               ;   in Loop: Header=BB65_14 Depth=1
	v_mov_b32_e32 v24, v33
	v_mov_b32_e32 v25, v32
	;; [unrolled: 1-line block ×5, first 2 shown]
	s_mov_b32 s13, s0
	s_branch .LBB65_14
.LBB65_20:
	v_mov_b32_e32 v2, 0
	v_mov_b32_e32 v19, v2
	;; [unrolled: 1-line block ×4, first 2 shown]
	s_branch .LBB65_26
.LBB65_21:
	v_mov_b32_e32 v7, s10
	v_mov_b32_e32 v8, s11
	s_waitcnt vmcnt(1)
	v_mov_b32_e32 v29, v28
	v_mov_b32_e32 v30, v27
	;; [unrolled: 1-line block ×7, first 2 shown]
	s_waitcnt vmcnt(0)
	v_mov_b32_e32 v33, v24
.LBB65_22:
	v_add_co_u32 v3, s0, s16, v3
	v_add_co_ci_u32_e64 v4, null, s17, v4, s0
	v_fmac_f32_e32 v18, v33, v32
	v_add_co_u32 v12, s0, v3, s4
	v_add_co_ci_u32_e64 v13, null, s5, v4, s0
	global_load_dword v11, v[3:4], off offset:64
	v_add_co_u32 v3, s0, v12, s4
	v_add_co_ci_u32_e64 v4, null, s5, v13, s0
	global_load_dword v12, v[12:13], off offset:64
	v_add_co_u32 v14, s0, v3, s4
	v_add_co_ci_u32_e64 v15, null, s5, v4, s0
	v_fmac_f32_e32 v20, v33, v31
	v_fmac_f32_e32 v19, v33, v30
	s_clause 0x1
	global_load_dword v13, v[3:4], off offset:64
	global_load_dword v14, v[14:15], off offset:64
	v_add_co_u32 v3, s0, s18, v9
	v_add_co_ci_u32_e64 v4, null, s19, v10, s0
	ds_read_b128 v[23:26], v23
	v_fmac_f32_e32 v2, v33, v29
	global_load_dword v9, v[3:4], off
	s_waitcnt vmcnt(0) lgkmcnt(0)
	s_barrier
	buffer_gl0_inv
	v_fma_f32 v3, v32, v23, 0
	v_fmac_f32_e32 v3, v31, v24
	v_fmac_f32_e32 v3, v30, v25
	;; [unrolled: 1-line block ×3, first 2 shown]
	v_fma_f32 v4, v11, v23, 0
	v_fmac_f32_e32 v4, v12, v24
	v_fmac_f32_e32 v4, v13, v25
	;; [unrolled: 1-line block ×3, first 2 shown]
	ds_write2_b32 v22, v3, v4 offset1:16
	s_waitcnt lgkmcnt(0)
	s_barrier
	buffer_gl0_inv
	s_and_saveexec_b32 s4, vcc_lo
	s_cbranch_execz .LBB65_25
; %bb.23:
	v_lshlrev_b64 v[3:4], 2, v[5:6]
	s_mov_b32 s5, 0
	v_add_co_u32 v3, s0, v7, v3
	v_add_co_ci_u32_e64 v4, null, v8, v4, s0
	global_load_dword v6, v[3:4], off
	ds_read2_b32 v[7:8], v21 offset1:32
	ds_read2_b32 v[15:16], v21 offset0:64 offset1:96
	ds_read2_b32 v[22:23], v21 offset0:128 offset1:160
	s_waitcnt lgkmcnt(2)
	v_add_f32_e32 v5, 0, v7
	v_add_f32_e32 v5, v5, v8
	ds_read2_b32 v[7:8], v21 offset0:192 offset1:224
	s_waitcnt lgkmcnt(2)
	v_add_f32_e32 v5, v5, v15
	v_add_f32_e32 v5, v5, v16
	s_waitcnt lgkmcnt(1)
	v_add_f32_e32 v5, v5, v22
	v_add_f32_e32 v5, v5, v23
	;; [unrolled: 3-line block ×3, first 2 shown]
	v_mul_f32_e32 v7, s28, v5
.LBB65_24:                              ; =>This Inner Loop Header: Depth=1
	s_waitcnt vmcnt(0)
	v_add_f32_e32 v5, v6, v7
	global_atomic_cmpswap v5, v[3:4], v[5:6], off glc
	s_waitcnt vmcnt(0)
	v_cmp_eq_u32_e64 s0, v5, v6
	v_mov_b32_e32 v6, v5
	s_or_b32 s5, s0, s5
	s_andn2_b32 exec_lo, exec_lo, s5
	s_cbranch_execnz .LBB65_24
.LBB65_25:
	s_or_b32 exec_lo, exec_lo, s4
	v_fmac_f32_e32 v18, v9, v11
	v_fmac_f32_e32 v20, v9, v12
	;; [unrolled: 1-line block ×4, first 2 shown]
.LBB65_26:
	v_lshlrev_b32_e32 v3, 8, v17
	v_lshl_or_b32 v3, v1, 2, v3
	ds_write2_b32 v3, v18, v20 offset1:16
	ds_write2_b32 v3, v19, v2 offset0:32 offset1:48
	s_waitcnt lgkmcnt(0)
	s_barrier
	buffer_gl0_inv
	s_and_saveexec_b32 s0, vcc_lo
	s_cbranch_execz .LBB65_29
; %bb.27:
	v_mad_u64_u32 v[2:3], null, s2, v0, 0
	s_mul_i32 s0, s2, s15
	s_mul_hi_u32 s4, s2, s14
	s_mul_i32 s2, s2, s14
	s_add_i32 s0, s4, s0
	v_add_nc_u32_e32 v6, 2, v0
	v_lshlrev_b32_e32 v7, 6, v0
	v_mad_u64_u32 v[3:4], null, s3, v0, v[3:4]
	s_mul_i32 s3, s3, s14
	v_add_nc_u32_e32 v4, 1, v0
	s_add_i32 s3, s0, s3
	v_and_b32_e32 v6, 15, v6
	s_lshl_b64 s[2:3], s[2:3], 2
	v_lshl_or_b32 v8, v1, 2, v7
	v_lshlrev_b64 v[2:3], 2, v[2:3]
	s_add_u32 s0, s1, s2
	s_addc_u32 s1, s24, s3
	v_and_b32_e32 v4, 15, v4
	v_lshl_or_b32 v6, v6, 2, v7
	v_add_nc_u32_e32 v9, 3, v0
	v_add_co_u32 v2, vcc_lo, s0, v2
	v_add_co_ci_u32_e64 v3, null, s1, v3, vcc_lo
	v_lshl_or_b32 v4, v4, 2, v7
	v_add_nc_u32_e32 v10, 4, v0
	v_add_nc_u32_e32 v11, 5, v0
	global_load_dword v5, v[2:3], off
	ds_read_b32 v8, v8
	ds_read_b32 v4, v4
	;; [unrolled: 1-line block ×3, first 2 shown]
	v_add_nc_u32_e32 v12, 6, v0
	v_add_nc_u32_e32 v13, 7, v0
	v_and_b32_e32 v9, 15, v9
	v_and_b32_e32 v10, 15, v10
	;; [unrolled: 1-line block ×5, first 2 shown]
	v_lshl_or_b32 v9, v9, 2, v7
	v_lshl_or_b32 v10, v10, 2, v7
	;; [unrolled: 1-line block ×5, first 2 shown]
	ds_read_b32 v9, v9
	ds_read_b32 v10, v10
	;; [unrolled: 1-line block ×5, first 2 shown]
	v_xor_b32_e32 v1, 8, v1
	s_mov_b32 s0, 0
	s_waitcnt lgkmcnt(7)
	v_add_f32_e32 v8, 0, v8
	v_lshl_or_b32 v1, v1, 2, v7
	s_waitcnt lgkmcnt(6)
	v_add_f32_e32 v4, v8, v4
	v_add_nc_u32_e32 v8, 10, v0
	s_waitcnt lgkmcnt(5)
	v_add_f32_e32 v4, v4, v6
	v_add_nc_u32_e32 v6, 9, v0
	v_and_b32_e32 v8, 15, v8
	s_waitcnt lgkmcnt(4)
	v_add_f32_e32 v4, v4, v9
	v_and_b32_e32 v6, 15, v6
	v_lshl_or_b32 v8, v8, 2, v7
	v_add_nc_u32_e32 v9, 11, v0
	s_waitcnt lgkmcnt(3)
	v_add_f32_e32 v4, v4, v10
	v_lshl_or_b32 v6, v6, 2, v7
	v_add_nc_u32_e32 v10, 12, v0
	ds_read_b32 v1, v1
	ds_read_b32 v6, v6
	;; [unrolled: 1-line block ×3, first 2 shown]
	s_waitcnt lgkmcnt(5)
	v_add_f32_e32 v4, v4, v11
	v_add_nc_u32_e32 v11, 13, v0
	v_and_b32_e32 v9, 15, v9
	v_and_b32_e32 v10, 15, v10
	s_waitcnt lgkmcnt(4)
	v_add_f32_e32 v4, v4, v12
	v_add_nc_u32_e32 v12, 14, v0
	v_add_nc_u32_e32 v0, -1, v0
	v_and_b32_e32 v11, 15, v11
	v_lshl_or_b32 v9, v9, 2, v7
	s_waitcnt lgkmcnt(3)
	v_add_f32_e32 v4, v4, v13
	v_and_b32_e32 v12, 15, v12
	v_and_b32_e32 v0, 15, v0
	v_lshl_or_b32 v10, v10, 2, v7
	v_lshl_or_b32 v11, v11, 2, v7
	;; [unrolled: 1-line block ×4, first 2 shown]
	ds_read_b32 v7, v9
	ds_read_b32 v9, v10
	;; [unrolled: 1-line block ×5, first 2 shown]
	s_waitcnt lgkmcnt(7)
	v_add_f32_e32 v1, v4, v1
	s_waitcnt lgkmcnt(6)
	v_add_f32_e32 v1, v1, v6
	;; [unrolled: 2-line block ×8, first 2 shown]
	v_mul_f32_e32 v0, s28, v0
.LBB65_28:                              ; =>This Inner Loop Header: Depth=1
	s_waitcnt vmcnt(0)
	v_add_f32_e32 v4, v5, v0
	global_atomic_cmpswap v1, v[2:3], v[4:5], off glc
	s_waitcnt vmcnt(0)
	v_cmp_eq_u32_e32 vcc_lo, v1, v5
	v_mov_b32_e32 v5, v1
	s_or_b32 s0, vcc_lo, s0
	s_andn2_b32 exec_lo, exec_lo, s0
	s_cbranch_execnz .LBB65_28
.LBB65_29:
	s_endpgm
	.section	.rodata,"a",@progbits
	.p2align	6, 0x0
	.amdhsa_kernel _ZL54rocblas_symv_kernel_upper_double_buffered_non_diagonalILi32ELi4ELi4E24rocblas_internal_val_ptrIfEPKfPfEvbiT2_lT3_lllS6_lllT4_llli
		.amdhsa_group_segment_fixed_size 3200
		.amdhsa_private_segment_fixed_size 0
		.amdhsa_kernarg_size 384
		.amdhsa_user_sgpr_count 6
		.amdhsa_user_sgpr_private_segment_buffer 1
		.amdhsa_user_sgpr_dispatch_ptr 0
		.amdhsa_user_sgpr_queue_ptr 0
		.amdhsa_user_sgpr_kernarg_segment_ptr 1
		.amdhsa_user_sgpr_dispatch_id 0
		.amdhsa_user_sgpr_flat_scratch_init 0
		.amdhsa_user_sgpr_private_segment_size 0
		.amdhsa_wavefront_size32 1
		.amdhsa_uses_dynamic_stack 0
		.amdhsa_system_sgpr_private_segment_wavefront_offset 0
		.amdhsa_system_sgpr_workgroup_id_x 1
		.amdhsa_system_sgpr_workgroup_id_y 1
		.amdhsa_system_sgpr_workgroup_id_z 1
		.amdhsa_system_sgpr_workgroup_info 0
		.amdhsa_system_vgpr_workitem_id 1
		.amdhsa_next_free_vgpr 45
		.amdhsa_next_free_sgpr 36
		.amdhsa_reserve_vcc 1
		.amdhsa_reserve_flat_scratch 0
		.amdhsa_float_round_mode_32 0
		.amdhsa_float_round_mode_16_64 0
		.amdhsa_float_denorm_mode_32 3
		.amdhsa_float_denorm_mode_16_64 3
		.amdhsa_dx10_clamp 1
		.amdhsa_ieee_mode 1
		.amdhsa_fp16_overflow 0
		.amdhsa_workgroup_processor_mode 1
		.amdhsa_memory_ordered 1
		.amdhsa_forward_progress 1
		.amdhsa_shared_vgpr_count 0
		.amdhsa_exception_fp_ieee_invalid_op 0
		.amdhsa_exception_fp_denorm_src 0
		.amdhsa_exception_fp_ieee_div_zero 0
		.amdhsa_exception_fp_ieee_overflow 0
		.amdhsa_exception_fp_ieee_underflow 0
		.amdhsa_exception_fp_ieee_inexact 0
		.amdhsa_exception_int_div_zero 0
	.end_amdhsa_kernel
	.section	.text._ZL54rocblas_symv_kernel_upper_double_buffered_non_diagonalILi32ELi4ELi4E24rocblas_internal_val_ptrIfEPKfPfEvbiT2_lT3_lllS6_lllT4_llli,"axG",@progbits,_ZL54rocblas_symv_kernel_upper_double_buffered_non_diagonalILi32ELi4ELi4E24rocblas_internal_val_ptrIfEPKfPfEvbiT2_lT3_lllS6_lllT4_llli,comdat
.Lfunc_end65:
	.size	_ZL54rocblas_symv_kernel_upper_double_buffered_non_diagonalILi32ELi4ELi4E24rocblas_internal_val_ptrIfEPKfPfEvbiT2_lT3_lllS6_lllT4_llli, .Lfunc_end65-_ZL54rocblas_symv_kernel_upper_double_buffered_non_diagonalILi32ELi4ELi4E24rocblas_internal_val_ptrIfEPKfPfEvbiT2_lT3_lllS6_lllT4_llli
                                        ; -- End function
	.set _ZL54rocblas_symv_kernel_upper_double_buffered_non_diagonalILi32ELi4ELi4E24rocblas_internal_val_ptrIfEPKfPfEvbiT2_lT3_lllS6_lllT4_llli.num_vgpr, 45
	.set _ZL54rocblas_symv_kernel_upper_double_buffered_non_diagonalILi32ELi4ELi4E24rocblas_internal_val_ptrIfEPKfPfEvbiT2_lT3_lllS6_lllT4_llli.num_agpr, 0
	.set _ZL54rocblas_symv_kernel_upper_double_buffered_non_diagonalILi32ELi4ELi4E24rocblas_internal_val_ptrIfEPKfPfEvbiT2_lT3_lllS6_lllT4_llli.numbered_sgpr, 36
	.set _ZL54rocblas_symv_kernel_upper_double_buffered_non_diagonalILi32ELi4ELi4E24rocblas_internal_val_ptrIfEPKfPfEvbiT2_lT3_lllS6_lllT4_llli.num_named_barrier, 0
	.set _ZL54rocblas_symv_kernel_upper_double_buffered_non_diagonalILi32ELi4ELi4E24rocblas_internal_val_ptrIfEPKfPfEvbiT2_lT3_lllS6_lllT4_llli.private_seg_size, 0
	.set _ZL54rocblas_symv_kernel_upper_double_buffered_non_diagonalILi32ELi4ELi4E24rocblas_internal_val_ptrIfEPKfPfEvbiT2_lT3_lllS6_lllT4_llli.uses_vcc, 1
	.set _ZL54rocblas_symv_kernel_upper_double_buffered_non_diagonalILi32ELi4ELi4E24rocblas_internal_val_ptrIfEPKfPfEvbiT2_lT3_lllS6_lllT4_llli.uses_flat_scratch, 0
	.set _ZL54rocblas_symv_kernel_upper_double_buffered_non_diagonalILi32ELi4ELi4E24rocblas_internal_val_ptrIfEPKfPfEvbiT2_lT3_lllS6_lllT4_llli.has_dyn_sized_stack, 0
	.set _ZL54rocblas_symv_kernel_upper_double_buffered_non_diagonalILi32ELi4ELi4E24rocblas_internal_val_ptrIfEPKfPfEvbiT2_lT3_lllS6_lllT4_llli.has_recursion, 0
	.set _ZL54rocblas_symv_kernel_upper_double_buffered_non_diagonalILi32ELi4ELi4E24rocblas_internal_val_ptrIfEPKfPfEvbiT2_lT3_lllS6_lllT4_llli.has_indirect_call, 0
	.section	.AMDGPU.csdata,"",@progbits
; Kernel info:
; codeLenInByte = 2844
; TotalNumSgprs: 38
; NumVgprs: 45
; ScratchSize: 0
; MemoryBound: 0
; FloatMode: 240
; IeeeMode: 1
; LDSByteSize: 3200 bytes/workgroup (compile time only)
; SGPRBlocks: 0
; VGPRBlocks: 5
; NumSGPRsForWavesPerEU: 38
; NumVGPRsForWavesPerEU: 45
; Occupancy: 16
; WaveLimiterHint : 0
; COMPUTE_PGM_RSRC2:SCRATCH_EN: 0
; COMPUTE_PGM_RSRC2:USER_SGPR: 6
; COMPUTE_PGM_RSRC2:TRAP_HANDLER: 0
; COMPUTE_PGM_RSRC2:TGID_X_EN: 1
; COMPUTE_PGM_RSRC2:TGID_Y_EN: 1
; COMPUTE_PGM_RSRC2:TGID_Z_EN: 1
; COMPUTE_PGM_RSRC2:TIDIG_COMP_CNT: 1
	.section	.text._ZL58rocblas_symv_kernel_upper_double_buffered_diagonal_genericILi32ELi8E24rocblas_internal_val_ptrIfEPKfPfEvbiT1_lT2_lllS6_lllS5_lT3_lllii,"axG",@progbits,_ZL58rocblas_symv_kernel_upper_double_buffered_diagonal_genericILi32ELi8E24rocblas_internal_val_ptrIfEPKfPfEvbiT1_lT2_lllS6_lllS5_lT3_lllii,comdat
	.globl	_ZL58rocblas_symv_kernel_upper_double_buffered_diagonal_genericILi32ELi8E24rocblas_internal_val_ptrIfEPKfPfEvbiT1_lT2_lllS6_lllS5_lT3_lllii ; -- Begin function _ZL58rocblas_symv_kernel_upper_double_buffered_diagonal_genericILi32ELi8E24rocblas_internal_val_ptrIfEPKfPfEvbiT1_lT2_lllS6_lllS5_lT3_lllii
	.p2align	8
	.type	_ZL58rocblas_symv_kernel_upper_double_buffered_diagonal_genericILi32ELi8E24rocblas_internal_val_ptrIfEPKfPfEvbiT1_lT2_lllS6_lllS5_lT3_lllii,@function
_ZL58rocblas_symv_kernel_upper_double_buffered_diagonal_genericILi32ELi8E24rocblas_internal_val_ptrIfEPKfPfEvbiT1_lT2_lllS6_lllS5_lT3_lllii: ; @_ZL58rocblas_symv_kernel_upper_double_buffered_diagonal_genericILi32ELi8E24rocblas_internal_val_ptrIfEPKfPfEvbiT1_lT2_lllS6_lllS5_lT3_lllii
; %bb.0:
	s_clause 0x1
	s_load_dword s0, s[4:5], 0x0
	s_load_dwordx16 s[8:23], s[4:5], 0x8
	s_mov_b32 s1, -1
                                        ; implicit-def: $sgpr33
	s_waitcnt lgkmcnt(0)
	s_bitcmp1_b32 s0, 0
	s_cselect_b32 s0, -1, 0
	s_xor_b32 s0, s0, -1
	s_and_b32 vcc_lo, exec_lo, s0
	s_cbranch_vccnz .LBB66_13
; %bb.1:
	s_load_dwordx8 s[24:31], s[4:5], 0x48
	s_andn2_b32 vcc_lo, exec_lo, s1
	s_cbranch_vccz .LBB66_14
.LBB66_2:
	s_andn2_b32 vcc_lo, exec_lo, s0
	s_cbranch_vccnz .LBB66_4
.LBB66_3:
	s_waitcnt lgkmcnt(0)
	s_mul_i32 s0, s31, s7
	s_mul_hi_u32 s1, s30, s7
	s_add_i32 s1, s1, s0
	s_mul_i32 s0, s30, s7
	s_lshl_b64 s[0:1], s[0:1], 2
	s_add_u32 s0, s28, s0
	s_addc_u32 s1, s29, s1
	s_load_dword s28, s[0:1], 0x0
.LBB66_4:
	s_waitcnt lgkmcnt(0)
	v_cmp_eq_f32_e64 s0, s33, 0
	v_cmp_eq_f32_e64 s1, s28, 1.0
	s_and_b32 s0, s0, s1
	s_and_b32 vcc_lo, exec_lo, s0
	s_cbranch_vccnz .LBB66_12
; %bb.5:
	s_clause 0x3
	s_load_dwordx2 s[8:9], s[4:5], 0x80
	s_load_dwordx2 s[10:11], s[4:5], 0x68
	s_load_dwordx4 s[0:3], s[4:5], 0x70
	s_load_dword s31, s[4:5], 0x88
	s_waitcnt lgkmcnt(0)
	s_mul_i32 s9, s9, s7
	s_mul_hi_u32 s29, s8, s7
	s_mul_i32 s8, s8, s7
	s_add_i32 s9, s29, s9
	s_lshl_b64 s[8:9], s[8:9], 2
	s_add_u32 s8, s10, s8
	s_addc_u32 s9, s11, s9
	s_lshl_b64 s[0:1], s[0:1], 2
	s_add_u32 s8, s8, s0
	s_addc_u32 s9, s9, s1
	s_lshl_b32 s34, s6, 5
	s_ashr_i32 s35, s34, 31
	s_mul_hi_u32 s0, s2, s34
	s_mul_i32 s1, s2, s35
	s_mul_i32 s10, s3, s34
	s_add_i32 s1, s0, s1
	s_mul_i32 s0, s2, s34
	s_add_i32 s1, s1, s10
	v_cmp_neq_f32_e64 s10, s33, 0
	s_lshl_b64 s[0:1], s[0:1], 2
	s_add_u32 s29, s8, s0
	v_cmp_eq_u32_e64 s0, 0, v1
	s_addc_u32 s30, s9, s1
	s_and_b32 vcc_lo, exec_lo, s10
	s_cbranch_vccnz .LBB66_15
; %bb.6:
	s_mov_b32 s1, 0
	s_and_saveexec_b32 s8, s0
	s_cbranch_execz .LBB66_11
; %bb.7:
	v_cmp_gt_i32_e64 s0, s31, v0
	s_mov_b32 s9, exec_lo
	v_cmpx_le_i32_e64 s31, v0
	s_cbranch_execz .LBB66_9
; %bb.8:
	s_load_dword s10, s[4:5], 0x90
	s_waitcnt lgkmcnt(0)
	s_add_i32 s10, s10, -1
	s_cmp_lt_u32 s6, s10
	s_cselect_b32 s10, -1, 0
	s_andn2_b32 s0, s0, exec_lo
	s_and_b32 s10, s10, exec_lo
	s_or_b32 s0, s0, s10
.LBB66_9:
	s_or_b32 exec_lo, exec_lo, s9
	s_and_b32 exec_lo, exec_lo, s0
	s_cbranch_execz .LBB66_11
; %bb.10:
	v_mad_u64_u32 v[2:3], null, s2, v0, 0
	v_mad_u64_u32 v[3:4], null, s3, v0, v[3:4]
	v_lshlrev_b64 v[2:3], 2, v[2:3]
	v_add_co_u32 v2, vcc_lo, s29, v2
	v_add_co_ci_u32_e64 v3, null, s30, v3, vcc_lo
	global_load_dword v4, v[2:3], off
	s_waitcnt vmcnt(0)
	v_mul_f32_e32 v4, s28, v4
	global_store_dword v[2:3], v4, off
.LBB66_11:
	s_or_b32 exec_lo, exec_lo, s8
	s_andn2_b32 vcc_lo, exec_lo, s1
	s_cbranch_vccz .LBB66_16
.LBB66_12:
	s_endpgm
.LBB66_13:
	s_mul_i32 s1, s11, s7
	s_mul_hi_u32 s2, s10, s7
	s_add_i32 s3, s2, s1
	s_mul_i32 s2, s10, s7
	s_lshl_b64 s[2:3], s[2:3], 2
	s_add_u32 s2, s8, s2
	s_addc_u32 s3, s9, s3
	s_load_dword s33, s[2:3], 0x0
	s_load_dwordx8 s[24:31], s[4:5], 0x48
	s_cbranch_execnz .LBB66_2
.LBB66_14:
	s_waitcnt lgkmcnt(0)
	s_mov_b32 s33, s8
	s_andn2_b32 vcc_lo, exec_lo, s0
	s_cbranch_vccz .LBB66_3
	s_branch .LBB66_4
.LBB66_15:
.LBB66_16:
	v_mov_b32_e32 v6, 0
	v_cmp_ne_u32_e64 s1, 0, v1
	v_cmp_eq_u32_e64 s0, 0, v1
	s_and_saveexec_b32 s8, s0
	s_cbranch_execz .LBB66_23
; %bb.17:
	v_cmp_gt_i32_e64 s10, s31, v0
	s_mov_b32 s9, exec_lo
	v_cmpx_le_i32_e64 s31, v0
	s_cbranch_execz .LBB66_19
; %bb.18:
	s_load_dword s11, s[4:5], 0x90
	s_waitcnt lgkmcnt(0)
	s_add_i32 s11, s11, -1
	s_cmp_lt_u32 s6, s11
	s_cselect_b32 s11, -1, 0
	s_andn2_b32 s10, s10, exec_lo
	s_and_b32 s11, s11, exec_lo
	s_or_b32 s10, s10, s11
.LBB66_19:
	s_or_b32 exec_lo, exec_lo, s9
	v_mov_b32_e32 v6, 0
	s_and_saveexec_b32 s9, s10
	s_cbranch_execz .LBB66_22
; %bb.20:
	v_mad_u64_u32 v[2:3], null, s24, v0, 0
	s_mul_i32 s11, s27, s7
	s_mul_hi_u32 s27, s26, s7
	s_mul_i32 s10, s26, s7
	s_add_i32 s11, s27, s11
	s_mul_i32 s26, s24, s35
	s_lshl_b64 s[10:11], s[10:11], 2
	v_mad_u64_u32 v[3:4], null, s25, v0, v[3:4]
	s_add_u32 s20, s20, s10
	s_addc_u32 s21, s21, s11
	s_lshl_b64 s[10:11], s[22:23], 2
	s_mul_hi_u32 s27, s24, s34
	s_add_u32 s20, s20, s10
	s_mul_i32 s22, s25, s34
	s_addc_u32 s21, s21, s11
	s_add_i32 s11, s27, s26
	s_mul_i32 s10, s24, s34
	s_add_i32 s11, s11, s22
	v_lshlrev_b64 v[2:3], 2, v[2:3]
	s_lshl_b64 s[10:11], s[10:11], 2
	v_mov_b32_e32 v6, 0
	s_add_u32 s10, s20, s10
	s_addc_u32 s11, s21, s11
	v_add_co_u32 v2, vcc_lo, s10, v2
	v_add_co_ci_u32_e64 v3, null, s11, v3, vcc_lo
	v_cmp_eq_f32_e64 s10, s28, 0
	global_load_dword v2, v[2:3], off
	v_lshlrev_b32_e32 v3, 2, v0
	s_and_b32 vcc_lo, exec_lo, s10
	s_waitcnt vmcnt(0)
	ds_write_b32 v3, v2 offset:6144
	s_cbranch_vccnz .LBB66_22
; %bb.21:
	v_mad_u64_u32 v[2:3], null, s2, v0, 0
	v_mad_u64_u32 v[3:4], null, s3, v0, v[3:4]
	v_lshlrev_b64 v[2:3], 2, v[2:3]
	v_add_co_u32 v2, vcc_lo, s29, v2
	v_add_co_ci_u32_e64 v3, null, s30, v3, vcc_lo
	global_load_dword v2, v[2:3], off
	s_waitcnt vmcnt(0)
	v_mul_f32_e32 v6, s28, v2
.LBB66_22:
	s_or_b32 exec_lo, exec_lo, s9
.LBB66_23:
	s_or_b32 exec_lo, exec_lo, s8
	s_mul_i32 s9, s19, s7
	s_mul_hi_u32 s10, s18, s7
	v_mad_u64_u32 v[2:3], null, s16, v1, 0
	s_mul_i32 s8, s18, s7
	s_add_i32 s9, s10, s9
	v_lshlrev_b32_e32 v7, 2, v0
	s_lshl_b64 s[8:9], s[8:9], 2
	v_lshlrev_b32_e32 v8, 7, v1
	s_add_u32 s7, s12, s8
	s_addc_u32 s18, s13, s9
	s_lshl_b64 s[10:11], s[14:15], 2
	v_mad_u64_u32 v[3:4], null, s17, v1, v[3:4]
	s_add_u32 s7, s7, s10
	s_addc_u32 s15, s18, s11
	s_load_dword s14, s[4:5], 0x90
	s_add_u32 s4, s16, 1
	s_addc_u32 s5, s17, 0
	s_mul_i32 s18, s4, s35
	s_mul_hi_u32 s19, s4, s34
	s_mul_i32 s5, s5, s34
	s_add_i32 s18, s19, s18
	s_mul_i32 s4, s4, s34
	s_add_i32 s5, s18, s5
	v_lshlrev_b64 v[4:5], 2, v[2:3]
	s_lshl_b64 s[4:5], s[4:5], 2
	v_lshlrev_b32_e32 v10, 5, v1
	s_add_u32 s7, s7, s4
	s_addc_u32 s15, s15, s5
	v_add_nc_u32_e32 v8, v7, v8
	v_add_co_u32 v2, vcc_lo, s7, v4
	v_add_co_ci_u32_e64 v3, null, s15, v5, vcc_lo
	v_add_co_u32 v2, vcc_lo, v2, v7
	v_add_co_ci_u32_e64 v3, null, 0, v3, vcc_lo
	s_waitcnt lgkmcnt(0)
	s_add_i32 s7, s14, -1
	s_mov_b32 s14, -1
	s_cmp_eq_u32 s6, s7
	s_cbranch_scc1 .LBB66_25
; %bb.24:
	s_lshl_b64 s[14:15], s[16:17], 5
	v_add_co_u32 v11, vcc_lo, v2, s14
	v_add_co_ci_u32_e64 v12, null, s15, v3, vcc_lo
	v_add_co_u32 v13, vcc_lo, v11, s14
	v_add_co_ci_u32_e64 v14, null, s15, v12, vcc_lo
	v_add_co_u32 v15, vcc_lo, v13, s14
	v_add_co_ci_u32_e64 v16, null, s15, v14, vcc_lo
	s_clause 0x3
	global_load_dword v9, v[2:3], off
	global_load_dword v11, v[11:12], off
	;; [unrolled: 1-line block ×4, first 2 shown]
	s_mov_b32 s14, 0
	s_waitcnt vmcnt(2)
	ds_write2st64_b32 v8, v9, v11 offset1:4
	s_waitcnt vmcnt(0)
	ds_write2st64_b32 v8, v12, v13 offset0:8 offset1:12
.LBB66_25:
	v_add_nc_u32_e32 v9, v10, v0
	s_andn2_b32 vcc_lo, exec_lo, s14
	s_cbranch_vccnz .LBB66_35
; %bb.26:
	v_cmp_gt_i32_e32 vcc_lo, s31, v0
	v_mov_b32_e32 v11, 0
	s_nor_b32 s14, s1, vcc_lo
	ds_write2st64_b32 v8, v11, v11 offset1:4
	ds_write2st64_b32 v8, v11, v11 offset0:8 offset1:12
	s_and_saveexec_b32 s1, s14
; %bb.27:
	ds_write_b32 v7, v11 offset:6144
; %bb.28:
	s_or_b32 exec_lo, exec_lo, s1
	s_and_saveexec_b32 s1, vcc_lo
	s_cbranch_execz .LBB66_34
; %bb.29:
	s_cmp_lt_u32 s31, 8
	s_mov_b32 s14, 0
	s_cbranch_scc1 .LBB66_32
; %bb.30:
	s_lshr_b32 s14, s31, 3
	s_add_u32 s4, s4, s8
	s_addc_u32 s5, s5, s9
	s_add_u32 s4, s10, s4
	s_addc_u32 s5, s11, s5
	v_add_co_u32 v4, vcc_lo, s4, v4
	v_add_co_ci_u32_e64 v5, null, s5, v5, vcc_lo
	v_lshl_add_u32 v11, v10, 2, v7
	v_add_co_u32 v4, vcc_lo, v4, v7
	v_add_co_ci_u32_e64 v5, null, 0, v5, vcc_lo
	s_lshl_b64 s[4:5], s[16:17], 5
	v_add_co_u32 v4, vcc_lo, s12, v4
	v_add_co_ci_u32_e64 v5, null, s13, v5, vcc_lo
	s_mov_b32 s8, s14
.LBB66_31:                              ; =>This Inner Loop Header: Depth=1
	global_load_dword v12, v[4:5], off
	v_add_co_u32 v4, vcc_lo, v4, s4
	v_add_co_ci_u32_e64 v5, null, s5, v5, vcc_lo
	s_add_i32 s8, s8, -1
	s_cmp_lg_u32 s8, 0
	s_waitcnt vmcnt(0)
	ds_write_b32 v11, v12
	v_add_nc_u32_e32 v11, 0x400, v11
	s_cbranch_scc1 .LBB66_31
.LBB66_32:
	s_and_b32 s4, s31, 7
	v_cmp_gt_u32_e32 vcc_lo, s4, v1
	s_and_b32 exec_lo, exec_lo, vcc_lo
	s_cbranch_execz .LBB66_34
; %bb.33:
	s_lshl_b32 s4, s14, 3
	s_mul_i32 s5, s17, s4
	s_mul_hi_u32 s8, s16, s4
	s_mul_i32 s4, s16, s4
	s_add_i32 s5, s8, s5
	s_lshl_b64 s[4:5], s[4:5], 2
	v_add_co_u32 v2, vcc_lo, v2, s4
	v_add_co_ci_u32_e64 v3, null, s5, v3, vcc_lo
	global_load_dword v2, v[2:3], off
	v_lshlrev_b32_e32 v3, 2, v9
	v_lshl_add_u32 v3, s14, 10, v3
	s_waitcnt vmcnt(0)
	ds_write_b32 v3, v2
.LBB66_34:
	s_or_b32 exec_lo, exec_lo, s1
.LBB66_35:
	v_sub_nc_u32_e32 v2, v0, v1
	s_mov_b32 s1, exec_lo
	s_waitcnt lgkmcnt(0)
	s_waitcnt_vscnt null, 0x0
	s_barrier
	buffer_gl0_inv
	v_sub_nc_u32_e32 v3, 0, v2
	v_max_i32_e32 v3, v2, v3
	v_mad_u32_u24 v2, 0x7c, v0, v7
	v_lshl_add_u32 v2, v1, 2, v2
	v_cmpx_lt_u32_e32 16, v3
	s_cbranch_execz .LBB66_37
; %bb.36:
	ds_read_b32 v4, v2 offset:64
	s_waitcnt lgkmcnt(0)
	ds_write_b32 v8, v4 offset:2048
.LBB66_37:
	s_or_b32 exec_lo, exec_lo, s1
	s_mov_b32 s1, exec_lo
	v_cmpx_lt_u32_e32 24, v3
	s_cbranch_execz .LBB66_39
; %bb.38:
	ds_read_b32 v4, v2 offset:96
	s_waitcnt lgkmcnt(0)
	ds_write_b32 v8, v4 offset:3072
.LBB66_39:
	s_or_b32 exec_lo, exec_lo, s1
	s_mov_b32 s1, exec_lo
	v_cmpx_ge_u32_e64 v0, v1
	s_cbranch_execz .LBB66_41
; %bb.40:
	ds_read_b32 v4, v2
	v_lshl_add_u32 v5, v10, 2, v7
	s_waitcnt lgkmcnt(0)
	ds_write_b32 v5, v4
.LBB66_41:
	s_or_b32 exec_lo, exec_lo, s1
	v_lshl_add_u32 v4, v1, 7, 0x400
	v_cmp_lt_u32_e32 vcc_lo, 8, v3
	v_add_nc_u32_e32 v3, v7, v4
	s_and_saveexec_b32 s1, vcc_lo
	s_cbranch_execz .LBB66_43
; %bb.42:
	ds_read_b32 v2, v2 offset:32
	s_waitcnt lgkmcnt(0)
	ds_write_b32 v3, v2
.LBB66_43:
	s_or_b32 exec_lo, exec_lo, s1
	v_lshlrev_b32_e32 v2, 2, v1
	s_waitcnt lgkmcnt(0)
	s_barrier
	buffer_gl0_inv
	v_lshl_add_u32 v1, v1, 7, v7
	v_add_nc_u32_e32 v10, 0x1800, v2
	ds_read_b32 v8, v8
	ds_read2_b32 v[4:5], v10 offset1:8
	ds_read_b32 v3, v3
	ds_read2st64_b32 v[1:2], v1 offset0:8 offset1:12
	ds_read2_b32 v[10:11], v10 offset0:16 offset1:24
	s_waitcnt lgkmcnt(3)
	v_fma_f32 v4, v8, v4, 0
	s_waitcnt lgkmcnt(2)
	v_fmac_f32_e32 v4, v3, v5
	s_waitcnt lgkmcnt(0)
	v_fmac_f32_e32 v4, v1, v10
	v_lshlrev_b32_e32 v1, 2, v9
	v_fmac_f32_e32 v4, v2, v11
	ds_write_b32 v1, v4 offset:4096
	s_waitcnt lgkmcnt(0)
	s_barrier
	buffer_gl0_inv
	s_and_saveexec_b32 s1, s0
	s_cbranch_execz .LBB66_12
; %bb.44:
	v_cmp_gt_i32_e32 vcc_lo, s31, v0
	s_cmp_lt_u32 s6, s7
	s_cselect_b32 s0, -1, 0
	s_or_b32 s0, vcc_lo, s0
	s_and_b32 exec_lo, exec_lo, s0
	s_cbranch_execz .LBB66_12
; %bb.45:
	v_add_nc_u32_e32 v5, 0x1000, v7
	v_cmp_neq_f32_e64 vcc_lo, s28, 0
	ds_read2_b32 v[1:2], v5 offset1:32
	ds_read2_b32 v[3:4], v5 offset0:64 offset1:96
	ds_read2_b32 v[7:8], v5 offset0:128 offset1:160
	s_waitcnt lgkmcnt(2)
	v_add_f32_e32 v1, 0, v1
	v_add_f32_e32 v1, v1, v2
	s_waitcnt lgkmcnt(1)
	v_add_f32_e32 v3, v1, v3
	ds_read2_b32 v[1:2], v5 offset0:192 offset1:224
	v_add_f32_e32 v5, v3, v4
	v_mad_u64_u32 v[3:4], null, s2, v0, 0
	s_waitcnt lgkmcnt(1)
	v_add_f32_e32 v5, v5, v7
	v_add_f32_e32 v7, v5, v8
	v_mad_u64_u32 v[4:5], null, s3, v0, v[4:5]
	s_waitcnt lgkmcnt(0)
	v_add_f32_e32 v0, v7, v1
	v_add_f32_e32 v0, v0, v2
	v_mul_f32_e32 v2, s33, v0
	v_fmac_f32_e32 v6, s33, v0
	v_lshlrev_b64 v[0:1], 2, v[3:4]
	v_cndmask_b32_e32 v2, v2, v6, vcc_lo
	v_add_co_u32 v0, vcc_lo, s29, v0
	v_add_co_ci_u32_e64 v1, null, s30, v1, vcc_lo
	global_store_dword v[0:1], v2, off
	s_endpgm
	.section	.rodata,"a",@progbits
	.p2align	6, 0x0
	.amdhsa_kernel _ZL58rocblas_symv_kernel_upper_double_buffered_diagonal_genericILi32ELi8E24rocblas_internal_val_ptrIfEPKfPfEvbiT1_lT2_lllS6_lllS5_lT3_lllii
		.amdhsa_group_segment_fixed_size 6272
		.amdhsa_private_segment_fixed_size 0
		.amdhsa_kernarg_size 400
		.amdhsa_user_sgpr_count 6
		.amdhsa_user_sgpr_private_segment_buffer 1
		.amdhsa_user_sgpr_dispatch_ptr 0
		.amdhsa_user_sgpr_queue_ptr 0
		.amdhsa_user_sgpr_kernarg_segment_ptr 1
		.amdhsa_user_sgpr_dispatch_id 0
		.amdhsa_user_sgpr_flat_scratch_init 0
		.amdhsa_user_sgpr_private_segment_size 0
		.amdhsa_wavefront_size32 1
		.amdhsa_uses_dynamic_stack 0
		.amdhsa_system_sgpr_private_segment_wavefront_offset 0
		.amdhsa_system_sgpr_workgroup_id_x 1
		.amdhsa_system_sgpr_workgroup_id_y 0
		.amdhsa_system_sgpr_workgroup_id_z 1
		.amdhsa_system_sgpr_workgroup_info 0
		.amdhsa_system_vgpr_workitem_id 1
		.amdhsa_next_free_vgpr 17
		.amdhsa_next_free_sgpr 36
		.amdhsa_reserve_vcc 1
		.amdhsa_reserve_flat_scratch 0
		.amdhsa_float_round_mode_32 0
		.amdhsa_float_round_mode_16_64 0
		.amdhsa_float_denorm_mode_32 3
		.amdhsa_float_denorm_mode_16_64 3
		.amdhsa_dx10_clamp 1
		.amdhsa_ieee_mode 1
		.amdhsa_fp16_overflow 0
		.amdhsa_workgroup_processor_mode 1
		.amdhsa_memory_ordered 1
		.amdhsa_forward_progress 1
		.amdhsa_shared_vgpr_count 0
		.amdhsa_exception_fp_ieee_invalid_op 0
		.amdhsa_exception_fp_denorm_src 0
		.amdhsa_exception_fp_ieee_div_zero 0
		.amdhsa_exception_fp_ieee_overflow 0
		.amdhsa_exception_fp_ieee_underflow 0
		.amdhsa_exception_fp_ieee_inexact 0
		.amdhsa_exception_int_div_zero 0
	.end_amdhsa_kernel
	.section	.text._ZL58rocblas_symv_kernel_upper_double_buffered_diagonal_genericILi32ELi8E24rocblas_internal_val_ptrIfEPKfPfEvbiT1_lT2_lllS6_lllS5_lT3_lllii,"axG",@progbits,_ZL58rocblas_symv_kernel_upper_double_buffered_diagonal_genericILi32ELi8E24rocblas_internal_val_ptrIfEPKfPfEvbiT1_lT2_lllS6_lllS5_lT3_lllii,comdat
.Lfunc_end66:
	.size	_ZL58rocblas_symv_kernel_upper_double_buffered_diagonal_genericILi32ELi8E24rocblas_internal_val_ptrIfEPKfPfEvbiT1_lT2_lllS6_lllS5_lT3_lllii, .Lfunc_end66-_ZL58rocblas_symv_kernel_upper_double_buffered_diagonal_genericILi32ELi8E24rocblas_internal_val_ptrIfEPKfPfEvbiT1_lT2_lllS6_lllS5_lT3_lllii
                                        ; -- End function
	.set _ZL58rocblas_symv_kernel_upper_double_buffered_diagonal_genericILi32ELi8E24rocblas_internal_val_ptrIfEPKfPfEvbiT1_lT2_lllS6_lllS5_lT3_lllii.num_vgpr, 17
	.set _ZL58rocblas_symv_kernel_upper_double_buffered_diagonal_genericILi32ELi8E24rocblas_internal_val_ptrIfEPKfPfEvbiT1_lT2_lllS6_lllS5_lT3_lllii.num_agpr, 0
	.set _ZL58rocblas_symv_kernel_upper_double_buffered_diagonal_genericILi32ELi8E24rocblas_internal_val_ptrIfEPKfPfEvbiT1_lT2_lllS6_lllS5_lT3_lllii.numbered_sgpr, 36
	.set _ZL58rocblas_symv_kernel_upper_double_buffered_diagonal_genericILi32ELi8E24rocblas_internal_val_ptrIfEPKfPfEvbiT1_lT2_lllS6_lllS5_lT3_lllii.num_named_barrier, 0
	.set _ZL58rocblas_symv_kernel_upper_double_buffered_diagonal_genericILi32ELi8E24rocblas_internal_val_ptrIfEPKfPfEvbiT1_lT2_lllS6_lllS5_lT3_lllii.private_seg_size, 0
	.set _ZL58rocblas_symv_kernel_upper_double_buffered_diagonal_genericILi32ELi8E24rocblas_internal_val_ptrIfEPKfPfEvbiT1_lT2_lllS6_lllS5_lT3_lllii.uses_vcc, 1
	.set _ZL58rocblas_symv_kernel_upper_double_buffered_diagonal_genericILi32ELi8E24rocblas_internal_val_ptrIfEPKfPfEvbiT1_lT2_lllS6_lllS5_lT3_lllii.uses_flat_scratch, 0
	.set _ZL58rocblas_symv_kernel_upper_double_buffered_diagonal_genericILi32ELi8E24rocblas_internal_val_ptrIfEPKfPfEvbiT1_lT2_lllS6_lllS5_lT3_lllii.has_dyn_sized_stack, 0
	.set _ZL58rocblas_symv_kernel_upper_double_buffered_diagonal_genericILi32ELi8E24rocblas_internal_val_ptrIfEPKfPfEvbiT1_lT2_lllS6_lllS5_lT3_lllii.has_recursion, 0
	.set _ZL58rocblas_symv_kernel_upper_double_buffered_diagonal_genericILi32ELi8E24rocblas_internal_val_ptrIfEPKfPfEvbiT1_lT2_lllS6_lllS5_lT3_lllii.has_indirect_call, 0
	.section	.AMDGPU.csdata,"",@progbits
; Kernel info:
; codeLenInByte = 2012
; TotalNumSgprs: 38
; NumVgprs: 17
; ScratchSize: 0
; MemoryBound: 0
; FloatMode: 240
; IeeeMode: 1
; LDSByteSize: 6272 bytes/workgroup (compile time only)
; SGPRBlocks: 0
; VGPRBlocks: 2
; NumSGPRsForWavesPerEU: 38
; NumVGPRsForWavesPerEU: 17
; Occupancy: 16
; WaveLimiterHint : 0
; COMPUTE_PGM_RSRC2:SCRATCH_EN: 0
; COMPUTE_PGM_RSRC2:USER_SGPR: 6
; COMPUTE_PGM_RSRC2:TRAP_HANDLER: 0
; COMPUTE_PGM_RSRC2:TGID_X_EN: 1
; COMPUTE_PGM_RSRC2:TGID_Y_EN: 0
; COMPUTE_PGM_RSRC2:TGID_Z_EN: 1
; COMPUTE_PGM_RSRC2:TIDIG_COMP_CNT: 1
	.section	.text._ZL62rocblas_symv_kernel_upper_double_buffered_non_diagonal_genericILi32ELi8ELi2ELi0E24rocblas_internal_val_ptrIfEPKfPfEvbiT3_lT4_lllS6_lllT5_lllii,"axG",@progbits,_ZL62rocblas_symv_kernel_upper_double_buffered_non_diagonal_genericILi32ELi8ELi2ELi0E24rocblas_internal_val_ptrIfEPKfPfEvbiT3_lT4_lllS6_lllT5_lllii,comdat
	.globl	_ZL62rocblas_symv_kernel_upper_double_buffered_non_diagonal_genericILi32ELi8ELi2ELi0E24rocblas_internal_val_ptrIfEPKfPfEvbiT3_lT4_lllS6_lllT5_lllii ; -- Begin function _ZL62rocblas_symv_kernel_upper_double_buffered_non_diagonal_genericILi32ELi8ELi2ELi0E24rocblas_internal_val_ptrIfEPKfPfEvbiT3_lT4_lllS6_lllT5_lllii
	.p2align	8
	.type	_ZL62rocblas_symv_kernel_upper_double_buffered_non_diagonal_genericILi32ELi8ELi2ELi0E24rocblas_internal_val_ptrIfEPKfPfEvbiT3_lT4_lllS6_lllT5_lllii,@function
_ZL62rocblas_symv_kernel_upper_double_buffered_non_diagonal_genericILi32ELi8ELi2ELi0E24rocblas_internal_val_ptrIfEPKfPfEvbiT3_lT4_lllS6_lllT5_lllii: ; @_ZL62rocblas_symv_kernel_upper_double_buffered_non_diagonal_genericILi32ELi8ELi2ELi0E24rocblas_internal_val_ptrIfEPKfPfEvbiT3_lT4_lllS6_lllT5_lllii
; %bb.0:
	s_clause 0x1
	s_load_dword s0, s[4:5], 0x0
	s_load_dwordx16 s[12:27], s[4:5], 0x8
	s_waitcnt lgkmcnt(0)
	s_bitcmp0_b32 s0, 0
	s_mov_b32 s0, 0
	s_cbranch_scc0 .LBB67_2
; %bb.1:
	s_mul_i32 s1, s15, s8
	s_mul_hi_u32 s2, s14, s8
	s_add_i32 s3, s2, s1
	s_mul_i32 s2, s14, s8
	s_lshl_b64 s[2:3], s[2:3], 2
	s_add_u32 s2, s12, s2
	s_addc_u32 s3, s13, s3
	s_load_dword s33, s[2:3], 0x0
	s_andn2_b32 vcc_lo, exec_lo, s0
	s_cbranch_vccz .LBB67_3
	s_branch .LBB67_4
.LBB67_2:
                                        ; implicit-def: $sgpr33
.LBB67_3:
	s_waitcnt lgkmcnt(0)
	s_mov_b32 s33, s12
.LBB67_4:
	s_waitcnt lgkmcnt(0)
	v_cmp_eq_f32_e64 s0, s33, 0
	s_and_b32 vcc_lo, exec_lo, s0
	s_cbranch_vccnz .LBB67_47
; %bb.5:
	s_load_dword s2, s[4:5], 0x84
	s_add_u32 s0, s4, 0x80
	s_addc_u32 s1, s5, 0
	s_cmp_eq_u32 s6, 0
	s_waitcnt lgkmcnt(0)
	v_cvt_f32_u32_e32 v2, s2
	v_rcp_iflag_f32_e32 v2, v2
	v_mul_f32_e32 v2, 0x4f7ffffe, v2
	v_cvt_u32_f32_e32 v2, v2
	v_readfirstlane_b32 s3, v2
	s_cbranch_scc1 .LBB67_47
; %bb.6:
	s_sub_i32 s9, 0, s2
	s_mul_i32 s9, s9, s3
	s_mul_hi_u32 s9, s3, s9
	s_add_i32 s3, s3, s9
	s_mul_hi_u32 s3, s6, s3
	s_mul_i32 s9, s3, s2
	s_add_i32 s10, s3, 1
	s_sub_i32 s9, s6, s9
	s_sub_i32 s11, s9, s2
	s_cmp_ge_u32 s9, s2
	s_cselect_b32 s3, s10, s3
	s_cselect_b32 s9, s11, s9
	s_add_i32 s10, s3, 1
	s_cmp_ge_u32 s9, s2
	s_cselect_b32 s10, s10, s3
	s_add_i32 s3, s2, -1
	s_mov_b32 s35, s10
	s_cmp_lg_u32 s7, s3
	s_cbranch_scc1 .LBB67_8
; %bb.7:
	s_mul_i32 s2, s10, s2
	s_sub_i32 s2, s6, s2
	s_add_i32 s35, s2, s10
.LBB67_8:
	s_cmp_eq_u32 s35, 0
	s_cbranch_scc1 .LBB67_47
; %bb.9:
	s_clause 0x1
	s_load_dwordx4 s[28:31], s[4:5], 0x48
	s_load_dword s34, s[4:5], 0x78
	s_load_dword s12, s[0:1], 0x0
	v_lshl_add_u32 v3, v1, 5, v0
	v_and_b32_e32 v2, 15, v0
	s_mov_b32 s14, -1
	v_lshrrev_b32_e32 v8, 4, v3
	s_waitcnt lgkmcnt(0)
	s_mul_i32 s3, s31, s8
	s_mul_hi_u32 s9, s30, s8
	s_mul_i32 s2, s30, s8
	s_add_i32 s3, s9, s3
	s_lshl_b64 s[2:3], s[2:3], 2
	s_add_u32 s2, s24, s2
	s_addc_u32 s3, s25, s3
	s_lshl_b64 s[0:1], s[26:27], 2
	s_add_u32 s9, s2, s0
	s_addc_u32 s26, s3, s1
	s_lshl_b32 s1, s6, 5
	s_ashr_i32 s24, s1, 31
	s_mul_hi_u32 s0, s28, s1
	s_mul_i32 s2, s28, s24
	s_mul_i32 s3, s29, s1
	s_add_i32 s0, s0, s2
	s_mul_i32 s2, s28, s1
	s_add_i32 s3, s0, s3
	v_cmp_eq_u32_e64 s0, 0, v1
	s_lshl_b64 s[2:3], s[2:3], 2
	s_add_u32 s11, s9, s2
	s_addc_u32 s13, s26, s3
	s_add_i32 s25, s12, -1
	s_cmp_lg_u32 s6, s25
	s_cselect_b32 s12, -1, 0
	s_and_b32 vcc_lo, exec_lo, s12
	s_cbranch_vccnz .LBB67_15
; %bb.10:
	s_and_saveexec_b32 s2, s0
	s_cbranch_execz .LBB67_14
; %bb.11:
	v_mov_b32_e32 v1, 0
	s_mov_b32 s3, exec_lo
	v_cmpx_gt_i32_e64 s34, v0
	s_cbranch_execz .LBB67_13
; %bb.12:
	v_mad_u64_u32 v[3:4], null, s28, v0, 0
	v_mov_b32_e32 v1, v4
	v_mad_u64_u32 v[4:5], null, s29, v0, v[1:2]
	v_lshlrev_b64 v[3:4], 2, v[3:4]
	v_add_co_u32 v3, vcc_lo, s11, v3
	v_add_co_ci_u32_e64 v4, null, s13, v4, vcc_lo
	global_load_dword v1, v[3:4], off
.LBB67_13:
	s_or_b32 exec_lo, exec_lo, s3
	v_lshlrev_b32_e32 v3, 2, v0
	s_waitcnt vmcnt(0)
	ds_write_b32 v3, v1 offset:4096
.LBB67_14:
	s_or_b32 exec_lo, exec_lo, s2
	v_lshlrev_b32_e32 v1, 2, v2
	v_mov_b32_e32 v3, 0
	s_mov_b32 s14, 0
	v_lshl_or_b32 v1, v8, 7, v1
	v_add_nc_u32_e32 v4, 0x800, v1
	ds_write2_b32 v1, v3, v3 offset1:16
	ds_write2_b32 v4, v3, v3 offset1:16
.LBB67_15:
	s_load_dwordx2 s[2:3], s[4:5], 0x58
	s_and_b32 vcc_lo, exec_lo, s14
	s_cbranch_vccz .LBB67_19
; %bb.16:
	s_and_saveexec_b32 s14, s0
	s_cbranch_execz .LBB67_18
; %bb.17:
	v_mad_u64_u32 v[3:4], null, s28, v0, 0
	v_mov_b32_e32 v1, v4
	v_mad_u64_u32 v[4:5], null, s29, v0, v[1:2]
	v_lshlrev_b64 v[3:4], 2, v[3:4]
	v_add_co_u32 v3, vcc_lo, s11, v3
	v_add_co_ci_u32_e64 v4, null, s13, v4, vcc_lo
	global_load_dword v1, v[3:4], off
	v_lshlrev_b32_e32 v3, 2, v0
	s_waitcnt vmcnt(0)
	ds_write_b32 v3, v1 offset:4096
.LBB67_18:
	s_or_b32 exec_lo, exec_lo, s14
.LBB67_19:
	v_lshlrev_b32_e32 v9, 1, v8
	v_mov_b32_e32 v3, 0
	s_mul_i32 s11, s23, s8
	s_mul_hi_u32 s13, s22, s8
	s_lshr_b32 s23, s34, 31
	s_add_i32 s15, s13, s11
	v_mad_u64_u32 v[4:5], null, s20, v9, v[2:3]
	s_mul_i32 s14, s22, s8
	s_add_i32 s11, s34, s23
	s_lshl_b64 s[14:15], s[14:15], 2
	s_ashr_i32 s13, s11, 1
	s_add_u32 s11, s16, s14
	s_addc_u32 s16, s17, s15
	s_lshl_b64 s[14:15], s[18:19], 2
	v_mov_b32_e32 v1, v5
	s_add_u32 s11, s11, s14
	s_mul_i32 s14, s20, s24
	s_mul_hi_u32 s17, s20, s1
	s_addc_u32 s16, s16, s15
	s_add_i32 s14, s17, s14
	s_mul_i32 s15, s21, s1
	v_mad_u64_u32 v[5:6], null, s21, v9, v[1:2]
	s_add_i32 s15, s14, s15
	s_mul_i32 s14, s20, s1
	s_mul_i32 s7, s7, s10
	s_lshl_b64 s[14:15], s[14:15], 2
	v_cmp_gt_i32_e32 vcc_lo, s13, v8
	s_add_u32 s17, s11, s14
	s_addc_u32 s18, s16, s15
	s_lshl_b32 s10, s7, 5
	v_lshlrev_b64 v[4:5], 2, v[4:5]
	s_ashr_i32 s11, s10, 31
	v_mov_b32_e32 v6, v3
	s_lshl_b64 s[14:15], s[10:11], 2
	v_mov_b32_e32 v7, v3
	s_add_u32 s16, s17, s14
	s_addc_u32 s17, s18, s15
	s_or_b32 s18, s12, vcc_lo
	s_waitcnt lgkmcnt(0)
	s_barrier
	buffer_gl0_inv
	s_and_saveexec_b32 s7, s18
	s_cbranch_execz .LBB67_21
; %bb.20:
	v_add_co_u32 v6, vcc_lo, s16, v4
	v_add_co_ci_u32_e64 v7, null, s17, v5, vcc_lo
	s_lshl_b64 s[12:13], s[20:21], 2
	v_add_co_u32 v10, vcc_lo, v6, s12
	v_add_co_ci_u32_e64 v11, null, s13, v7, vcc_lo
	s_clause 0x1
	global_load_dword v6, v[6:7], off
	global_load_dword v7, v[10:11], off
.LBB67_21:
	s_or_b32 exec_lo, exec_lo, s7
	s_clause 0x1
	s_load_dwordx2 s[22:23], s[4:5], 0x70
	s_load_dwordx4 s[12:15], s[4:5], 0x60
	v_lshlrev_b32_e32 v1, 7, v8
	s_waitcnt lgkmcnt(0)
	s_mul_i32 s5, s23, s8
	s_mul_hi_u32 s7, s22, s8
	s_mul_i32 s4, s22, s8
	s_add_i32 s5, s7, s5
	s_lshl_b64 s[4:5], s[4:5], 2
	s_add_u32 s4, s2, s4
	s_addc_u32 s5, s3, s5
	s_lshl_b64 s[2:3], s[12:13], 2
	s_add_u32 s7, s4, s2
	s_addc_u32 s12, s5, s3
	s_cmp_gt_i32 s35, 0
	s_cbranch_scc1 .LBB67_23
; %bb.22:
	v_lshlrev_b32_e32 v3, 7, v8
	v_mov_b32_e32 v23, 0
	v_mov_b32_e32 v22, 0
	s_cbranch_execz .LBB67_24
	s_branch .LBB67_43
.LBB67_23:
                                        ; implicit-def: $vgpr3
	v_mov_b32_e32 v23, 0
	v_mov_b32_e32 v22, 0
.LBB67_24:
	v_mad_u64_u32 v[10:11], null, s28, v2, 0
	s_mul_i32 s2, s28, s11
	s_mul_hi_u32 s3, s28, s10
	s_mul_i32 s4, s29, s10
	s_add_i32 s3, s3, s2
	s_mul_i32 s2, s28, s10
	s_add_i32 s3, s3, s4
	v_mov_b32_e32 v3, v11
	s_lshl_b64 s[2:3], s[2:3], 2
	v_mad_u64_u32 v[16:17], null, s14, v0, 0
	s_add_u32 s13, s9, s2
	v_mad_u64_u32 v[11:12], null, s29, v2, v[3:4]
	s_addc_u32 s19, s26, s3
	s_mul_i32 s2, s14, s11
	s_mul_hi_u32 s3, s14, s10
	v_mov_b32_e32 v8, v17
	s_add_i32 s2, s3, s2
	s_mul_i32 s3, s15, s10
	v_lshlrev_b64 v[12:13], 2, v[10:11]
	s_add_i32 s3, s2, s3
	v_mad_u64_u32 v[17:18], null, s15, v0, v[8:9]
	s_mul_i32 s2, s14, s10
	v_lshl_add_u32 v27, v9, 2, 0x1000
	v_add_co_u32 v10, vcc_lo, s13, v12
	v_add_co_ci_u32_e64 v11, null, s19, v13, vcc_lo
	s_lshl_b64 s[2:3], s[2:3], 2
	v_lshlrev_b64 v[8:9], 2, v[16:17]
	v_lshlrev_b32_e32 v25, 2, v0
	global_load_dword v28, v[10:11], off
	v_or_b32_e32 v10, 16, v2
	v_mov_b32_e32 v24, 0
	s_add_u32 s8, s7, s2
	s_addc_u32 s9, s12, s3
	s_cmp_eq_u32 s35, 1
	v_mad_u64_u32 v[14:15], null, s28, v10, 0
	v_mov_b32_e32 v3, v15
	v_mad_u64_u32 v[10:11], null, s29, v10, v[3:4]
	v_lshlrev_b32_e32 v3, 2, v2
	v_add_nc_u32_e32 v3, v3, v1
	v_mov_b32_e32 v15, v10
	v_lshlrev_b64 v[14:15], 2, v[14:15]
	s_cbranch_scc1 .LBB67_36
; %bb.25:
	v_mov_b32_e32 v11, s9
	v_mov_b32_e32 v22, 0
	;; [unrolled: 1-line block ×3, first 2 shown]
	v_add_nc_u32_e32 v29, 0x400, v25
	v_mov_b32_e32 v23, 0
	v_mov_b32_e32 v26, 0
	;; [unrolled: 1-line block ×3, first 2 shown]
	s_lshl_b64 s[2:3], s[28:29], 7
	s_lshl_b64 s[4:5], s[14:15], 7
	s_add_i32 s10, s35, -2
	s_mov_b32 s11, 0
	s_lshl_b64 s[8:9], s[20:21], 2
.LBB67_26:                              ; =>This Loop Header: Depth=1
                                        ;     Child Loop BB67_32 Depth 2
	v_add_co_u32 v16, vcc_lo, s13, v14
	v_add_co_ci_u32_e64 v17, null, s19, v15, vcc_lo
	global_load_dword v31, v[16:17], off
	s_and_saveexec_b32 s22, s18
	s_cbranch_execz .LBB67_28
; %bb.27:                               ;   in Loop: Header=BB67_26 Depth=1
	v_add_co_u32 v16, vcc_lo, s16, v4
	v_add_co_ci_u32_e64 v17, null, s17, v5, vcc_lo
	v_add_co_u32 v18, vcc_lo, v16, s8
	v_add_co_ci_u32_e64 v19, null, s9, v17, vcc_lo
	s_clause 0x1
	global_load_dword v26, v[16:17], off offset:64
	global_load_dword v24, v[18:19], off offset:64
.LBB67_28:                              ;   in Loop: Header=BB67_26 Depth=1
	s_or_b32 exec_lo, exec_lo, s22
	ds_read_b64 v[18:19], v27
	s_waitcnt vmcnt(2)
	v_mov_b32_e32 v17, v7
	v_mov_b32_e32 v16, v6
	s_and_saveexec_b32 s22, s18
	s_cbranch_execz .LBB67_30
; %bb.29:                               ;   in Loop: Header=BB67_26 Depth=1
	v_add_co_u32 v16, vcc_lo, s16, v4
	v_add_co_ci_u32_e64 v17, null, s17, v5, vcc_lo
	v_add_co_u32 v20, vcc_lo, v16, s8
	v_add_co_ci_u32_e64 v21, null, s9, v17, vcc_lo
	s_clause 0x1
	global_load_dword v16, v[16:17], off offset:128
	global_load_dword v17, v[20:21], off offset:128
.LBB67_30:                              ;   in Loop: Header=BB67_26 Depth=1
	s_or_b32 exec_lo, exec_lo, s22
	s_add_u32 s13, s13, s2
	s_addc_u32 s19, s19, s3
	v_add_co_u32 v20, vcc_lo, s13, v12
	v_add_co_ci_u32_e64 v21, null, s19, v13, vcc_lo
	global_load_dword v30, v[20:21], off
	s_waitcnt lgkmcnt(0)
	v_fma_f32 v20, v6, v18, 0
	s_waitcnt vmcnt(2)
	v_fma_f32 v18, v26, v18, 0
	s_waitcnt vmcnt(0)
	s_barrier
	buffer_gl0_inv
	v_fmac_f32_e32 v20, v7, v19
	v_fmac_f32_e32 v18, v24, v19
	ds_write2_b32 v3, v20, v18 offset1:16
	s_waitcnt lgkmcnt(0)
	s_barrier
	buffer_gl0_inv
	s_and_saveexec_b32 s22, s0
	s_cbranch_execz .LBB67_34
; %bb.31:                               ;   in Loop: Header=BB67_26 Depth=1
	v_add_co_u32 v18, vcc_lo, v10, v8
	v_add_co_ci_u32_e64 v19, null, v11, v9, vcc_lo
	s_mov_b32 s23, 0
	global_load_dword v21, v[18:19], off
	ds_read2_b32 v[32:33], v25 offset1:32
	ds_read2_b32 v[34:35], v25 offset0:64 offset1:96
	ds_read2_b32 v[36:37], v25 offset0:128 offset1:160
	s_waitcnt lgkmcnt(2)
	v_add_f32_e32 v20, 0, v32
	v_add_f32_e32 v20, v20, v33
	ds_read2_b32 v[32:33], v25 offset0:192 offset1:224
	s_waitcnt lgkmcnt(2)
	v_add_f32_e32 v20, v20, v34
	v_add_f32_e32 v20, v20, v35
	ds_read2_b32 v[34:35], v29 offset1:32
	s_waitcnt lgkmcnt(2)
	v_add_f32_e32 v20, v20, v36
	v_add_f32_e32 v20, v20, v37
	ds_read2_b32 v[36:37], v29 offset0:64 offset1:96
	s_waitcnt lgkmcnt(2)
	v_add_f32_e32 v20, v20, v32
	v_add_f32_e32 v20, v20, v33
	ds_read2_b32 v[32:33], v29 offset0:128 offset1:160
	;; [unrolled: 4-line block ×3, first 2 shown]
	s_waitcnt lgkmcnt(2)
	v_add_f32_e32 v20, v20, v36
	v_add_f32_e32 v20, v20, v37
	s_waitcnt lgkmcnt(1)
	v_add_f32_e32 v20, v20, v32
	v_add_f32_e32 v20, v20, v33
	;; [unrolled: 3-line block ×3, first 2 shown]
	v_mul_f32_e32 v32, s33, v20
.LBB67_32:                              ;   Parent Loop BB67_26 Depth=1
                                        ; =>  This Inner Loop Header: Depth=2
	s_waitcnt vmcnt(0)
	v_add_f32_e32 v20, v21, v32
	global_atomic_cmpswap v20, v[18:19], v[20:21], off glc
	s_waitcnt vmcnt(0)
	v_cmp_eq_u32_e32 vcc_lo, v20, v21
	v_mov_b32_e32 v21, v20
	s_or_b32 s23, vcc_lo, s23
	s_andn2_b32 exec_lo, exec_lo, s23
	s_cbranch_execnz .LBB67_32
; %bb.33:                               ;   in Loop: Header=BB67_26 Depth=1
	s_or_b32 exec_lo, exec_lo, s23
	v_add_co_u32 v10, vcc_lo, v10, s4
	v_add_co_ci_u32_e64 v11, null, s5, v11, vcc_lo
.LBB67_34:                              ;   in Loop: Header=BB67_26 Depth=1
	s_or_b32 exec_lo, exec_lo, s22
	v_fmac_f32_e32 v22, v28, v6
	v_fmac_f32_e32 v23, v28, v7
	s_add_u32 s16, s16, 0x80
	s_addc_u32 s17, s17, 0
	s_add_i32 s22, s11, 1
	v_fmac_f32_e32 v22, v31, v26
	v_fmac_f32_e32 v23, v31, v24
	s_cmp_eq_u32 s11, s10
	s_cbranch_scc1 .LBB67_37
; %bb.35:                               ;   in Loop: Header=BB67_26 Depth=1
	v_mov_b32_e32 v6, v16
	v_mov_b32_e32 v28, v30
	;; [unrolled: 1-line block ×3, first 2 shown]
	s_mov_b32 s11, s22
	s_branch .LBB67_26
.LBB67_36:
	v_mov_b32_e32 v11, s9
	s_waitcnt vmcnt(1)
	v_mov_b32_e32 v17, v7
	v_mov_b32_e32 v10, s8
	;; [unrolled: 1-line block ×6, first 2 shown]
	s_waitcnt vmcnt(0)
	v_mov_b32_e32 v30, v28
.LBB67_37:
	v_add_co_u32 v6, vcc_lo, s13, v14
	v_add_co_ci_u32_e64 v7, null, s19, v15, vcc_lo
	global_load_dword v7, v[6:7], off
	s_and_saveexec_b32 s2, s18
	s_cbranch_execz .LBB67_39
; %bb.38:
	v_add_co_u32 v4, vcc_lo, s16, v4
	v_add_co_ci_u32_e64 v5, null, s17, v5, vcc_lo
	s_lshl_b64 s[4:5], s[20:21], 2
	v_add_co_u32 v12, vcc_lo, v4, s4
	v_add_co_ci_u32_e64 v13, null, s5, v5, vcc_lo
	s_clause 0x1
	global_load_dword v26, v[4:5], off offset:64
	global_load_dword v24, v[12:13], off offset:64
.LBB67_39:
	s_or_b32 exec_lo, exec_lo, s2
	ds_read_b64 v[4:5], v27
	v_fmac_f32_e32 v22, v30, v16
	v_fmac_f32_e32 v23, v30, v17
	s_waitcnt vmcnt(0) lgkmcnt(0)
	s_barrier
	buffer_gl0_inv
	v_fma_f32 v6, v16, v4, 0
	v_fma_f32 v4, v26, v4, 0
	v_fmac_f32_e32 v6, v17, v5
	v_fmac_f32_e32 v4, v24, v5
	ds_write2_b32 v3, v6, v4 offset1:16
	s_waitcnt lgkmcnt(0)
	s_barrier
	buffer_gl0_inv
	s_and_saveexec_b32 s2, s0
	s_cbranch_execz .LBB67_42
; %bb.40:
	v_add_co_u32 v3, vcc_lo, v10, v8
	v_add_co_ci_u32_e64 v4, null, v11, v9, vcc_lo
	v_add_nc_u32_e32 v14, 0x400, v25
	s_mov_b32 s3, 0
	global_load_dword v6, v[3:4], off
	ds_read2_b32 v[8:9], v25 offset1:32
	ds_read2_b32 v[10:11], v25 offset0:64 offset1:96
	ds_read2_b32 v[12:13], v25 offset0:128 offset1:160
	s_waitcnt lgkmcnt(2)
	v_add_f32_e32 v5, 0, v8
	v_add_f32_e32 v5, v5, v9
	ds_read2_b32 v[8:9], v25 offset0:192 offset1:224
	s_waitcnt lgkmcnt(2)
	v_add_f32_e32 v5, v5, v10
	v_add_f32_e32 v5, v5, v11
	ds_read2_b32 v[10:11], v14 offset1:32
	s_waitcnt lgkmcnt(2)
	v_add_f32_e32 v5, v5, v12
	v_add_f32_e32 v5, v5, v13
	ds_read2_b32 v[12:13], v14 offset0:64 offset1:96
	s_waitcnt lgkmcnt(2)
	v_add_f32_e32 v5, v5, v8
	v_add_f32_e32 v5, v5, v9
	ds_read2_b32 v[8:9], v14 offset0:128 offset1:160
	s_waitcnt lgkmcnt(2)
	v_add_f32_e32 v5, v5, v10
	v_add_f32_e32 v5, v5, v11
	ds_read2_b32 v[10:11], v14 offset0:192 offset1:224
	s_waitcnt lgkmcnt(2)
	v_add_f32_e32 v5, v5, v12
	v_add_f32_e32 v5, v5, v13
	s_waitcnt lgkmcnt(1)
	v_add_f32_e32 v5, v5, v8
	v_add_f32_e32 v5, v5, v9
	;; [unrolled: 3-line block ×3, first 2 shown]
	v_mul_f32_e32 v8, s33, v5
.LBB67_41:                              ; =>This Inner Loop Header: Depth=1
	s_waitcnt vmcnt(0)
	v_add_f32_e32 v5, v6, v8
	global_atomic_cmpswap v5, v[3:4], v[5:6], off glc
	s_waitcnt vmcnt(0)
	v_cmp_eq_u32_e32 vcc_lo, v5, v6
	v_mov_b32_e32 v6, v5
	s_or_b32 s3, vcc_lo, s3
	s_andn2_b32 exec_lo, exec_lo, s3
	s_cbranch_execnz .LBB67_41
.LBB67_42:
	s_or_b32 exec_lo, exec_lo, s2
	v_fmac_f32_e32 v22, v7, v26
	v_fmac_f32_e32 v23, v7, v24
	v_mov_b32_e32 v3, v1
.LBB67_43:
	v_lshl_add_u32 v1, v2, 2, v3
	v_add_nc_u32_e32 v1, 0x800, v1
	ds_write2_b32 v1, v22, v23 offset1:16
	s_waitcnt vmcnt(0) lgkmcnt(0)
	s_barrier
	buffer_gl0_inv
	s_and_saveexec_b32 s2, s0
	s_cbranch_execz .LBB67_47
; %bb.44:
	v_cmp_gt_i32_e32 vcc_lo, s34, v0
	s_cmp_lt_u32 s6, s25
	s_cselect_b32 s0, -1, 0
	s_or_b32 s0, vcc_lo, s0
	s_and_b32 exec_lo, exec_lo, s0
	s_cbranch_execz .LBB67_47
; %bb.45:
	v_mad_u64_u32 v[3:4], null, s14, v0, 0
	s_mul_i32 s0, s14, s24
	s_mul_hi_u32 s2, s14, s1
	s_mul_i32 s3, s15, s1
	s_add_i32 s2, s2, s0
	s_mul_i32 s0, s14, s1
	s_add_i32 s1, s2, s3
	v_mov_b32_e32 v1, v4
	s_lshl_b64 s[0:1], s[0:1], 2
	v_add_nc_u32_e32 v6, 2, v0
	s_add_u32 s0, s7, s0
	s_addc_u32 s1, s12, s1
	v_mad_u64_u32 v[4:5], null, s15, v0, v[1:2]
	v_add_nc_u32_e32 v5, 1, v0
	v_lshl_add_u32 v7, v0, 6, 0x800
	v_and_b32_e32 v6, 15, v6
	v_add_nc_u32_e32 v9, 3, v0
	v_add_nc_u32_e32 v10, 4, v0
	v_and_b32_e32 v5, 15, v5
	v_lshlrev_b64 v[3:4], 2, v[3:4]
	v_lshl_or_b32 v8, v2, 2, v7
	v_lshl_or_b32 v6, v6, 2, v7
	v_add_nc_u32_e32 v11, 5, v0
	v_lshl_or_b32 v5, v5, 2, v7
	v_add_nc_u32_e32 v12, 6, v0
	v_add_co_u32 v3, vcc_lo, s0, v3
	v_add_co_ci_u32_e64 v4, null, s1, v4, vcc_lo
	v_add_nc_u32_e32 v13, 7, v0
	v_and_b32_e32 v9, 15, v9
	v_and_b32_e32 v10, 15, v10
	global_load_dword v1, v[3:4], off
	ds_read_b32 v8, v8
	ds_read_b32 v5, v5
	;; [unrolled: 1-line block ×3, first 2 shown]
	v_and_b32_e32 v11, 15, v11
	v_and_b32_e32 v12, 15, v12
	;; [unrolled: 1-line block ×3, first 2 shown]
	v_lshl_or_b32 v9, v9, 2, v7
	v_lshl_or_b32 v10, v10, 2, v7
	;; [unrolled: 1-line block ×5, first 2 shown]
	ds_read_b32 v9, v9
	ds_read_b32 v10, v10
	;; [unrolled: 1-line block ×5, first 2 shown]
	v_xor_b32_e32 v2, 8, v2
	s_mov_b32 s0, 0
	v_lshl_or_b32 v2, v2, 2, v7
	s_waitcnt lgkmcnt(7)
	v_add_f32_e32 v8, 0, v8
	s_waitcnt lgkmcnt(6)
	v_add_f32_e32 v5, v8, v5
	v_add_nc_u32_e32 v8, 10, v0
	s_waitcnt lgkmcnt(5)
	v_add_f32_e32 v5, v5, v6
	v_add_nc_u32_e32 v6, 9, v0
	v_and_b32_e32 v8, 15, v8
	s_waitcnt lgkmcnt(4)
	v_add_f32_e32 v5, v5, v9
	v_and_b32_e32 v6, 15, v6
	v_lshl_or_b32 v8, v8, 2, v7
	v_add_nc_u32_e32 v9, 11, v0
	s_waitcnt lgkmcnt(3)
	v_add_f32_e32 v5, v5, v10
	v_lshl_or_b32 v6, v6, 2, v7
	v_add_nc_u32_e32 v10, 12, v0
	ds_read_b32 v2, v2
	ds_read_b32 v6, v6
	;; [unrolled: 1-line block ×3, first 2 shown]
	s_waitcnt lgkmcnt(5)
	v_add_f32_e32 v5, v5, v11
	v_add_nc_u32_e32 v11, 13, v0
	v_and_b32_e32 v9, 15, v9
	v_and_b32_e32 v10, 15, v10
	s_waitcnt lgkmcnt(4)
	v_add_f32_e32 v5, v5, v12
	v_add_nc_u32_e32 v12, 14, v0
	v_add_nc_u32_e32 v0, -1, v0
	v_and_b32_e32 v11, 15, v11
	v_lshl_or_b32 v9, v9, 2, v7
	s_waitcnt lgkmcnt(3)
	v_add_f32_e32 v5, v5, v13
	v_and_b32_e32 v12, 15, v12
	v_and_b32_e32 v0, 15, v0
	v_lshl_or_b32 v10, v10, 2, v7
	v_lshl_or_b32 v11, v11, 2, v7
	;; [unrolled: 1-line block ×4, first 2 shown]
	ds_read_b32 v7, v9
	ds_read_b32 v9, v10
	;; [unrolled: 1-line block ×5, first 2 shown]
	s_waitcnt lgkmcnt(7)
	v_add_f32_e32 v2, v5, v2
	s_waitcnt lgkmcnt(6)
	v_add_f32_e32 v2, v2, v6
	;; [unrolled: 2-line block ×8, first 2 shown]
	v_mul_f32_e32 v2, s33, v0
.LBB67_46:                              ; =>This Inner Loop Header: Depth=1
	s_waitcnt vmcnt(0)
	v_add_f32_e32 v0, v1, v2
	global_atomic_cmpswap v0, v[3:4], v[0:1], off glc
	s_waitcnt vmcnt(0)
	v_cmp_eq_u32_e32 vcc_lo, v0, v1
	v_mov_b32_e32 v1, v0
	s_or_b32 s0, vcc_lo, s0
	s_andn2_b32 exec_lo, exec_lo, s0
	s_cbranch_execnz .LBB67_46
.LBB67_47:
	s_endpgm
	.section	.rodata,"a",@progbits
	.p2align	6, 0x0
	.amdhsa_kernel _ZL62rocblas_symv_kernel_upper_double_buffered_non_diagonal_genericILi32ELi8ELi2ELi0E24rocblas_internal_val_ptrIfEPKfPfEvbiT3_lT4_lllS6_lllT5_lllii
		.amdhsa_group_segment_fixed_size 4224
		.amdhsa_private_segment_fixed_size 0
		.amdhsa_kernarg_size 384
		.amdhsa_user_sgpr_count 6
		.amdhsa_user_sgpr_private_segment_buffer 1
		.amdhsa_user_sgpr_dispatch_ptr 0
		.amdhsa_user_sgpr_queue_ptr 0
		.amdhsa_user_sgpr_kernarg_segment_ptr 1
		.amdhsa_user_sgpr_dispatch_id 0
		.amdhsa_user_sgpr_flat_scratch_init 0
		.amdhsa_user_sgpr_private_segment_size 0
		.amdhsa_wavefront_size32 1
		.amdhsa_uses_dynamic_stack 0
		.amdhsa_system_sgpr_private_segment_wavefront_offset 0
		.amdhsa_system_sgpr_workgroup_id_x 1
		.amdhsa_system_sgpr_workgroup_id_y 1
		.amdhsa_system_sgpr_workgroup_id_z 1
		.amdhsa_system_sgpr_workgroup_info 0
		.amdhsa_system_vgpr_workitem_id 1
		.amdhsa_next_free_vgpr 38
		.amdhsa_next_free_sgpr 36
		.amdhsa_reserve_vcc 1
		.amdhsa_reserve_flat_scratch 0
		.amdhsa_float_round_mode_32 0
		.amdhsa_float_round_mode_16_64 0
		.amdhsa_float_denorm_mode_32 3
		.amdhsa_float_denorm_mode_16_64 3
		.amdhsa_dx10_clamp 1
		.amdhsa_ieee_mode 1
		.amdhsa_fp16_overflow 0
		.amdhsa_workgroup_processor_mode 1
		.amdhsa_memory_ordered 1
		.amdhsa_forward_progress 1
		.amdhsa_shared_vgpr_count 0
		.amdhsa_exception_fp_ieee_invalid_op 0
		.amdhsa_exception_fp_denorm_src 0
		.amdhsa_exception_fp_ieee_div_zero 0
		.amdhsa_exception_fp_ieee_overflow 0
		.amdhsa_exception_fp_ieee_underflow 0
		.amdhsa_exception_fp_ieee_inexact 0
		.amdhsa_exception_int_div_zero 0
	.end_amdhsa_kernel
	.section	.text._ZL62rocblas_symv_kernel_upper_double_buffered_non_diagonal_genericILi32ELi8ELi2ELi0E24rocblas_internal_val_ptrIfEPKfPfEvbiT3_lT4_lllS6_lllT5_lllii,"axG",@progbits,_ZL62rocblas_symv_kernel_upper_double_buffered_non_diagonal_genericILi32ELi8ELi2ELi0E24rocblas_internal_val_ptrIfEPKfPfEvbiT3_lT4_lllS6_lllT5_lllii,comdat
.Lfunc_end67:
	.size	_ZL62rocblas_symv_kernel_upper_double_buffered_non_diagonal_genericILi32ELi8ELi2ELi0E24rocblas_internal_val_ptrIfEPKfPfEvbiT3_lT4_lllS6_lllT5_lllii, .Lfunc_end67-_ZL62rocblas_symv_kernel_upper_double_buffered_non_diagonal_genericILi32ELi8ELi2ELi0E24rocblas_internal_val_ptrIfEPKfPfEvbiT3_lT4_lllS6_lllT5_lllii
                                        ; -- End function
	.set _ZL62rocblas_symv_kernel_upper_double_buffered_non_diagonal_genericILi32ELi8ELi2ELi0E24rocblas_internal_val_ptrIfEPKfPfEvbiT3_lT4_lllS6_lllT5_lllii.num_vgpr, 38
	.set _ZL62rocblas_symv_kernel_upper_double_buffered_non_diagonal_genericILi32ELi8ELi2ELi0E24rocblas_internal_val_ptrIfEPKfPfEvbiT3_lT4_lllS6_lllT5_lllii.num_agpr, 0
	.set _ZL62rocblas_symv_kernel_upper_double_buffered_non_diagonal_genericILi32ELi8ELi2ELi0E24rocblas_internal_val_ptrIfEPKfPfEvbiT3_lT4_lllS6_lllT5_lllii.numbered_sgpr, 36
	.set _ZL62rocblas_symv_kernel_upper_double_buffered_non_diagonal_genericILi32ELi8ELi2ELi0E24rocblas_internal_val_ptrIfEPKfPfEvbiT3_lT4_lllS6_lllT5_lllii.num_named_barrier, 0
	.set _ZL62rocblas_symv_kernel_upper_double_buffered_non_diagonal_genericILi32ELi8ELi2ELi0E24rocblas_internal_val_ptrIfEPKfPfEvbiT3_lT4_lllS6_lllT5_lllii.private_seg_size, 0
	.set _ZL62rocblas_symv_kernel_upper_double_buffered_non_diagonal_genericILi32ELi8ELi2ELi0E24rocblas_internal_val_ptrIfEPKfPfEvbiT3_lT4_lllS6_lllT5_lllii.uses_vcc, 1
	.set _ZL62rocblas_symv_kernel_upper_double_buffered_non_diagonal_genericILi32ELi8ELi2ELi0E24rocblas_internal_val_ptrIfEPKfPfEvbiT3_lT4_lllS6_lllT5_lllii.uses_flat_scratch, 0
	.set _ZL62rocblas_symv_kernel_upper_double_buffered_non_diagonal_genericILi32ELi8ELi2ELi0E24rocblas_internal_val_ptrIfEPKfPfEvbiT3_lT4_lllS6_lllT5_lllii.has_dyn_sized_stack, 0
	.set _ZL62rocblas_symv_kernel_upper_double_buffered_non_diagonal_genericILi32ELi8ELi2ELi0E24rocblas_internal_val_ptrIfEPKfPfEvbiT3_lT4_lllS6_lllT5_lllii.has_recursion, 0
	.set _ZL62rocblas_symv_kernel_upper_double_buffered_non_diagonal_genericILi32ELi8ELi2ELi0E24rocblas_internal_val_ptrIfEPKfPfEvbiT3_lT4_lllS6_lllT5_lllii.has_indirect_call, 0
	.section	.AMDGPU.csdata,"",@progbits
; Kernel info:
; codeLenInByte = 3100
; TotalNumSgprs: 38
; NumVgprs: 38
; ScratchSize: 0
; MemoryBound: 0
; FloatMode: 240
; IeeeMode: 1
; LDSByteSize: 4224 bytes/workgroup (compile time only)
; SGPRBlocks: 0
; VGPRBlocks: 4
; NumSGPRsForWavesPerEU: 38
; NumVGPRsForWavesPerEU: 38
; Occupancy: 16
; WaveLimiterHint : 0
; COMPUTE_PGM_RSRC2:SCRATCH_EN: 0
; COMPUTE_PGM_RSRC2:USER_SGPR: 6
; COMPUTE_PGM_RSRC2:TRAP_HANDLER: 0
; COMPUTE_PGM_RSRC2:TGID_X_EN: 1
; COMPUTE_PGM_RSRC2:TGID_Y_EN: 1
; COMPUTE_PGM_RSRC2:TGID_Z_EN: 1
; COMPUTE_PGM_RSRC2:TIDIG_COMP_CNT: 1
	.section	.text._ZL62rocblas_symv_kernel_upper_double_buffered_non_diagonal_genericILi32ELi8ELi2ELi1E24rocblas_internal_val_ptrIfEPKfPfEvbiT3_lT4_lllS6_lllT5_lllii,"axG",@progbits,_ZL62rocblas_symv_kernel_upper_double_buffered_non_diagonal_genericILi32ELi8ELi2ELi1E24rocblas_internal_val_ptrIfEPKfPfEvbiT3_lT4_lllS6_lllT5_lllii,comdat
	.globl	_ZL62rocblas_symv_kernel_upper_double_buffered_non_diagonal_genericILi32ELi8ELi2ELi1E24rocblas_internal_val_ptrIfEPKfPfEvbiT3_lT4_lllS6_lllT5_lllii ; -- Begin function _ZL62rocblas_symv_kernel_upper_double_buffered_non_diagonal_genericILi32ELi8ELi2ELi1E24rocblas_internal_val_ptrIfEPKfPfEvbiT3_lT4_lllS6_lllT5_lllii
	.p2align	8
	.type	_ZL62rocblas_symv_kernel_upper_double_buffered_non_diagonal_genericILi32ELi8ELi2ELi1E24rocblas_internal_val_ptrIfEPKfPfEvbiT3_lT4_lllS6_lllT5_lllii,@function
_ZL62rocblas_symv_kernel_upper_double_buffered_non_diagonal_genericILi32ELi8ELi2ELi1E24rocblas_internal_val_ptrIfEPKfPfEvbiT3_lT4_lllS6_lllT5_lllii: ; @_ZL62rocblas_symv_kernel_upper_double_buffered_non_diagonal_genericILi32ELi8ELi2ELi1E24rocblas_internal_val_ptrIfEPKfPfEvbiT3_lT4_lllS6_lllT5_lllii
; %bb.0:
	s_clause 0x1
	s_load_dword s0, s[4:5], 0x0
	s_load_dwordx16 s[12:27], s[4:5], 0x8
	s_waitcnt lgkmcnt(0)
	s_bitcmp0_b32 s0, 0
	s_mov_b32 s0, 0
	s_cbranch_scc0 .LBB68_2
; %bb.1:
	s_mul_i32 s1, s15, s8
	s_mul_hi_u32 s2, s14, s8
	s_add_i32 s3, s2, s1
	s_mul_i32 s2, s14, s8
	s_lshl_b64 s[2:3], s[2:3], 2
	s_add_u32 s2, s12, s2
	s_addc_u32 s3, s13, s3
	s_load_dword s33, s[2:3], 0x0
	s_andn2_b32 vcc_lo, exec_lo, s0
	s_cbranch_vccz .LBB68_3
	s_branch .LBB68_4
.LBB68_2:
                                        ; implicit-def: $sgpr33
.LBB68_3:
	s_waitcnt lgkmcnt(0)
	s_mov_b32 s33, s12
.LBB68_4:
	s_waitcnt lgkmcnt(0)
	v_cmp_eq_f32_e64 s0, s33, 0
	s_and_b32 vcc_lo, exec_lo, s0
	s_cbranch_vccnz .LBB68_79
; %bb.5:
	s_load_dword s3, s[4:5], 0x84
	s_add_u32 s0, s4, 0x80
	s_addc_u32 s1, s5, 0
	s_cmp_eq_u32 s6, 0
	s_waitcnt lgkmcnt(0)
	v_cvt_f32_u32_e32 v2, s3
	v_rcp_iflag_f32_e32 v2, v2
	v_mul_f32_e32 v2, 0x4f7ffffe, v2
	v_cvt_u32_f32_e32 v2, v2
	v_readfirstlane_b32 s2, v2
	s_cbranch_scc1 .LBB68_79
; %bb.6:
	s_sub_i32 s9, 0, s3
	s_mul_i32 s9, s9, s2
	s_mul_hi_u32 s9, s2, s9
	s_add_i32 s2, s2, s9
	s_mul_hi_u32 s2, s6, s2
	s_mul_i32 s9, s2, s3
	s_add_i32 s10, s2, 1
	s_sub_i32 s9, s6, s9
	s_sub_i32 s11, s9, s3
	s_cmp_ge_u32 s9, s3
	s_cselect_b32 s2, s10, s2
	s_cselect_b32 s9, s11, s9
	s_add_i32 s10, s2, 1
	s_cmp_ge_u32 s9, s3
	s_cselect_b32 s2, s10, s2
	s_add_i32 s9, s3, -1
	s_mov_b32 s34, s2
	s_cmp_lg_u32 s7, s9
	s_cbranch_scc1 .LBB68_8
; %bb.7:
	s_mul_i32 s3, s2, s3
	s_sub_i32 s3, s6, s3
	s_add_i32 s34, s3, s2
.LBB68_8:
	s_cmp_eq_u32 s34, 0
	s_cbranch_scc1 .LBB68_79
; %bb.9:
	s_load_dwordx4 s[28:31], s[4:5], 0x48
	s_load_dword s12, s[0:1], 0x0
	v_lshl_add_u32 v2, v1, 5, v0
	s_waitcnt lgkmcnt(0)
	s_mul_i32 s3, s31, s8
	s_mul_hi_u32 s9, s30, s8
	s_mul_i32 s10, s30, s8
	s_add_i32 s11, s9, s3
	s_lshl_b64 s[10:11], s[10:11], 2
	s_add_u32 s3, s24, s10
	s_addc_u32 s10, s25, s11
	s_lshl_b64 s[0:1], s[26:27], 2
	s_mov_b32 s11, -1
	s_add_u32 s9, s3, s0
	s_addc_u32 s30, s10, s1
	s_lshl_b32 s24, s6, 5
	s_ashr_i32 s25, s24, 31
	s_mul_hi_u32 s0, s28, s24
	s_mul_i32 s1, s28, s25
	s_mul_i32 s3, s29, s24
	s_add_i32 s1, s0, s1
	s_mul_i32 s0, s28, s24
	s_add_i32 s1, s1, s3
	s_lshl_b64 s[0:1], s[0:1], 2
	s_add_u32 s3, s9, s0
	s_addc_u32 s10, s30, s1
	s_add_i32 s26, s12, -1
	v_cmp_eq_u32_e64 s0, 0, v1
	s_cmp_lg_u32 s6, s26
	s_cselect_b32 s1, -1, 0
	s_and_b32 vcc_lo, exec_lo, s1
	s_cbranch_vccz .LBB68_13
; %bb.10:
	s_and_saveexec_b32 s11, s0
	s_cbranch_execz .LBB68_12
; %bb.11:
	v_mad_u64_u32 v[3:4], null, s28, v0, 0
	v_mov_b32_e32 v1, v4
	v_mad_u64_u32 v[4:5], null, s29, v0, v[1:2]
	v_lshlrev_b64 v[3:4], 2, v[3:4]
	v_add_co_u32 v3, vcc_lo, s3, v3
	v_add_co_ci_u32_e64 v4, null, s10, v4, vcc_lo
	global_load_dword v1, v[3:4], off
	v_lshlrev_b32_e32 v3, 2, v0
	s_waitcnt vmcnt(0)
	ds_write_b32 v3, v1 offset:4096
.LBB68_12:
	s_or_b32 exec_lo, exec_lo, s11
	s_mov_b32 s11, 0
.LBB68_13:
	s_load_dword s27, s[4:5], 0x78
	v_and_b32_e32 v1, 15, v0
	v_lshrrev_b32_e32 v4, 4, v2
	s_andn2_b32 vcc_lo, exec_lo, s11
	s_cbranch_vccnz .LBB68_19
; %bb.14:
	s_and_saveexec_b32 s11, s0
	s_cbranch_execz .LBB68_18
; %bb.15:
	v_mov_b32_e32 v2, 0
	s_mov_b32 s12, exec_lo
	s_waitcnt lgkmcnt(0)
	v_cmpx_gt_i32_e64 s27, v0
	s_cbranch_execz .LBB68_17
; %bb.16:
	v_mad_u64_u32 v[2:3], null, s28, v0, 0
	v_mad_u64_u32 v[5:6], null, s29, v0, v[3:4]
	v_mov_b32_e32 v3, v5
	v_lshlrev_b64 v[2:3], 2, v[2:3]
	v_add_co_u32 v2, vcc_lo, s3, v2
	v_add_co_ci_u32_e64 v3, null, s10, v3, vcc_lo
	global_load_dword v2, v[2:3], off
.LBB68_17:
	s_or_b32 exec_lo, exec_lo, s12
	v_lshlrev_b32_e32 v3, 2, v0
	s_waitcnt vmcnt(0)
	ds_write_b32 v3, v2 offset:4096
.LBB68_18:
	s_or_b32 exec_lo, exec_lo, s11
	v_lshlrev_b32_e32 v2, 2, v1
	v_mov_b32_e32 v3, 0
	v_lshl_or_b32 v2, v4, 7, v2
	v_add_nc_u32_e32 v5, 0x800, v2
	ds_write2_b32 v2, v3, v3 offset1:16
	ds_write2_b32 v5, v3, v3 offset1:16
.LBB68_19:
	s_mul_i32 s3, s23, s8
	s_mul_hi_u32 s10, s22, s8
	s_waitcnt lgkmcnt(0)
	s_lshr_b32 s12, s27, 31
	s_add_i32 s11, s10, s3
	s_mul_i32 s10, s22, s8
	s_add_i32 s3, s27, s12
	s_lshl_b64 s[10:11], s[10:11], 2
	s_ashr_i32 s22, s3, 1
	s_add_u32 s3, s16, s10
	s_addc_u32 s12, s17, s11
	s_lshl_b64 s[10:11], s[18:19], 2
	s_mul_hi_u32 s13, s20, s24
	s_add_u32 s3, s3, s10
	s_mul_i32 s10, s20, s25
	v_lshlrev_b32_e32 v5, 1, v4
	v_mov_b32_e32 v2, 0
	s_addc_u32 s14, s12, s11
	s_add_i32 s10, s13, s10
	s_mul_i32 s11, s21, s24
	s_mul_i32 s7, s7, s2
	s_add_i32 s11, s10, s11
	s_mul_i32 s10, s20, s24
	v_mad_u64_u32 v[2:3], null, s20, v5, v[1:2]
	s_lshl_b64 s[12:13], s[10:11], 2
	s_load_dwordx2 s[10:11], s[4:5], 0x58
	s_add_u32 s15, s3, s12
	s_addc_u32 s14, s14, s13
	s_lshl_b32 s2, s7, 5
	v_cndmask_b32_e64 v23, 0, 1, s1
	v_mad_u64_u32 v[6:7], null, s21, v5, v[3:4]
	s_ashr_i32 s3, s2, 31
	s_waitcnt lgkmcnt(0)
	s_lshl_b64 s[12:13], s[2:3], 2
	s_barrier
	s_add_u32 s16, s15, s12
	s_addc_u32 s17, s14, s13
	v_mov_b32_e32 v3, v6
	s_andn2_b32 vcc_lo, exec_lo, s1
	buffer_gl0_inv
	s_cbranch_vccnz .LBB68_21
; %bb.20:
	v_lshlrev_b64 v[6:7], 2, v[2:3]
	s_lshl_b64 s[12:13], s[20:21], 2
	v_add_co_u32 v6, vcc_lo, s16, v6
	v_add_co_ci_u32_e64 v7, null, s17, v7, vcc_lo
	v_add_co_u32 v9, vcc_lo, v6, s12
	v_add_co_ci_u32_e64 v10, null, s13, v7, vcc_lo
	s_clause 0x1
	global_load_dword v8, v[6:7], off
	global_load_dword v9, v[9:10], off
	v_cmp_le_i32_e64 s1, s22, v4
	s_cbranch_execz .LBB68_22
	s_branch .LBB68_29
.LBB68_21:
                                        ; implicit-def: $vgpr8_vgpr9
	v_cmp_le_i32_e64 s1, s22, v4
.LBB68_22:
                                        ; implicit-def: $vgpr8_vgpr9
	s_and_saveexec_b32 s7, s1
	s_xor_b32 s1, exec_lo, s7
	s_cbranch_execz .LBB68_26
; %bb.23:
	s_waitcnt vmcnt(1)
	v_mov_b32_e32 v8, 0
	s_mov_b32 s7, exec_lo
	s_waitcnt vmcnt(0)
	v_mov_b32_e32 v9, v8
	v_cmpx_eq_u32_e64 s22, v4
	s_cbranch_execz .LBB68_25
; %bb.24:
	v_lshlrev_b64 v[6:7], 2, v[2:3]
	v_add_co_u32 v6, vcc_lo, s16, v6
	v_add_co_ci_u32_e64 v7, null, s17, v7, vcc_lo
	global_load_dword v6, v[6:7], off
	v_mov_b32_e32 v7, v8
	s_waitcnt vmcnt(0)
	v_mov_b32_e32 v9, v7
	v_mov_b32_e32 v8, v6
.LBB68_25:
	s_or_b32 exec_lo, exec_lo, s7
.LBB68_26:
	s_andn2_saveexec_b32 s1, s1
	s_cbranch_execz .LBB68_28
; %bb.27:
	v_lshlrev_b64 v[6:7], 2, v[2:3]
	s_lshl_b64 s[12:13], s[20:21], 2
	v_add_co_u32 v6, vcc_lo, s16, v6
	v_add_co_ci_u32_e64 v7, null, s17, v7, vcc_lo
	s_waitcnt vmcnt(0)
	v_add_co_u32 v9, vcc_lo, v6, s12
	v_add_co_ci_u32_e64 v10, null, s13, v7, vcc_lo
	s_clause 0x1
	global_load_dword v8, v[6:7], off
	global_load_dword v9, v[9:10], off
.LBB68_28:
	s_or_b32 exec_lo, exec_lo, s1
.LBB68_29:
	s_clause 0x1
	s_load_dwordx2 s[18:19], s[4:5], 0x70
	s_load_dwordx4 s[12:15], s[4:5], 0x60
	v_lshlrev_b32_e32 v22, 7, v4
	s_waitcnt lgkmcnt(0)
	s_mul_i32 s1, s19, s8
	s_mul_hi_u32 s5, s18, s8
	s_mul_i32 s4, s18, s8
	s_add_i32 s5, s5, s1
	s_lshl_b64 s[4:5], s[4:5], 2
	s_add_u32 s1, s10, s4
	s_addc_u32 s8, s11, s5
	s_lshl_b64 s[4:5], s[12:13], 2
	s_add_u32 s7, s1, s4
	s_addc_u32 s12, s8, s5
	s_cmp_gt_i32 s34, 0
	s_mov_b32 s1, 0
	s_cbranch_scc1 .LBB68_31
; %bb.30:
	v_lshlrev_b32_e32 v6, 7, v4
	v_mov_b32_e32 v25, 0
	v_mov_b32_e32 v24, 0
	s_andn2_b32 vcc_lo, exec_lo, s1
	s_cbranch_vccz .LBB68_32
	s_branch .LBB68_75
.LBB68_31:
                                        ; implicit-def: $vgpr6
	v_mov_b32_e32 v25, 0
	v_mov_b32_e32 v24, 0
.LBB68_32:
	v_mad_u64_u32 v[6:7], null, s28, v1, 0
	s_mul_i32 s1, s28, s3
	s_mul_hi_u32 s4, s28, s2
	s_mul_i32 s5, s29, s2
	s_add_i32 s1, s4, s1
	s_mul_i32 s4, s28, s2
	s_add_i32 s5, s1, s5
	s_waitcnt vmcnt(1)
	v_mad_u64_u32 v[10:11], null, s29, v1, v[7:8]
	s_lshl_b64 s[4:5], s[4:5], 2
	v_or_b32_e32 v16, 16, v1
	s_add_u32 s13, s9, s4
	s_addc_u32 s18, s30, s5
	v_mad_u64_u32 v[14:15], null, s14, v0, 0
	v_mov_b32_e32 v7, v10
	v_mad_u64_u32 v[12:13], null, s28, v16, 0
	s_mul_i32 s1, s14, s3
	s_mul_hi_u32 s3, s14, s2
	v_lshlrev_b64 v[10:11], 2, v[6:7]
	s_add_i32 s1, s3, s1
	s_mul_i32 s3, s15, s2
	s_mul_i32 s2, s14, s2
	s_add_i32 s3, s1, s3
	v_cmp_eq_u32_e64 s1, s22, v4
	v_add_co_u32 v6, vcc_lo, s13, v10
	v_add_co_ci_u32_e64 v7, null, s18, v11, vcc_lo
	s_lshl_b64 s[2:3], s[2:3], 2
	v_lshl_add_u32 v28, v5, 2, 0x1000
	s_add_u32 s10, s7, s2
	global_load_dword v29, v[6:7], off
	v_mov_b32_e32 v6, v13
	v_mov_b32_e32 v7, v15
	v_cmp_le_i32_e64 s2, s22, v4
	v_lshlrev_b32_e32 v26, 2, v0
	v_mov_b32_e32 v30, 0
	s_addc_u32 s11, s12, s3
	v_mad_u64_u32 v[15:16], null, s29, v16, v[6:7]
	v_mad_u64_u32 v[6:7], null, s15, v0, v[7:8]
	v_lshlrev_b32_e32 v16, 2, v1
	s_cmp_eq_u32 s34, 1
	v_mov_b32_e32 v13, v15
	v_add_nc_u32_e32 v27, v16, v22
	v_mov_b32_e32 v15, v6
	v_lshlrev_b64 v[12:13], 2, v[12:13]
	v_lshlrev_b64 v[4:5], 2, v[14:15]
	s_cbranch_scc1 .LBB68_60
; %bb.33:
	v_mov_b32_e32 v6, s10
	v_lshlrev_b64 v[14:15], 2, v[2:3]
	v_mov_b32_e32 v24, 0
	v_mov_b32_e32 v7, s11
	v_add_nc_u32_e32 v32, 0x400, v26
	v_mov_b32_e32 v25, 0
	v_mov_b32_e32 v17, 0
	;; [unrolled: 1-line block ×3, first 2 shown]
	s_lshl_b64 s[4:5], s[28:29], 7
	s_lshl_b64 s[8:9], s[14:15], 7
	s_add_i32 s3, s34, -2
	s_mov_b32 s19, 0
	s_lshl_b64 s[10:11], s[20:21], 2
.LBB68_34:                              ; =>This Loop Header: Depth=1
                                        ;     Child Loop BB68_56 Depth 2
	v_add_co_u32 v18, vcc_lo, s13, v12
	v_add_co_ci_u32_e64 v19, null, s18, v13, vcc_lo
	v_cmp_ne_u32_e32 vcc_lo, 1, v23
	s_mov_b32 s22, -1
                                        ; implicit-def: $vgpr30
                                        ; implicit-def: $vgpr31
	global_load_dword v33, v[18:19], off
	s_cbranch_vccnz .LBB68_36
; %bb.35:                               ;   in Loop: Header=BB68_34 Depth=1
	v_add_co_u32 v18, vcc_lo, s16, v14
	v_add_co_ci_u32_e64 v19, null, s17, v15, vcc_lo
	s_mov_b32 s22, 0
	v_add_co_u32 v20, vcc_lo, v18, s10
	v_add_co_ci_u32_e64 v21, null, s11, v19, vcc_lo
	s_clause 0x1
	global_load_dword v31, v[18:19], off offset:64
	global_load_dword v30, v[20:21], off offset:64
.LBB68_36:                              ;   in Loop: Header=BB68_34 Depth=1
	s_andn2_b32 vcc_lo, exec_lo, s22
	s_cbranch_vccnz .LBB68_44
; %bb.37:                               ;   in Loop: Header=BB68_34 Depth=1
	s_and_saveexec_b32 s22, s2
	s_xor_b32 s22, exec_lo, s22
	s_cbranch_execz .LBB68_41
; %bb.38:                               ;   in Loop: Header=BB68_34 Depth=1
	s_and_saveexec_b32 s23, s1
	s_cbranch_execz .LBB68_40
; %bb.39:                               ;   in Loop: Header=BB68_34 Depth=1
	v_add_co_u32 v17, vcc_lo, s16, v14
	v_add_co_ci_u32_e64 v18, null, s17, v15, vcc_lo
	global_load_dword v17, v[17:18], off offset:64
.LBB68_40:                              ;   in Loop: Header=BB68_34 Depth=1
	s_or_b32 exec_lo, exec_lo, s23
.LBB68_41:                              ;   in Loop: Header=BB68_34 Depth=1
	s_andn2_saveexec_b32 s22, s22
	s_cbranch_execz .LBB68_43
; %bb.42:                               ;   in Loop: Header=BB68_34 Depth=1
	v_add_co_u32 v16, vcc_lo, s16, v14
	s_waitcnt vmcnt(0)
	v_add_co_ci_u32_e64 v17, null, s17, v15, vcc_lo
	v_add_co_u32 v18, vcc_lo, v16, s10
	v_add_co_ci_u32_e64 v19, null, s11, v17, vcc_lo
	s_clause 0x1
	global_load_dword v17, v[16:17], off offset:64
	global_load_dword v16, v[18:19], off offset:64
.LBB68_43:                              ;   in Loop: Header=BB68_34 Depth=1
	s_or_b32 exec_lo, exec_lo, s22
	s_waitcnt vmcnt(0)
	v_mov_b32_e32 v31, v17
	v_mov_b32_e32 v30, v16
.LBB68_44:                              ;   in Loop: Header=BB68_34 Depth=1
	ds_read_b64 v[18:19], v28
	v_cmp_ne_u32_e32 vcc_lo, 1, v23
	s_mov_b32 s22, -1
                                        ; implicit-def: $vgpr16_vgpr17
	s_cbranch_vccnz .LBB68_46
; %bb.45:                               ;   in Loop: Header=BB68_34 Depth=1
	v_add_co_u32 v16, vcc_lo, s16, v14
	v_add_co_ci_u32_e64 v17, null, s17, v15, vcc_lo
	s_mov_b32 s22, 0
	v_add_co_u32 v20, vcc_lo, v16, s10
	v_add_co_ci_u32_e64 v21, null, s11, v17, vcc_lo
	s_clause 0x1
	global_load_dword v16, v[16:17], off offset:128
	global_load_dword v17, v[20:21], off offset:128
.LBB68_46:                              ;   in Loop: Header=BB68_34 Depth=1
	s_andn2_b32 vcc_lo, exec_lo, s22
	s_cbranch_vccnz .LBB68_54
; %bb.47:                               ;   in Loop: Header=BB68_34 Depth=1
                                        ; implicit-def: $vgpr16_vgpr17
	s_and_saveexec_b32 s22, s2
	s_xor_b32 s22, exec_lo, s22
	s_cbranch_execz .LBB68_51
; %bb.48:                               ;   in Loop: Header=BB68_34 Depth=1
	s_waitcnt vmcnt(0)
	v_mov_b32_e32 v17, v9
	v_mov_b32_e32 v16, v8
	s_and_saveexec_b32 s23, s1
	s_cbranch_execz .LBB68_50
; %bb.49:                               ;   in Loop: Header=BB68_34 Depth=1
	v_add_co_u32 v16, vcc_lo, s16, v14
	v_add_co_ci_u32_e64 v17, null, s17, v15, vcc_lo
	global_load_dword v16, v[16:17], off offset:128
	v_mov_b32_e32 v17, v9
.LBB68_50:                              ;   in Loop: Header=BB68_34 Depth=1
	s_or_b32 exec_lo, exec_lo, s23
.LBB68_51:                              ;   in Loop: Header=BB68_34 Depth=1
	s_andn2_saveexec_b32 s22, s22
	s_cbranch_execz .LBB68_53
; %bb.52:                               ;   in Loop: Header=BB68_34 Depth=1
	s_waitcnt vmcnt(0)
	v_add_co_u32 v16, vcc_lo, s16, v14
	v_add_co_ci_u32_e64 v17, null, s17, v15, vcc_lo
	v_add_co_u32 v20, vcc_lo, v16, s10
	v_add_co_ci_u32_e64 v21, null, s11, v17, vcc_lo
	s_clause 0x1
	global_load_dword v16, v[16:17], off offset:128
	global_load_dword v17, v[20:21], off offset:128
.LBB68_53:                              ;   in Loop: Header=BB68_34 Depth=1
	s_or_b32 exec_lo, exec_lo, s22
.LBB68_54:                              ;   in Loop: Header=BB68_34 Depth=1
	s_add_u32 s13, s13, s4
	s_addc_u32 s18, s18, s5
	v_add_co_u32 v20, vcc_lo, s13, v10
	v_add_co_ci_u32_e64 v21, null, s18, v11, vcc_lo
	global_load_dword v34, v[20:21], off
	s_waitcnt lgkmcnt(0)
	v_fma_f32 v20, v8, v18, 0
	s_waitcnt vmcnt(2)
	v_fma_f32 v18, v31, v18, 0
	s_waitcnt vmcnt(0)
	s_barrier
	buffer_gl0_inv
	v_fmac_f32_e32 v20, v9, v19
	v_fmac_f32_e32 v18, v30, v19
	ds_write2_b32 v27, v20, v18 offset1:16
	s_waitcnt lgkmcnt(0)
	s_barrier
	buffer_gl0_inv
	s_and_saveexec_b32 s22, s0
	s_cbranch_execz .LBB68_58
; %bb.55:                               ;   in Loop: Header=BB68_34 Depth=1
	v_add_co_u32 v18, vcc_lo, v6, v4
	v_add_co_ci_u32_e64 v19, null, v7, v5, vcc_lo
	s_mov_b32 s23, 0
	global_load_dword v21, v[18:19], off
	ds_read2_b32 v[35:36], v26 offset1:32
	ds_read2_b32 v[37:38], v26 offset0:64 offset1:96
	ds_read2_b32 v[39:40], v26 offset0:128 offset1:160
	s_waitcnt lgkmcnt(2)
	v_add_f32_e32 v20, 0, v35
	v_add_f32_e32 v20, v20, v36
	ds_read2_b32 v[35:36], v26 offset0:192 offset1:224
	s_waitcnt lgkmcnt(2)
	v_add_f32_e32 v20, v20, v37
	v_add_f32_e32 v20, v20, v38
	ds_read2_b32 v[37:38], v32 offset1:32
	s_waitcnt lgkmcnt(2)
	v_add_f32_e32 v20, v20, v39
	v_add_f32_e32 v20, v20, v40
	ds_read2_b32 v[39:40], v32 offset0:64 offset1:96
	s_waitcnt lgkmcnt(2)
	v_add_f32_e32 v20, v20, v35
	v_add_f32_e32 v20, v20, v36
	ds_read2_b32 v[35:36], v32 offset0:128 offset1:160
	;; [unrolled: 4-line block ×3, first 2 shown]
	s_waitcnt lgkmcnt(2)
	v_add_f32_e32 v20, v20, v39
	v_add_f32_e32 v20, v20, v40
	s_waitcnt lgkmcnt(1)
	v_add_f32_e32 v20, v20, v35
	v_add_f32_e32 v20, v20, v36
	;; [unrolled: 3-line block ×3, first 2 shown]
	v_mul_f32_e32 v35, s33, v20
.LBB68_56:                              ;   Parent Loop BB68_34 Depth=1
                                        ; =>  This Inner Loop Header: Depth=2
	s_waitcnt vmcnt(0)
	v_add_f32_e32 v20, v21, v35
	global_atomic_cmpswap v20, v[18:19], v[20:21], off glc
	s_waitcnt vmcnt(0)
	v_cmp_eq_u32_e32 vcc_lo, v20, v21
	v_mov_b32_e32 v21, v20
	s_or_b32 s23, vcc_lo, s23
	s_andn2_b32 exec_lo, exec_lo, s23
	s_cbranch_execnz .LBB68_56
; %bb.57:                               ;   in Loop: Header=BB68_34 Depth=1
	s_or_b32 exec_lo, exec_lo, s23
	v_add_co_u32 v6, vcc_lo, v6, s8
	v_add_co_ci_u32_e64 v7, null, s9, v7, vcc_lo
.LBB68_58:                              ;   in Loop: Header=BB68_34 Depth=1
	s_or_b32 exec_lo, exec_lo, s22
	v_fmac_f32_e32 v24, v29, v8
	v_fmac_f32_e32 v25, v29, v9
	s_add_u32 s16, s16, 0x80
	s_addc_u32 s17, s17, 0
	s_add_i32 s22, s19, 1
	v_fmac_f32_e32 v24, v33, v31
	v_fmac_f32_e32 v25, v33, v30
	s_cmp_eq_u32 s19, s3
	s_cbranch_scc1 .LBB68_61
; %bb.59:                               ;   in Loop: Header=BB68_34 Depth=1
	v_mov_b32_e32 v8, v16
	v_mov_b32_e32 v29, v34
	;; [unrolled: 1-line block ×5, first 2 shown]
	s_mov_b32 s19, s22
	s_branch .LBB68_34
.LBB68_60:
	v_mov_b32_e32 v6, s10
	s_waitcnt vmcnt(1)
	v_mov_b32_e32 v17, v9
	v_mov_b32_e32 v7, s11
	;; [unrolled: 1-line block ×6, first 2 shown]
	s_waitcnt vmcnt(0)
	v_mov_b32_e32 v34, v29
.LBB68_61:
	v_add_co_u32 v8, vcc_lo, s13, v12
	v_add_co_ci_u32_e64 v9, null, s18, v13, vcc_lo
	v_cmp_ne_u32_e32 vcc_lo, 1, v23
	global_load_dword v8, v[8:9], off
	s_cbranch_vccnz .LBB68_63
; %bb.62:
	v_lshlrev_b64 v[9:10], 2, v[2:3]
	s_lshl_b64 s[4:5], s[20:21], 2
	v_add_co_u32 v9, vcc_lo, s16, v9
	v_add_co_ci_u32_e64 v10, null, s17, v10, vcc_lo
	v_add_co_u32 v11, vcc_lo, v9, s4
	v_add_co_ci_u32_e64 v12, null, s5, v10, vcc_lo
	s_clause 0x1
	global_load_dword v9, v[9:10], off offset:64
	global_load_dword v10, v[11:12], off offset:64
	s_cbranch_execz .LBB68_64
	s_branch .LBB68_71
.LBB68_63:
                                        ; implicit-def: $vgpr10
                                        ; implicit-def: $vgpr9
.LBB68_64:
	s_and_saveexec_b32 s3, s2
	s_xor_b32 s2, exec_lo, s3
	s_cbranch_execz .LBB68_68
; %bb.65:
	s_and_saveexec_b32 s3, s1
	s_cbranch_execz .LBB68_67
; %bb.66:
	v_lshlrev_b64 v[2:3], 2, v[2:3]
	v_add_co_u32 v2, vcc_lo, s16, v2
	v_add_co_ci_u32_e64 v3, null, s17, v3, vcc_lo
	global_load_dword v31, v[2:3], off offset:64
.LBB68_67:
	s_or_b32 exec_lo, exec_lo, s3
                                        ; implicit-def: $vgpr2_vgpr3
.LBB68_68:
	s_andn2_saveexec_b32 s1, s2
	s_cbranch_execz .LBB68_70
; %bb.69:
	v_lshlrev_b64 v[2:3], 2, v[2:3]
	s_lshl_b64 s[2:3], s[20:21], 2
	v_add_co_u32 v2, vcc_lo, s16, v2
	v_add_co_ci_u32_e64 v3, null, s17, v3, vcc_lo
	s_waitcnt vmcnt(1)
	v_add_co_u32 v9, vcc_lo, v2, s2
	s_waitcnt vmcnt(0)
	v_add_co_ci_u32_e64 v10, null, s3, v3, vcc_lo
	s_clause 0x1
	global_load_dword v31, v[2:3], off offset:64
	global_load_dword v30, v[9:10], off offset:64
.LBB68_70:
	s_or_b32 exec_lo, exec_lo, s1
	s_waitcnt vmcnt(0)
	v_mov_b32_e32 v9, v31
	v_mov_b32_e32 v10, v30
.LBB68_71:
	ds_read_b64 v[2:3], v28
	v_fmac_f32_e32 v24, v34, v16
	v_fmac_f32_e32 v25, v34, v17
	s_waitcnt vmcnt(0) lgkmcnt(0)
	s_barrier
	buffer_gl0_inv
	v_fma_f32 v11, v16, v2, 0
	v_fma_f32 v2, v9, v2, 0
	v_fmac_f32_e32 v11, v17, v3
	v_fmac_f32_e32 v2, v10, v3
	ds_write2_b32 v27, v11, v2 offset1:16
	s_waitcnt lgkmcnt(0)
	s_barrier
	buffer_gl0_inv
	s_and_saveexec_b32 s1, s0
	s_cbranch_execz .LBB68_74
; %bb.72:
	v_add_co_u32 v2, vcc_lo, v6, v4
	v_add_co_ci_u32_e64 v3, null, v7, v5, vcc_lo
	v_add_nc_u32_e32 v15, 0x400, v26
	s_mov_b32 s2, 0
	global_load_dword v5, v[2:3], off
	ds_read2_b32 v[6:7], v26 offset1:32
	ds_read2_b32 v[11:12], v26 offset0:64 offset1:96
	ds_read2_b32 v[13:14], v26 offset0:128 offset1:160
	s_waitcnt lgkmcnt(2)
	v_add_f32_e32 v4, 0, v6
	v_add_f32_e32 v4, v4, v7
	ds_read2_b32 v[6:7], v26 offset0:192 offset1:224
	s_waitcnt lgkmcnt(2)
	v_add_f32_e32 v4, v4, v11
	v_add_f32_e32 v4, v4, v12
	ds_read2_b32 v[11:12], v15 offset1:32
	s_waitcnt lgkmcnt(2)
	v_add_f32_e32 v4, v4, v13
	v_add_f32_e32 v4, v4, v14
	ds_read2_b32 v[13:14], v15 offset0:64 offset1:96
	s_waitcnt lgkmcnt(2)
	v_add_f32_e32 v4, v4, v6
	v_add_f32_e32 v4, v4, v7
	ds_read2_b32 v[6:7], v15 offset0:128 offset1:160
	;; [unrolled: 4-line block ×3, first 2 shown]
	s_waitcnt lgkmcnt(2)
	v_add_f32_e32 v4, v4, v13
	v_add_f32_e32 v4, v4, v14
	s_waitcnt lgkmcnt(1)
	v_add_f32_e32 v4, v4, v6
	v_add_f32_e32 v4, v4, v7
	;; [unrolled: 3-line block ×3, first 2 shown]
	v_mul_f32_e32 v6, s33, v4
.LBB68_73:                              ; =>This Inner Loop Header: Depth=1
	s_waitcnt vmcnt(0)
	v_add_f32_e32 v4, v5, v6
	global_atomic_cmpswap v4, v[2:3], v[4:5], off glc
	s_waitcnt vmcnt(0)
	v_cmp_eq_u32_e32 vcc_lo, v4, v5
	v_mov_b32_e32 v5, v4
	s_or_b32 s2, vcc_lo, s2
	s_andn2_b32 exec_lo, exec_lo, s2
	s_cbranch_execnz .LBB68_73
.LBB68_74:
	s_or_b32 exec_lo, exec_lo, s1
	v_fmac_f32_e32 v24, v8, v9
	v_fmac_f32_e32 v25, v8, v10
	v_mov_b32_e32 v6, v22
.LBB68_75:
	v_lshl_add_u32 v2, v1, 2, v6
	v_add_nc_u32_e32 v2, 0x800, v2
	ds_write2_b32 v2, v24, v25 offset1:16
	s_waitcnt vmcnt(0) lgkmcnt(0)
	s_barrier
	buffer_gl0_inv
	s_and_saveexec_b32 s1, s0
	s_cbranch_execz .LBB68_79
; %bb.76:
	v_cmp_gt_i32_e32 vcc_lo, s27, v0
	s_cmp_lt_u32 s6, s26
	s_cselect_b32 s0, -1, 0
	s_or_b32 s0, vcc_lo, s0
	s_and_b32 exec_lo, exec_lo, s0
	s_cbranch_execz .LBB68_79
; %bb.77:
	v_mad_u64_u32 v[2:3], null, s14, v0, 0
	s_mul_i32 s0, s14, s25
	s_mul_hi_u32 s1, s14, s24
	s_mul_i32 s2, s15, s24
	s_add_i32 s1, s1, s0
	s_mul_i32 s0, s14, s24
	s_add_i32 s1, s1, s2
	v_mad_u64_u32 v[3:4], null, s15, v0, v[3:4]
	s_lshl_b64 s[0:1], s[0:1], 2
	v_add_nc_u32_e32 v4, 1, v0
	s_add_u32 s0, s7, s0
	s_addc_u32 s1, s12, s1
	v_add_nc_u32_e32 v6, 2, v0
	v_lshl_add_u32 v7, v0, 6, 0x800
	v_lshlrev_b64 v[2:3], 2, v[2:3]
	v_and_b32_e32 v4, 15, v4
	v_add_nc_u32_e32 v9, 3, v0
	v_and_b32_e32 v6, 15, v6
	v_lshl_or_b32 v8, v1, 2, v7
	v_add_nc_u32_e32 v10, 4, v0
	v_add_co_u32 v2, vcc_lo, s0, v2
	v_add_co_ci_u32_e64 v3, null, s1, v3, vcc_lo
	v_lshl_or_b32 v4, v4, 2, v7
	v_lshl_or_b32 v6, v6, 2, v7
	v_add_nc_u32_e32 v11, 5, v0
	global_load_dword v5, v[2:3], off
	ds_read_b32 v8, v8
	ds_read_b32 v4, v4
	;; [unrolled: 1-line block ×3, first 2 shown]
	v_add_nc_u32_e32 v12, 6, v0
	v_add_nc_u32_e32 v13, 7, v0
	v_and_b32_e32 v9, 15, v9
	v_and_b32_e32 v10, 15, v10
	;; [unrolled: 1-line block ×5, first 2 shown]
	v_lshl_or_b32 v9, v9, 2, v7
	v_lshl_or_b32 v10, v10, 2, v7
	;; [unrolled: 1-line block ×5, first 2 shown]
	ds_read_b32 v9, v9
	ds_read_b32 v10, v10
	;; [unrolled: 1-line block ×5, first 2 shown]
	v_xor_b32_e32 v1, 8, v1
	s_mov_b32 s0, 0
	s_waitcnt lgkmcnt(7)
	v_add_f32_e32 v8, 0, v8
	v_lshl_or_b32 v1, v1, 2, v7
	s_waitcnt lgkmcnt(6)
	v_add_f32_e32 v4, v8, v4
	v_add_nc_u32_e32 v8, 10, v0
	s_waitcnt lgkmcnt(5)
	v_add_f32_e32 v4, v4, v6
	v_add_nc_u32_e32 v6, 9, v0
	v_and_b32_e32 v8, 15, v8
	s_waitcnt lgkmcnt(4)
	v_add_f32_e32 v4, v4, v9
	v_and_b32_e32 v6, 15, v6
	v_lshl_or_b32 v8, v8, 2, v7
	v_add_nc_u32_e32 v9, 11, v0
	s_waitcnt lgkmcnt(3)
	v_add_f32_e32 v4, v4, v10
	v_lshl_or_b32 v6, v6, 2, v7
	v_add_nc_u32_e32 v10, 12, v0
	ds_read_b32 v1, v1
	ds_read_b32 v6, v6
	;; [unrolled: 1-line block ×3, first 2 shown]
	s_waitcnt lgkmcnt(5)
	v_add_f32_e32 v4, v4, v11
	v_add_nc_u32_e32 v11, 13, v0
	v_and_b32_e32 v9, 15, v9
	v_and_b32_e32 v10, 15, v10
	s_waitcnt lgkmcnt(4)
	v_add_f32_e32 v4, v4, v12
	v_add_nc_u32_e32 v12, 14, v0
	v_add_nc_u32_e32 v0, -1, v0
	v_and_b32_e32 v11, 15, v11
	v_lshl_or_b32 v9, v9, 2, v7
	s_waitcnt lgkmcnt(3)
	v_add_f32_e32 v4, v4, v13
	v_and_b32_e32 v12, 15, v12
	v_and_b32_e32 v0, 15, v0
	v_lshl_or_b32 v10, v10, 2, v7
	v_lshl_or_b32 v11, v11, 2, v7
	;; [unrolled: 1-line block ×4, first 2 shown]
	ds_read_b32 v7, v9
	ds_read_b32 v9, v10
	;; [unrolled: 1-line block ×5, first 2 shown]
	s_waitcnt lgkmcnt(7)
	v_add_f32_e32 v1, v4, v1
	s_waitcnt lgkmcnt(6)
	v_add_f32_e32 v1, v1, v6
	;; [unrolled: 2-line block ×8, first 2 shown]
	v_mul_f32_e32 v0, s33, v0
.LBB68_78:                              ; =>This Inner Loop Header: Depth=1
	s_waitcnt vmcnt(0)
	v_add_f32_e32 v4, v5, v0
	global_atomic_cmpswap v1, v[2:3], v[4:5], off glc
	s_waitcnt vmcnt(0)
	v_cmp_eq_u32_e32 vcc_lo, v1, v5
	v_mov_b32_e32 v5, v1
	s_or_b32 s0, vcc_lo, s0
	s_andn2_b32 exec_lo, exec_lo, s0
	s_cbranch_execnz .LBB68_78
.LBB68_79:
	s_endpgm
	.section	.rodata,"a",@progbits
	.p2align	6, 0x0
	.amdhsa_kernel _ZL62rocblas_symv_kernel_upper_double_buffered_non_diagonal_genericILi32ELi8ELi2ELi1E24rocblas_internal_val_ptrIfEPKfPfEvbiT3_lT4_lllS6_lllT5_lllii
		.amdhsa_group_segment_fixed_size 4224
		.amdhsa_private_segment_fixed_size 0
		.amdhsa_kernarg_size 384
		.amdhsa_user_sgpr_count 6
		.amdhsa_user_sgpr_private_segment_buffer 1
		.amdhsa_user_sgpr_dispatch_ptr 0
		.amdhsa_user_sgpr_queue_ptr 0
		.amdhsa_user_sgpr_kernarg_segment_ptr 1
		.amdhsa_user_sgpr_dispatch_id 0
		.amdhsa_user_sgpr_flat_scratch_init 0
		.amdhsa_user_sgpr_private_segment_size 0
		.amdhsa_wavefront_size32 1
		.amdhsa_uses_dynamic_stack 0
		.amdhsa_system_sgpr_private_segment_wavefront_offset 0
		.amdhsa_system_sgpr_workgroup_id_x 1
		.amdhsa_system_sgpr_workgroup_id_y 1
		.amdhsa_system_sgpr_workgroup_id_z 1
		.amdhsa_system_sgpr_workgroup_info 0
		.amdhsa_system_vgpr_workitem_id 1
		.amdhsa_next_free_vgpr 41
		.amdhsa_next_free_sgpr 35
		.amdhsa_reserve_vcc 1
		.amdhsa_reserve_flat_scratch 0
		.amdhsa_float_round_mode_32 0
		.amdhsa_float_round_mode_16_64 0
		.amdhsa_float_denorm_mode_32 3
		.amdhsa_float_denorm_mode_16_64 3
		.amdhsa_dx10_clamp 1
		.amdhsa_ieee_mode 1
		.amdhsa_fp16_overflow 0
		.amdhsa_workgroup_processor_mode 1
		.amdhsa_memory_ordered 1
		.amdhsa_forward_progress 1
		.amdhsa_shared_vgpr_count 0
		.amdhsa_exception_fp_ieee_invalid_op 0
		.amdhsa_exception_fp_denorm_src 0
		.amdhsa_exception_fp_ieee_div_zero 0
		.amdhsa_exception_fp_ieee_overflow 0
		.amdhsa_exception_fp_ieee_underflow 0
		.amdhsa_exception_fp_ieee_inexact 0
		.amdhsa_exception_int_div_zero 0
	.end_amdhsa_kernel
	.section	.text._ZL62rocblas_symv_kernel_upper_double_buffered_non_diagonal_genericILi32ELi8ELi2ELi1E24rocblas_internal_val_ptrIfEPKfPfEvbiT3_lT4_lllS6_lllT5_lllii,"axG",@progbits,_ZL62rocblas_symv_kernel_upper_double_buffered_non_diagonal_genericILi32ELi8ELi2ELi1E24rocblas_internal_val_ptrIfEPKfPfEvbiT3_lT4_lllS6_lllT5_lllii,comdat
.Lfunc_end68:
	.size	_ZL62rocblas_symv_kernel_upper_double_buffered_non_diagonal_genericILi32ELi8ELi2ELi1E24rocblas_internal_val_ptrIfEPKfPfEvbiT3_lT4_lllS6_lllT5_lllii, .Lfunc_end68-_ZL62rocblas_symv_kernel_upper_double_buffered_non_diagonal_genericILi32ELi8ELi2ELi1E24rocblas_internal_val_ptrIfEPKfPfEvbiT3_lT4_lllS6_lllT5_lllii
                                        ; -- End function
	.set _ZL62rocblas_symv_kernel_upper_double_buffered_non_diagonal_genericILi32ELi8ELi2ELi1E24rocblas_internal_val_ptrIfEPKfPfEvbiT3_lT4_lllS6_lllT5_lllii.num_vgpr, 41
	.set _ZL62rocblas_symv_kernel_upper_double_buffered_non_diagonal_genericILi32ELi8ELi2ELi1E24rocblas_internal_val_ptrIfEPKfPfEvbiT3_lT4_lllS6_lllT5_lllii.num_agpr, 0
	.set _ZL62rocblas_symv_kernel_upper_double_buffered_non_diagonal_genericILi32ELi8ELi2ELi1E24rocblas_internal_val_ptrIfEPKfPfEvbiT3_lT4_lllS6_lllT5_lllii.numbered_sgpr, 35
	.set _ZL62rocblas_symv_kernel_upper_double_buffered_non_diagonal_genericILi32ELi8ELi2ELi1E24rocblas_internal_val_ptrIfEPKfPfEvbiT3_lT4_lllS6_lllT5_lllii.num_named_barrier, 0
	.set _ZL62rocblas_symv_kernel_upper_double_buffered_non_diagonal_genericILi32ELi8ELi2ELi1E24rocblas_internal_val_ptrIfEPKfPfEvbiT3_lT4_lllS6_lllT5_lllii.private_seg_size, 0
	.set _ZL62rocblas_symv_kernel_upper_double_buffered_non_diagonal_genericILi32ELi8ELi2ELi1E24rocblas_internal_val_ptrIfEPKfPfEvbiT3_lT4_lllS6_lllT5_lllii.uses_vcc, 1
	.set _ZL62rocblas_symv_kernel_upper_double_buffered_non_diagonal_genericILi32ELi8ELi2ELi1E24rocblas_internal_val_ptrIfEPKfPfEvbiT3_lT4_lllS6_lllT5_lllii.uses_flat_scratch, 0
	.set _ZL62rocblas_symv_kernel_upper_double_buffered_non_diagonal_genericILi32ELi8ELi2ELi1E24rocblas_internal_val_ptrIfEPKfPfEvbiT3_lT4_lllS6_lllT5_lllii.has_dyn_sized_stack, 0
	.set _ZL62rocblas_symv_kernel_upper_double_buffered_non_diagonal_genericILi32ELi8ELi2ELi1E24rocblas_internal_val_ptrIfEPKfPfEvbiT3_lT4_lllS6_lllT5_lllii.has_recursion, 0
	.set _ZL62rocblas_symv_kernel_upper_double_buffered_non_diagonal_genericILi32ELi8ELi2ELi1E24rocblas_internal_val_ptrIfEPKfPfEvbiT3_lT4_lllS6_lllT5_lllii.has_indirect_call, 0
	.section	.AMDGPU.csdata,"",@progbits
; Kernel info:
; codeLenInByte = 3772
; TotalNumSgprs: 37
; NumVgprs: 41
; ScratchSize: 0
; MemoryBound: 0
; FloatMode: 240
; IeeeMode: 1
; LDSByteSize: 4224 bytes/workgroup (compile time only)
; SGPRBlocks: 0
; VGPRBlocks: 5
; NumSGPRsForWavesPerEU: 37
; NumVGPRsForWavesPerEU: 41
; Occupancy: 16
; WaveLimiterHint : 0
; COMPUTE_PGM_RSRC2:SCRATCH_EN: 0
; COMPUTE_PGM_RSRC2:USER_SGPR: 6
; COMPUTE_PGM_RSRC2:TRAP_HANDLER: 0
; COMPUTE_PGM_RSRC2:TGID_X_EN: 1
; COMPUTE_PGM_RSRC2:TGID_Y_EN: 1
; COMPUTE_PGM_RSRC2:TGID_Z_EN: 1
; COMPUTE_PGM_RSRC2:TIDIG_COMP_CNT: 1
	.section	.text._ZL26rocblas_hemvn_kernel_upperILb0ELi64ELi4ELi33ELi32ELi16ElPKfS1_PfEviT6_lT7_lT5_lS4_lS5_lS3_lT8_i,"axG",@progbits,_ZL26rocblas_hemvn_kernel_upperILb0ELi64ELi4ELi33ELi32ELi16ElPKfS1_PfEviT6_lT7_lT5_lS4_lS5_lS3_lT8_i,comdat
	.globl	_ZL26rocblas_hemvn_kernel_upperILb0ELi64ELi4ELi33ELi32ELi16ElPKfS1_PfEviT6_lT7_lT5_lS4_lS5_lS3_lT8_i ; -- Begin function _ZL26rocblas_hemvn_kernel_upperILb0ELi64ELi4ELi33ELi32ELi16ElPKfS1_PfEviT6_lT7_lT5_lS4_lS5_lS3_lT8_i
	.p2align	8
	.type	_ZL26rocblas_hemvn_kernel_upperILb0ELi64ELi4ELi33ELi32ELi16ElPKfS1_PfEviT6_lT7_lT5_lS4_lS5_lS3_lT8_i,@function
_ZL26rocblas_hemvn_kernel_upperILb0ELi64ELi4ELi33ELi32ELi16ElPKfS1_PfEviT6_lT7_lT5_lS4_lS5_lS3_lT8_i: ; @_ZL26rocblas_hemvn_kernel_upperILb0ELi64ELi4ELi33ELi32ELi16ElPKfS1_PfEviT6_lT7_lT5_lS4_lS5_lS3_lT8_i
; %bb.0:
	s_load_dwordx2 s[2:3], s[4:5], 0x84
	s_add_u32 s0, s4, 0x78
	s_addc_u32 s1, s5, 0
	s_waitcnt lgkmcnt(0)
	s_lshr_b32 s8, s2, 16
	s_and_b32 s2, s2, 0xffff
	s_and_b32 s3, s3, 0xffff
	s_mul_i32 s2, s8, s2
	s_mul_i32 s2, s2, s3
	s_cmpk_lg_i32 s2, 0x100
	s_cbranch_scc1 .LBB69_128
; %bb.1:
	s_clause 0x1
	s_load_dwordx16 s[8:23], s[4:5], 0x8
	s_load_dwordx8 s[24:31], s[4:5], 0x48
	s_waitcnt lgkmcnt(0)
	s_mul_i32 s3, s11, s7
	s_mul_hi_u32 s11, s10, s7
	s_mul_i32 s2, s10, s7
	s_add_i32 s3, s11, s3
	s_mul_i32 s10, s31, s7
	s_lshl_b64 s[2:3], s[2:3], 2
	s_mul_hi_u32 s11, s30, s7
	s_add_u32 s2, s8, s2
	s_addc_u32 s3, s9, s3
	s_add_i32 s9, s11, s10
	s_mul_i32 s8, s30, s7
	s_lshl_b64 s[8:9], s[8:9], 2
	s_add_u32 s8, s28, s8
	s_addc_u32 s9, s29, s9
	s_load_dword s2, s[2:3], 0x0
	s_load_dword s3, s[8:9], 0x0
	s_waitcnt lgkmcnt(0)
	v_cmp_eq_f32_e64 s2, s2, 0
	v_cmp_eq_f32_e64 s3, s3, 1.0
	s_and_b32 s3, s2, s3
	s_and_b32 vcc_lo, exec_lo, s3
	s_cbranch_vccnz .LBB69_128
; %bb.2:
	s_and_b32 vcc_lo, exec_lo, s2
	s_cbranch_vccnz .LBB69_128
; %bb.3:
	s_mul_i32 s3, s27, s7
	s_mul_hi_u32 s8, s26, s7
	s_mul_i32 s2, s26, s7
	s_add_i32 s3, s8, s3
	s_load_dword s27, s[4:5], 0x0
	s_lshl_b64 s[2:3], s[2:3], 2
	s_add_u32 s8, s20, s2
	s_addc_u32 s9, s21, s3
	s_lshl_b64 s[2:3], s[22:23], 2
	s_load_dwordx2 s[22:23], s[4:5], 0x68
	s_add_u32 s2, s8, s2
	s_addc_u32 s3, s9, s3
	s_lshl_b32 s20, s6, 6
	s_load_dword s9, s[0:1], 0x0
	v_add_nc_u32_e32 v18, s20, v0
	v_ashrrev_i32_e32 v19, 31, v18
	v_mul_lo_u32 v4, s25, v18
	v_mad_u64_u32 v[2:3], null, s24, v18, 0
	s_waitcnt lgkmcnt(0)
	s_ashr_i32 s28, s27, 31
	v_mul_lo_u32 v5, s24, v19
	s_lshr_b32 s0, s28, 26
	s_add_i32 s0, s27, s0
	s_andn2_b32 s0, s0, 63
	s_sub_i32 s26, s27, s0
	v_add3_u32 v3, v3, v5, v4
	s_add_i32 s1, s9, -1
	v_cmp_eq_u32_e64 s0, 0, v1
	s_cmp_eq_u32 s6, s1
	v_lshlrev_b64 v[2:3], 2, v[2:3]
	s_cselect_b32 s10, s26, 0
	v_add_co_u32 v8, vcc_lo, s2, v2
	v_add_co_ci_u32_e64 v9, null, s3, v3, vcc_lo
	s_and_saveexec_b32 s1, s0
	s_cbranch_execz .LBB69_7
; %bb.4:
	v_cmp_gt_i32_e32 vcc_lo, s10, v0
	s_cmp_eq_u32 s10, 0
	v_mov_b32_e32 v2, 0
	s_cselect_b32 s2, -1, 0
	s_or_b32 s3, s2, vcc_lo
	s_and_saveexec_b32 s2, s3
	s_cbranch_execz .LBB69_6
; %bb.5:
	global_load_dword v2, v[8:9], off
.LBB69_6:
	s_or_b32 exec_lo, exec_lo, s2
	v_lshlrev_b32_e32 v3, 2, v0
	s_waitcnt vmcnt(0)
	ds_write_b32 v3, v2 offset:4544
.LBB69_7:
	s_or_b32 exec_lo, exec_lo, s1
	v_lshl_add_u32 v14, v1, 6, v0
	v_and_b32_e32 v2, 31, v0
	v_mov_b32_e32 v3, 0
	s_mul_i32 s1, s19, s7
	s_mul_hi_u32 s3, s18, s7
	v_lshrrev_b32_e32 v15, 5, v14
	s_mul_i32 s2, s18, s7
	s_add_i32 s3, s3, s1
	s_mul_hi_u32 s1, s16, s20
	s_lshl_b64 s[2:3], s[2:3], 2
	v_mad_u64_u32 v[4:5], null, s16, v15, v[2:3]
	s_add_u32 s4, s12, s2
	s_addc_u32 s5, s13, s3
	s_lshl_b64 s[2:3], s[14:15], 2
	s_mul_i32 s8, s17, s20
	s_add_u32 s11, s4, s2
	s_addc_u32 s3, s5, s3
	v_mad_u64_u32 v[5:6], null, s17, v15, v[5:6]
	s_ashr_i32 s21, s20, 31
	s_mul_i32 s2, s16, s20
	s_lshl_b64 s[4:5], s[20:21], 2
	s_mul_i32 s12, s16, s21
	s_add_u32 s4, s11, s4
	s_addc_u32 s5, s3, s5
	v_lshlrev_b64 v[6:7], 2, v[4:5]
	s_add_i32 s1, s1, s12
	v_lshlrev_b32_e32 v16, 2, v2
	s_add_i32 s3, s1, s8
	v_cmp_gt_i32_e64 s1, s10, v2
	s_lshl_b64 s[2:3], s[2:3], 2
	v_add_co_u32 v4, vcc_lo, s4, v6
	v_add_co_ci_u32_e64 v5, null, s5, v7, vcc_lo
	s_cmp_eq_u32 s10, 0
	v_add_co_u32 v10, s2, v4, s2
	s_cselect_b32 s18, -1, 0
	s_cmp_lg_u32 s10, 0
	v_add_co_ci_u32_e64 v11, null, s3, v5, s2
	s_cselect_b32 s19, -1, 0
	s_and_b32 vcc_lo, exec_lo, s19
	s_cbranch_vccz .LBB69_17
; %bb.8:
	v_sub_co_u32 v4, vcc_lo, v10, v16
	s_ashr_i32 s11, s10, 31
	v_subrev_co_ci_u32_e64 v5, null, 0, v11, vcc_lo
	s_lshl_b64 s[2:3], s[10:11], 2
	s_mov_b32 s4, exec_lo
	v_add_co_u32 v4, vcc_lo, v4, s2
	v_add_co_ci_u32_e64 v5, null, s3, v5, vcc_lo
	v_add_co_u32 v4, vcc_lo, v4, -4
	v_add_co_ci_u32_e64 v5, null, -1, v5, vcc_lo
	v_cndmask_b32_e64 v4, v4, v10, s1
	v_cndmask_b32_e64 v5, v5, v11, s1
	v_cmpx_gt_i32_e64 s10, v15
	s_cbranch_execz .LBB69_10
; %bb.9:
	global_load_dword v3, v[4:5], off
.LBB69_10:
	s_or_b32 exec_lo, exec_lo, s4
	v_lshlrev_b32_e32 v12, 2, v2
	v_add_nc_u32_e32 v13, 8, v15
	v_mul_u32_u24_e32 v17, 0x84, v15
	v_mov_b32_e32 v20, 0
	v_mad_u32_u24 v21, 0x84, v15, v12
	v_cmp_gt_i32_e32 vcc_lo, s10, v13
	v_mov_b32_e32 v13, 0
	s_waitcnt vmcnt(0)
	ds_write_b32 v21, v3
	s_and_saveexec_b32 s4, vcc_lo
	s_cbranch_execz .LBB69_12
; %bb.11:
	s_lshl_b64 s[12:13], s[16:17], 5
	v_add_co_u32 v20, vcc_lo, v4, s12
	v_add_co_ci_u32_e64 v21, null, s13, v5, vcc_lo
	global_load_dword v20, v[20:21], off
.LBB69_12:
	s_or_b32 exec_lo, exec_lo, s4
	v_add_nc_u32_e32 v3, 16, v15
	v_add_nc_u32_e32 v12, v17, v12
	s_mov_b32 s4, exec_lo
	s_waitcnt vmcnt(0)
	ds_write_b32 v12, v20 offset:1056
	v_cmpx_gt_i32_e64 s10, v3
	s_cbranch_execz .LBB69_14
; %bb.13:
	s_lshl_b64 s[12:13], s[16:17], 6
	v_add_co_u32 v20, vcc_lo, v4, s12
	v_add_co_ci_u32_e64 v21, null, s13, v5, vcc_lo
	global_load_dword v13, v[20:21], off
.LBB69_14:
	s_or_b32 exec_lo, exec_lo, s4
	v_add_nc_u32_e32 v3, 24, v15
	v_mov_b32_e32 v17, 0
	s_mov_b32 s4, exec_lo
	s_waitcnt vmcnt(0)
	ds_write_b32 v12, v13 offset:2112
	v_cmpx_gt_i32_e64 s10, v3
	s_cbranch_execz .LBB69_16
; %bb.15:
	v_mad_u64_u32 v[20:21], null, 0x60, s16, v[4:5]
	v_mov_b32_e32 v3, v21
	v_mad_u64_u32 v[21:22], null, 0x60, s17, v[3:4]
	global_load_dword v17, v[20:21], off
.LBB69_16:
	s_or_b32 exec_lo, exec_lo, s4
	v_add_co_u32 v3, vcc_lo, v4, v16
	v_add_co_ci_u32_e64 v4, null, 0, v5, vcc_lo
	s_waitcnt vmcnt(0)
	ds_write_b32 v12, v17 offset:3168
	v_sub_co_u32 v3, vcc_lo, v3, s2
	v_subrev_co_ci_u32_e64 v4, null, s3, v4, vcc_lo
	v_add_co_u32 v3, vcc_lo, v3, 4
	v_add_co_ci_u32_e64 v4, null, 0, v4, vcc_lo
	v_cndmask_b32_e64 v3, v3, v10, s1
	v_cndmask_b32_e64 v4, v4, v11, s1
	v_mul_u32_u24_e32 v22, 0x84, v15
	s_branch .LBB69_19
.LBB69_17:
                                        ; implicit-def: $vgpr3_vgpr4
	v_mul_u32_u24_e32 v22, 0x84, v15
	s_cbranch_execz .LBB69_19
; %bb.18:
	s_lshl_b64 s[2:3], s[16:17], 5
	v_add_co_u32 v3, vcc_lo, v10, s2
	v_add_co_ci_u32_e64 v4, null, s3, v11, vcc_lo
	v_add_co_u32 v12, vcc_lo, v3, s2
	v_add_co_ci_u32_e64 v13, null, s3, v4, vcc_lo
	;; [unrolled: 2-line block ×3, first 2 shown]
	s_clause 0x3
	global_load_dword v5, v[10:11], off
	global_load_dword v17, v[3:4], off
	;; [unrolled: 1-line block ×4, first 2 shown]
	v_mov_b32_e32 v3, v10
	v_lshl_add_u32 v20, v2, 2, v22
	v_mov_b32_e32 v4, v11
	s_waitcnt vmcnt(3)
	ds_write_b32 v20, v5
	s_waitcnt vmcnt(2)
	ds_write_b32 v20, v17 offset:1056
	s_waitcnt vmcnt(1)
	ds_write_b32 v20, v12 offset:2112
	;; [unrolled: 2-line block ×3, first 2 shown]
.LBB69_19:
	v_lshlrev_b32_e32 v23, 2, v2
	v_lshlrev_b32_e32 v5, 2, v15
	s_waitcnt lgkmcnt(0)
	s_barrier
	buffer_gl0_inv
	v_lshl_or_b32 v10, v2, 7, v23
	v_cmp_gt_u32_e64 s2, v5, v2
	v_lshl_add_u32 v12, v5, 2, v10
	v_mad_u32_u24 v10, 0x210, v15, v23
	s_and_saveexec_b32 s1, s2
	s_cbranch_execz .LBB69_21
; %bb.20:
	ds_read_b32 v11, v10
	s_waitcnt lgkmcnt(0)
	ds_write_b32 v12, v11
.LBB69_21:
	s_or_b32 exec_lo, exec_lo, s1
	v_or_b32_e32 v25, 1, v5
	v_cmp_ge_u32_e64 s3, v5, v2
	v_mad_u32_u24 v11, 0x84, v25, v23
	s_and_saveexec_b32 s1, s3
	s_cbranch_execz .LBB69_23
; %bb.22:
	ds_read_b32 v13, v11
	s_waitcnt lgkmcnt(0)
	ds_write_b32 v12, v13 offset:4
.LBB69_23:
	s_or_b32 exec_lo, exec_lo, s1
	v_or_b32_e32 v13, 2, v5
	v_cmp_gt_u32_e64 s4, v13, v2
	s_and_saveexec_b32 s1, s4
	s_cbranch_execz .LBB69_25
; %bb.24:
	v_mad_u32_u24 v13, 0x84, v13, v23
	ds_read_b32 v13, v13
	s_waitcnt lgkmcnt(0)
	ds_write_b32 v12, v13 offset:8
.LBB69_25:
	s_or_b32 exec_lo, exec_lo, s1
	v_or_b32_e32 v17, 3, v5
	s_mov_b32 s1, exec_lo
	v_cmp_gt_u32_e64 s5, v17, v2
	v_mul_u32_u24_e32 v13, 0x84, v17
	v_cmpx_le_u32_e64 v17, v2
	s_xor_b32 s1, exec_lo, s1
; %bb.26:
	v_mul_u32_u24_e32 v13, 0x84, v17
                                        ; implicit-def: $vgpr17
                                        ; implicit-def: $vgpr12
; %bb.27:
	s_andn2_saveexec_b32 s1, s1
	s_cbranch_execz .LBB69_29
; %bb.28:
	v_mad_u32_u24 v17, 0x84, v17, v23
	ds_read_b32 v17, v17
	s_waitcnt lgkmcnt(0)
	ds_write_b32 v12, v17 offset:12
.LBB69_29:
	s_or_b32 exec_lo, exec_lo, s1
	v_lshlrev_b32_e32 v27, 2, v5
	s_waitcnt lgkmcnt(0)
	s_barrier
	buffer_gl0_inv
	ds_read_b32 v12, v10
	ds_read_b128 v[28:31], v27 offset:4544
	ds_read2_b32 v[10:11], v11 offset1:33
	v_add_nc_u32_e32 v21, v23, v13
	v_mul_u32_u24_e32 v17, 33, v2
	v_cmp_gt_u32_e64 s1, 32, v14
	ds_read_b32 v13, v21
	v_lshlrev_b32_e32 v17, 2, v17
	s_waitcnt lgkmcnt(0)
	s_barrier
	buffer_gl0_inv
	v_lshl_add_u32 v20, v15, 2, v17
	v_fma_f32 v12, v12, v28, 0
	v_fmac_f32_e32 v12, v10, v29
	v_fmac_f32_e32 v12, v11, v30
	v_mov_b32_e32 v30, 0
	v_fmac_f32_e32 v12, v13, v31
	ds_write_b32 v20, v12
	s_waitcnt lgkmcnt(0)
	s_barrier
	buffer_gl0_inv
	s_and_saveexec_b32 s8, s1
	s_cbranch_execz .LBB69_31
; %bb.30:
	ds_read2_b32 v[10:11], v17 offset1:1
	ds_read2_b32 v[12:13], v17 offset0:2 offset1:3
	ds_read2_b32 v[28:29], v17 offset0:4 offset1:5
	;; [unrolled: 1-line block ×3, first 2 shown]
	s_waitcnt lgkmcnt(3)
	v_add_f32_e32 v10, v10, v11
	s_waitcnt lgkmcnt(2)
	v_add_f32_e32 v10, v10, v12
	v_add_f32_e32 v10, v10, v13
	s_waitcnt lgkmcnt(1)
	v_add_f32_e32 v10, v10, v28
	;; [unrolled: 3-line block ×3, first 2 shown]
	v_add_f32_e32 v30, v10, v31
.LBB69_31:
	s_or_b32 exec_lo, exec_lo, s8
	s_lshl_b64 s[12:13], s[16:17], 7
	v_add_co_u32 v12, vcc_lo, v3, s12
	v_add_co_ci_u32_e64 v13, null, s13, v4, vcc_lo
	s_lshl_b64 s[12:13], s[16:17], 5
	v_add_co_u32 v10, vcc_lo, 0x80, v12
	v_add_co_ci_u32_e64 v11, null, 0, v13, vcc_lo
	s_and_b32 vcc_lo, exec_lo, s19
	s_barrier
	buffer_gl0_inv
	s_cbranch_vccz .LBB69_41
; %bb.32:
	v_sub_co_u32 v3, vcc_lo, v12, v16
	s_ashr_i32 s11, s10, 31
	v_subrev_co_ci_u32_e64 v4, null, 0, v13, vcc_lo
	s_lshl_b64 s[14:15], s[10:11], 2
	v_or_b32_e32 v24, 32, v2
	v_add_co_u32 v3, vcc_lo, v3, s14
	v_add_co_ci_u32_e64 v4, null, s15, v4, vcc_lo
	v_mov_b32_e32 v28, 0
	v_add_co_u32 v3, vcc_lo, v3, -4
	v_add_co_ci_u32_e64 v4, null, -1, v4, vcc_lo
	v_cmp_gt_i32_e32 vcc_lo, s10, v24
	v_mov_b32_e32 v24, 0
	s_sub_i32 s11, s10, 32
	s_mov_b32 s29, exec_lo
	v_cndmask_b32_e32 v4, v4, v11, vcc_lo
	v_cndmask_b32_e32 v3, v3, v10, vcc_lo
	v_cmpx_gt_i32_e64 s11, v15
	s_cbranch_execz .LBB69_34
; %bb.33:
	global_load_dword v24, v[3:4], off
.LBB69_34:
	s_or_b32 exec_lo, exec_lo, s29
	v_add_nc_u32_e32 v26, 8, v15
	v_mad_u32_u24 v29, 0x84, v15, v23
	s_mov_b32 s29, exec_lo
	s_waitcnt vmcnt(0)
	ds_write_b32 v29, v24
	v_cmpx_gt_i32_e64 s11, v26
	s_cbranch_execz .LBB69_36
; %bb.35:
	v_add_co_u32 v28, s8, v3, s12
	v_add_co_ci_u32_e64 v29, null, s13, v4, s8
	global_load_dword v28, v[28:29], off
.LBB69_36:
	s_or_b32 exec_lo, exec_lo, s29
	v_add_nc_u32_e32 v29, 16, v15
	v_add_nc_u32_e32 v24, v22, v23
	v_mov_b32_e32 v26, 0
	v_cmp_gt_i32_e64 s8, s11, v29
	v_mov_b32_e32 v29, 0
	s_waitcnt vmcnt(0)
	ds_write_b32 v24, v28 offset:1056
	s_and_saveexec_b32 s29, s8
	s_cbranch_execz .LBB69_38
; %bb.37:
	s_lshl_b64 s[30:31], s[16:17], 6
	v_add_co_u32 v28, s8, v3, s30
	v_add_co_ci_u32_e64 v29, null, s31, v4, s8
	global_load_dword v29, v[28:29], off
.LBB69_38:
	s_or_b32 exec_lo, exec_lo, s29
	v_add_nc_u32_e32 v28, 24, v15
	s_waitcnt vmcnt(0)
	ds_write_b32 v24, v29 offset:2112
	v_cmp_gt_i32_e64 s8, s11, v28
	s_and_saveexec_b32 s11, s8
	s_cbranch_execz .LBB69_40
; %bb.39:
	v_mad_u64_u32 v[28:29], null, 0x60, s16, v[3:4]
	v_mov_b32_e32 v26, v29
	v_mad_u64_u32 v[31:32], null, 0x60, s17, v[26:27]
	v_mov_b32_e32 v29, v31
	global_load_dword v26, v[28:29], off
.LBB69_40:
	s_or_b32 exec_lo, exec_lo, s11
	v_add_co_u32 v3, s8, v3, v16
	v_add_co_ci_u32_e64 v4, null, 0, v4, s8
	s_waitcnt vmcnt(0)
	ds_write_b32 v24, v26 offset:3168
	v_sub_co_u32 v3, s8, v3, s14
	v_subrev_co_ci_u32_e64 v4, null, s15, v4, s8
	v_add_co_u32 v3, s8, 0x84, v3
	v_add_co_ci_u32_e64 v4, null, 0, v4, s8
	v_cndmask_b32_e32 v3, v3, v10, vcc_lo
	v_cndmask_b32_e32 v4, v4, v11, vcc_lo
	v_mul_u32_u24_e32 v26, 0x210, v15
	v_mad_u32_u24 v24, 0x84, v15, v23
	s_branch .LBB69_43
.LBB69_41:
                                        ; implicit-def: $vgpr3_vgpr4
	v_mul_u32_u24_e32 v26, 0x210, v15
	v_mad_u32_u24 v24, 0x84, v15, v23
	s_cbranch_execz .LBB69_43
; %bb.42:
	v_add_co_u32 v3, vcc_lo, v12, s12
	v_add_co_ci_u32_e64 v4, null, s13, v13, vcc_lo
	v_add_co_u32 v28, vcc_lo, v3, s12
	v_add_co_ci_u32_e64 v29, null, s13, v4, vcc_lo
	v_add_co_u32 v31, vcc_lo, v28, s12
	v_add_co_ci_u32_e64 v32, null, s13, v29, vcc_lo
	s_clause 0x3
	global_load_dword v12, v[12:13], off offset:128
	global_load_dword v13, v[3:4], off offset:128
	;; [unrolled: 1-line block ×4, first 2 shown]
	v_mov_b32_e32 v3, v10
	v_mov_b32_e32 v4, v11
	s_waitcnt vmcnt(3)
	ds_write_b32 v24, v12
	s_waitcnt vmcnt(2)
	ds_write_b32 v24, v13 offset:1056
	s_waitcnt vmcnt(1)
	ds_write_b32 v24, v28 offset:2112
	;; [unrolled: 2-line block ×3, first 2 shown]
.LBB69_43:
	v_mul_u32_u24_e32 v11, 0x84, v25
	v_add_nc_u32_e32 v25, v23, v26
	v_lshl_add_u32 v10, v5, 2, v17
	s_waitcnt lgkmcnt(0)
	s_barrier
	buffer_gl0_inv
	s_and_saveexec_b32 s8, s2
	s_cbranch_execnz .LBB69_60
; %bb.44:
	s_or_b32 exec_lo, exec_lo, s8
	v_add_nc_u32_e32 v26, v23, v11
	s_and_saveexec_b32 s2, s3
	s_cbranch_execnz .LBB69_61
.LBB69_45:
	s_or_b32 exec_lo, exec_lo, s2
	s_and_saveexec_b32 s2, s4
	s_cbranch_execnz .LBB69_62
.LBB69_46:
	s_or_b32 exec_lo, exec_lo, s2
	v_add_nc_u32_e32 v27, 0x11c0, v27
	s_and_saveexec_b32 s2, s5
	s_cbranch_execz .LBB69_48
.LBB69_47:
	ds_read_b32 v11, v21
	s_waitcnt lgkmcnt(0)
	ds_write_b32 v10, v11 offset:12
.LBB69_48:
	s_or_b32 exec_lo, exec_lo, s2
	s_waitcnt lgkmcnt(0)
	s_barrier
	buffer_gl0_inv
	ds_read_b32 v31, v25
	ds_read_b128 v[10:13], v27 offset:128
	ds_read2_b32 v[28:29], v26 offset1:33
	ds_read_b32 v32, v21
	v_cmp_eq_u32_e64 s2, 1, v15
	s_waitcnt lgkmcnt(0)
	s_barrier
	buffer_gl0_inv
	v_fma_f32 v10, v31, v10, 0
	v_fmac_f32_e32 v10, v28, v11
	v_fmac_f32_e32 v10, v29, v12
	;; [unrolled: 1-line block ×3, first 2 shown]
	ds_write_b32 v20, v10
	s_waitcnt lgkmcnt(0)
	s_barrier
	buffer_gl0_inv
	s_and_saveexec_b32 s3, s2
	s_cbranch_execz .LBB69_50
; %bb.49:
	ds_read2_b32 v[10:11], v17 offset1:1
	ds_read2_b32 v[12:13], v17 offset0:2 offset1:3
	ds_read2_b32 v[28:29], v17 offset0:4 offset1:5
	;; [unrolled: 1-line block ×3, first 2 shown]
	s_waitcnt lgkmcnt(3)
	v_add_f32_e32 v10, v10, v11
	s_waitcnt lgkmcnt(2)
	v_add_f32_e32 v10, v10, v12
	v_add_f32_e32 v10, v10, v13
	s_waitcnt lgkmcnt(1)
	v_add_f32_e32 v10, v10, v28
	;; [unrolled: 3-line block ×3, first 2 shown]
	v_add_f32_e32 v30, v10, v31
.LBB69_50:
	s_or_b32 exec_lo, exec_lo, s3
	v_add_co_u32 v12, vcc_lo, 0xffffff80, v3
	v_add_co_ci_u32_e64 v13, null, -1, v4, vcc_lo
	s_and_b32 vcc_lo, exec_lo, s19
	s_barrier
	buffer_gl0_inv
	s_cbranch_vccz .LBB69_63
; %bb.51:
	v_sub_co_u32 v10, vcc_lo, v3, v16
	s_ashr_i32 s11, s10, 31
	v_subrev_co_ci_u32_e64 v11, null, 0, v4, vcc_lo
	s_lshl_b64 s[4:5], s[10:11], 2
	v_mov_b32_e32 v31, 0
	v_add_co_u32 v10, vcc_lo, v10, s4
	v_add_co_ci_u32_e64 v11, null, s5, v11, vcc_lo
	v_mov_b32_e32 v28, 0
	v_add_co_u32 v10, vcc_lo, 0xffffff7c, v10
	v_add_co_ci_u32_e64 v11, null, -1, v11, vcc_lo
	v_cmp_gt_i32_e32 vcc_lo, s10, v2
	s_sub_i32 s8, s10, 32
	s_mov_b32 s11, exec_lo
	v_cndmask_b32_e32 v11, v11, v13, vcc_lo
	v_cndmask_b32_e32 v10, v10, v12, vcc_lo
	v_cmpx_gt_i32_e64 s8, v15
	s_cbranch_execz .LBB69_53
; %bb.52:
	global_load_dword v28, v[10:11], off
.LBB69_53:
	s_or_b32 exec_lo, exec_lo, s11
	v_add_nc_u32_e32 v2, 8, v15
	s_mov_b32 s11, exec_lo
	s_waitcnt vmcnt(0)
	ds_write_b32 v24, v28
	v_cmpx_gt_i32_e64 s8, v2
	s_cbranch_execz .LBB69_55
; %bb.54:
	v_add_co_u32 v28, s3, v10, s12
	v_add_co_ci_u32_e64 v29, null, s13, v11, s3
	global_load_dword v31, v[28:29], off
.LBB69_55:
	s_or_b32 exec_lo, exec_lo, s11
	v_add_nc_u32_e32 v28, 16, v15
	v_add_nc_u32_e32 v23, v22, v23
	v_mov_b32_e32 v29, 0
	v_mov_b32_e32 v32, 0
	s_mov_b32 s11, exec_lo
	s_waitcnt vmcnt(0)
	ds_write_b32 v23, v31 offset:1056
	v_cmpx_gt_i32_e64 s8, v28
	s_cbranch_execz .LBB69_57
; %bb.56:
	s_lshl_b64 s[14:15], s[16:17], 6
	v_add_co_u32 v31, s3, v10, s14
	v_add_co_ci_u32_e64 v32, null, s15, v11, s3
	global_load_dword v32, v[31:32], off
.LBB69_57:
	s_or_b32 exec_lo, exec_lo, s11
	v_add_nc_u32_e32 v22, 24, v15
	s_waitcnt vmcnt(0)
	ds_write_b32 v23, v32 offset:2112
	v_cmp_gt_i32_e64 s3, s8, v22
	s_and_saveexec_b32 s8, s3
	s_cbranch_execz .LBB69_59
; %bb.58:
	v_mad_u64_u32 v[31:32], null, 0x60, s16, v[10:11]
	v_mov_b32_e32 v29, v32
	v_mad_u64_u32 v[32:33], null, 0x60, s17, v[29:30]
	global_load_dword v29, v[31:32], off
.LBB69_59:
	s_or_b32 exec_lo, exec_lo, s8
	v_add_co_u32 v10, s3, v10, v16
	v_add_co_ci_u32_e64 v11, null, 0, v11, s3
	s_waitcnt vmcnt(0)
	ds_write_b32 v23, v29 offset:3168
	v_sub_co_u32 v10, s3, v10, s4
	v_subrev_co_ci_u32_e64 v11, null, s5, v11, s3
	v_add_co_u32 v10, s3, v10, 4
	v_add_co_ci_u32_e64 v11, null, 0, v11, s3
	v_cndmask_b32_e32 v10, v10, v12, vcc_lo
	v_cndmask_b32_e32 v11, v11, v13, vcc_lo
	s_branch .LBB69_65
.LBB69_60:
	ds_read_b32 v12, v25
	s_waitcnt lgkmcnt(0)
	ds_write_b32 v10, v12
	s_or_b32 exec_lo, exec_lo, s8
	v_add_nc_u32_e32 v26, v23, v11
	s_and_saveexec_b32 s2, s3
	s_cbranch_execz .LBB69_45
.LBB69_61:
	ds_read_b32 v11, v26
	s_waitcnt lgkmcnt(0)
	ds_write_b32 v10, v11 offset:4
	s_or_b32 exec_lo, exec_lo, s2
	s_and_saveexec_b32 s2, s4
	s_cbranch_execz .LBB69_46
.LBB69_62:
	ds_read_b32 v11, v26 offset:132
	s_waitcnt lgkmcnt(0)
	ds_write_b32 v10, v11 offset:8
	s_or_b32 exec_lo, exec_lo, s2
	v_add_nc_u32_e32 v27, 0x11c0, v27
	s_and_saveexec_b32 s2, s5
	s_cbranch_execnz .LBB69_47
	s_branch .LBB69_48
.LBB69_63:
                                        ; implicit-def: $vgpr10_vgpr11
                                        ; implicit-def: $vgpr2
                                        ; implicit-def: $vgpr28
                                        ; implicit-def: $vgpr22
	s_cbranch_execz .LBB69_65
; %bb.64:
	v_add_co_u32 v10, vcc_lo, v3, s12
	v_add_co_ci_u32_e64 v11, null, s13, v4, vcc_lo
	v_add_nc_u32_e32 v2, 8, v15
	v_add_co_u32 v22, vcc_lo, v10, s12
	v_add_co_ci_u32_e64 v23, null, s13, v11, vcc_lo
	v_add_co_u32 v28, vcc_lo, v22, s12
	v_add_co_ci_u32_e64 v29, null, s13, v23, vcc_lo
	s_clause 0x3
	global_load_dword v3, v[3:4], off offset:-128
	global_load_dword v4, v[10:11], off offset:-128
	;; [unrolled: 1-line block ×4, first 2 shown]
	v_mov_b32_e32 v10, v12
	v_add_nc_u32_e32 v28, 16, v15
	v_add_nc_u32_e32 v22, 24, v15
	v_mov_b32_e32 v11, v13
	s_waitcnt vmcnt(3)
	ds_write_b32 v24, v3
	s_waitcnt vmcnt(2)
	ds_write_b32 v24, v4 offset:1056
	s_waitcnt vmcnt(1)
	ds_write_b32 v24, v16 offset:2112
	s_waitcnt vmcnt(0)
	ds_write_b32 v24, v23 offset:3168
.LBB69_65:
	v_lshlrev_b32_e32 v2, 2, v2
	v_add_nc_u32_e32 v3, v17, v5
	v_lshlrev_b32_e32 v12, 2, v28
	v_lshlrev_b32_e32 v13, 2, v22
	s_waitcnt lgkmcnt(0)
	v_add_nc_u32_e32 v4, v17, v2
	s_barrier
	buffer_gl0_inv
	ds_read_b32 v22, v5 offset:4544
	ds_read_b32 v23, v3
	ds_read_b32 v24, v4
	;; [unrolled: 1-line block ×3, first 2 shown]
	ds_read_b32 v25, v13 offset:4544
	ds_read_b32 v28, v12 offset:4544
	;; [unrolled: 1-line block ×3, first 2 shown]
	v_add_nc_u32_e32 v2, v17, v12
	v_add_nc_u32_e32 v3, v17, v13
	ds_read_b32 v31, v2
	ds_read_b32 v32, v3
	ds_read_b128 v[2:5], v27 offset:128
	ds_read_b32 v16, v21
	ds_read2_b32 v[12:13], v26 offset1:33
	s_waitcnt lgkmcnt(0)
	s_barrier
	buffer_gl0_inv
	v_fma_f32 v21, v23, v22, 0
	v_fmac_f32_e32 v21, v24, v29
	v_fmac_f32_e32 v21, v31, v28
	;; [unrolled: 1-line block ×3, first 2 shown]
	ds_write_b32 v20, v21
	s_waitcnt lgkmcnt(0)
	s_barrier
	buffer_gl0_inv
	s_and_saveexec_b32 s3, s2
	s_cbranch_execz .LBB69_67
; %bb.66:
	ds_read2_b32 v[21:22], v17 offset1:1
	ds_read2_b32 v[23:24], v17 offset0:2 offset1:3
	ds_read2_b32 v[25:26], v17 offset0:4 offset1:5
	;; [unrolled: 1-line block ×3, first 2 shown]
	s_waitcnt lgkmcnt(3)
	v_add_f32_e32 v21, v30, v21
	v_add_f32_e32 v21, v21, v22
	s_waitcnt lgkmcnt(2)
	v_add_f32_e32 v21, v21, v23
	v_add_f32_e32 v21, v21, v24
	;; [unrolled: 3-line block ×4, first 2 shown]
.LBB69_67:
	s_or_b32 exec_lo, exec_lo, s3
	v_fma_f32 v2, v15, v2, 0
	s_barrier
	buffer_gl0_inv
	v_fmac_f32_e32 v2, v12, v3
	v_fmac_f32_e32 v2, v13, v4
	v_fmac_f32_e32 v2, v16, v5
	ds_write_b32 v20, v2
	s_waitcnt lgkmcnt(0)
	s_barrier
	buffer_gl0_inv
	s_and_saveexec_b32 s2, s1
	s_cbranch_execz .LBB69_69
; %bb.68:
	ds_read2_b32 v[2:3], v17 offset1:1
	ds_read2_b32 v[4:5], v17 offset0:2 offset1:3
	ds_read2_b32 v[12:13], v17 offset0:4 offset1:5
	;; [unrolled: 1-line block ×3, first 2 shown]
	s_waitcnt lgkmcnt(3)
	v_add_f32_e32 v2, v30, v2
	v_add_f32_e32 v2, v2, v3
	s_waitcnt lgkmcnt(2)
	v_add_f32_e32 v2, v2, v4
	v_add_f32_e32 v2, v2, v5
	;; [unrolled: 3-line block ×4, first 2 shown]
.LBB69_69:
	s_or_b32 exec_lo, exec_lo, s2
	s_mul_hi_u32 s1, s27, s7
	s_mul_i32 s28, s28, s7
	s_mul_i32 s2, s27, s7
	s_add_i32 s1, s1, s28
	s_mul_hi_u32 s3, s2, s9
	s_mul_i32 s1, s1, s9
	s_mul_i32 s2, s2, s9
	s_add_i32 s3, s3, s1
	s_mul_hi_i32 s5, s27, s6
	s_lshl_b64 s[2:3], s[2:3], 2
	s_mul_i32 s4, s27, s6
	s_add_u32 s1, s22, s2
	s_addc_u32 s2, s23, s3
	s_lshl_b64 s[4:5], s[4:5], 2
	v_lshlrev_b32_e32 v31, 2, v0
	s_add_u32 s3, s1, s4
	s_addc_u32 s7, s2, s5
	s_add_i32 s1, s6, 1
	s_cmp_ge_u32 s1, s9
	s_barrier
	buffer_gl0_inv
	s_cbranch_scc1 .LBB69_126
; %bb.70:
	s_mul_i32 s1, s24, s21
	s_mul_hi_u32 s2, s24, s20
	s_mul_i32 s4, s25, s20
	s_add_i32 s1, s2, s1
	v_lshlrev_b32_e32 v17, 4, v1
	s_add_i32 s5, s1, s4
	s_mul_i32 s4, s24, s20
	v_lshrrev_b32_e32 v2, 2, v14
	s_lshl_b64 s[4:5], s[4:5], 2
	v_and_b32_e32 v5, 48, v0
	v_sub_co_u32 v33, vcc_lo, v8, s4
	v_subrev_co_ci_u32_e64 v34, null, s5, v9, vcc_lo
	v_and_b32_e32 v8, 15, v0
	v_and_b32_e32 v4, 0x1ffc, v2
	v_add_nc_u32_e32 v9, 0x80, v17
	v_add_nc_u32_e32 v15, 0x88, v17
	v_lshlrev_b32_e32 v12, 2, v5
	v_or_b32_e32 v13, 60, v31
	v_mad_u32_u24 v38, 0x10c, v8, v4
	v_mad_u64_u32 v[2:3], null, s16, v9, 0
	v_mad_u64_u32 v[4:5], null, s16, v15, 0
	v_mul_u32_u24_e32 v20, 0x10c, v8
	v_mad_u32_u24 v39, 0x10c, v8, v12
	v_mad_u32_u24 v40, 0x10c, v8, v13
	v_add_nc_u32_e32 v22, 0x8c, v17
	v_add_nc_u32_e32 v23, 0x84, v17
	v_and_b32_e32 v21, 0x7ff0, v14
	v_mad_u64_u32 v[8:9], null, s17, v9, v[3:4]
	v_mov_b32_e32 v3, v5
	v_cmp_gt_u32_e64 s1, 64, v14
	v_mad_u64_u32 v[12:13], null, s16, v22, 0
	v_sub_co_u32 v24, vcc_lo, v2, v6
	v_mad_u64_u32 v[14:15], null, s17, v15, v[3:4]
	v_mad_u64_u32 v[15:16], null, s16, v23, 0
	v_mov_b32_e32 v2, v13
	v_add_nc_u32_e32 v13, 0xc0, v17
	v_sub_co_ci_u32_e64 v25, null, v8, v7, vcc_lo
	v_sub_co_u32 v26, vcc_lo, v4, v6
	v_mov_b32_e32 v3, v16
	v_sub_co_ci_u32_e64 v27, null, v14, v7, vcc_lo
	v_mad_u64_u32 v[8:9], null, s16, v13, 0
	v_mad_u64_u32 v[4:5], null, s17, v22, v[2:3]
	v_add_nc_u32_e32 v14, 0xc4, v17
	v_sub_co_u32 v22, vcc_lo, v12, v6
	v_add_nc_u32_e32 v41, 0xcc, v17
	v_add_nc_u32_e32 v35, 0x10c0, v17
	v_lshlrev_b32_e32 v32, 2, v1
	v_mad_u64_u32 v[2:3], null, s17, v23, v[3:4]
	v_sub_co_ci_u32_e64 v23, null, v4, v7, vcc_lo
	v_mad_u64_u32 v[4:5], null, s16, v14, 0
	v_mov_b32_e32 v3, v9
	v_sub_co_u32 v28, vcc_lo, v15, v6
	v_sub_co_ci_u32_e64 v29, null, v2, v7, vcc_lo
	v_add_nc_u32_e32 v9, 0xc8, v17
	v_mad_u64_u32 v[2:3], null, s17, v13, v[3:4]
	v_mov_b32_e32 v3, v5
	v_sub_co_u32 v49, vcc_lo, v8, v6
	v_mad_u64_u32 v[12:13], null, s16, v9, 0
	v_mad_u64_u32 v[14:15], null, s17, v14, v[3:4]
	;; [unrolled: 1-line block ×3, first 2 shown]
	v_sub_co_ci_u32_e64 v50, null, v2, v7, vcc_lo
	v_mov_b32_e32 v2, v13
	v_add_nc_u32_e32 v13, 0x100, v17
	v_sub_co_u32 v51, vcc_lo, v4, v6
	v_mov_b32_e32 v3, v16
	v_sub_co_ci_u32_e64 v52, null, v14, v7, vcc_lo
	v_add_nc_u32_e32 v14, 0x104, v17
	v_sub_co_u32 v53, vcc_lo, v12, v6
	v_mad_u64_u32 v[4:5], null, s17, v9, v[2:3]
	v_mad_u64_u32 v[8:9], null, s16, v13, 0
	v_add_nc_u32_e32 v36, 0x11c0, v31
	v_mad_u32_u24 v37, 0x430, v1, v31
	v_add_nc_u32_e32 v73, 49, v32
	v_add_nc_u32_e32 v74, v20, v21
	v_mad_u64_u32 v[2:3], null, s17, v41, v[3:4]
	v_sub_co_ci_u32_e64 v54, null, v4, v7, vcc_lo
	v_mad_u64_u32 v[4:5], null, s16, v14, 0
	v_mov_b32_e32 v3, v9
	v_sub_co_u32 v55, vcc_lo, v15, v6
	v_sub_co_ci_u32_e64 v56, null, v2, v7, vcc_lo
	v_add_nc_u32_e32 v9, 0x108, v17
	v_mad_u64_u32 v[2:3], null, s17, v13, v[3:4]
	v_mov_b32_e32 v3, v5
	v_add_nc_u32_e32 v41, 0x10c, v17
	v_mad_u64_u32 v[12:13], null, s16, v9, 0
	v_sub_co_u32 v57, vcc_lo, v8, v6
	v_mad_u64_u32 v[14:15], null, s17, v14, v[3:4]
	v_mad_u64_u32 v[15:16], null, s16, v41, 0
	v_sub_co_ci_u32_e64 v58, null, v2, v7, vcc_lo
	v_mov_b32_e32 v2, v13
	v_sub_co_u32 v59, vcc_lo, v4, v6
	v_sub_co_ci_u32_e64 v60, null, v14, v7, vcc_lo
	v_mov_b32_e32 v3, v16
	v_add_nc_u32_e32 v14, 0x140, v17
	v_sub_co_u32 v61, vcc_lo, v12, v6
	v_add_nc_u32_e32 v75, 50, v32
	v_mad_u64_u32 v[4:5], null, s17, v9, v[2:3]
	v_mad_u64_u32 v[8:9], null, s16, v14, 0
	v_add_nc_u32_e32 v76, 51, v32
	s_add_i32 s8, s9, -2
	s_add_i32 s11, s20, 64
	s_lshl_b64 s[4:5], s[16:17], 8
	v_mad_u64_u32 v[2:3], null, s17, v41, v[3:4]
	v_add_nc_u32_e32 v41, 0x144, v17
	v_sub_co_ci_u32_e64 v62, null, v4, v7, vcc_lo
	v_mov_b32_e32 v3, v9
	v_add_nc_u32_e32 v9, 0x148, v17
	v_mad_u64_u32 v[4:5], null, s16, v41, 0
	v_add_nc_u32_e32 v17, 0x14c, v17
	v_sub_co_u32 v63, vcc_lo, v15, v6
	v_mad_u64_u32 v[12:13], null, s16, v9, 0
	v_sub_co_ci_u32_e64 v64, null, v2, v7, vcc_lo
	v_mad_u64_u32 v[14:15], null, s17, v14, v[3:4]
	v_mov_b32_e32 v2, v5
	v_mad_u64_u32 v[15:16], null, s16, v17, 0
	v_mad_u64_u32 v[2:3], null, s17, v41, v[2:3]
	v_mov_b32_e32 v3, v13
	v_sub_co_u32 v13, vcc_lo, v8, v6
	v_mov_b32_e32 v5, v16
	v_sub_co_ci_u32_e64 v14, null, v14, v7, vcc_lo
	v_mad_u64_u32 v[8:9], null, s17, v9, v[3:4]
	v_sub_co_u32 v4, vcc_lo, v4, v6
	v_sub_co_ci_u32_e64 v9, null, v2, v7, vcc_lo
	v_mad_u64_u32 v[2:3], null, s17, v17, v[5:6]
	v_sub_co_u32 v3, vcc_lo, v12, v6
	v_sub_co_ci_u32_e64 v5, null, v8, v7, vcc_lo
	v_sub_co_u32 v6, vcc_lo, v15, v6
	v_sub_co_ci_u32_e64 v2, null, v2, v7, vcc_lo
	v_add_co_u32 v41, vcc_lo, v10, v24
	v_add_co_ci_u32_e64 v42, null, v11, v25, vcc_lo
	v_add_co_u32 v43, vcc_lo, v10, v26
	v_add_co_ci_u32_e64 v44, null, v11, v27, vcc_lo
	;; [unrolled: 2-line block ×16, first 2 shown]
	s_cmp_eq_u32 s8, s6
	s_cselect_b32 s12, s26, 0
	s_and_saveexec_b32 s2, s0
	s_cbranch_execz .LBB69_74
.LBB69_71:
	v_cmp_gt_i32_e32 vcc_lo, s12, v0
	s_cmp_eq_u32 s12, 0
	v_mov_b32_e32 v2, 0
	s_cselect_b32 s13, -1, 0
	s_or_b32 s14, s13, vcc_lo
	s_and_saveexec_b32 s13, s14
	s_cbranch_execz .LBB69_73
; %bb.72:
	s_ashr_i32 s14, s11, 31
	s_mul_hi_u32 s15, s24, s11
	s_mul_i32 s14, s24, s14
	s_mul_i32 s16, s25, s11
	s_add_i32 s15, s15, s14
	s_mul_i32 s14, s24, s11
	s_add_i32 s15, s15, s16
	s_lshl_b64 s[14:15], s[14:15], 2
	v_add_co_u32 v2, vcc_lo, v33, s14
	v_add_co_ci_u32_e64 v3, null, s15, v34, vcc_lo
	global_load_dword v2, v[2:3], off
.LBB69_73:
	s_or_b32 exec_lo, exec_lo, s13
	v_add_nc_u32_e32 v3, 0x10c0, v31
	s_waitcnt vmcnt(0)
	ds_write_b32 v3, v2
.LBB69_74:                              ; =>This Inner Loop Header: Depth=1
	s_or_b32 exec_lo, exec_lo, s2
	s_cmp_eq_u32 s12, 0
	v_add_co_u32 v2, vcc_lo, v41, v31
	s_cselect_b32 s13, -1, 0
	s_cmp_lg_u32 s12, 0
	v_add_co_ci_u32_e64 v3, null, 0, v42, vcc_lo
	s_cselect_b32 s2, -1, 0
	s_mov_b32 s14, -1
	s_and_b32 vcc_lo, exec_lo, s2
	s_waitcnt lgkmcnt(0)
	s_barrier
	buffer_gl0_inv
                                        ; implicit-def: $vgpr78
                                        ; implicit-def: $vgpr79
                                        ; implicit-def: $vgpr77
                                        ; implicit-def: $vgpr80
	s_cbranch_vccz .LBB69_84
; %bb.75:                               ;   in Loop: Header=BB69_74 Depth=1
	v_mov_b32_e32 v77, 0
	v_mov_b32_e32 v80, 0
	s_mov_b32 s14, exec_lo
	v_cmpx_gt_i32_e64 s12, v32
	s_cbranch_execz .LBB69_77
; %bb.76:                               ;   in Loop: Header=BB69_74 Depth=1
	global_load_dword v80, v[2:3], off
.LBB69_77:                              ;   in Loop: Header=BB69_74 Depth=1
	s_or_b32 exec_lo, exec_lo, s14
	v_or_b32_e32 v4, 1, v32
	s_mov_b32 s14, exec_lo
	v_cmpx_gt_i32_e64 s12, v4
	s_cbranch_execz .LBB69_79
; %bb.78:                               ;   in Loop: Header=BB69_74 Depth=1
	v_add_co_u32 v4, vcc_lo, v47, v31
	v_add_co_ci_u32_e64 v5, null, 0, v48, vcc_lo
	global_load_dword v77, v[4:5], off
.LBB69_79:                              ;   in Loop: Header=BB69_74 Depth=1
	s_or_b32 exec_lo, exec_lo, s14
	v_or_b32_e32 v4, 2, v32
	v_mov_b32_e32 v78, 0
	v_mov_b32_e32 v79, 0
	s_mov_b32 s14, exec_lo
	v_cmpx_gt_i32_e64 s12, v4
	s_cbranch_execz .LBB69_81
; %bb.80:                               ;   in Loop: Header=BB69_74 Depth=1
	v_add_co_u32 v4, vcc_lo, v43, v31
	v_add_co_ci_u32_e64 v5, null, 0, v44, vcc_lo
	global_load_dword v79, v[4:5], off
.LBB69_81:                              ;   in Loop: Header=BB69_74 Depth=1
	s_or_b32 exec_lo, exec_lo, s14
	v_or_b32_e32 v4, 3, v32
	s_mov_b32 s14, exec_lo
	v_cmpx_gt_i32_e64 s12, v4
	s_cbranch_execz .LBB69_83
; %bb.82:                               ;   in Loop: Header=BB69_74 Depth=1
	v_add_co_u32 v4, vcc_lo, v45, v31
	v_add_co_ci_u32_e64 v5, null, 0, v46, vcc_lo
	global_load_dword v78, v[4:5], off
.LBB69_83:                              ;   in Loop: Header=BB69_74 Depth=1
	s_or_b32 exec_lo, exec_lo, s14
	s_mov_b32 s14, 0
.LBB69_84:                              ;   in Loop: Header=BB69_74 Depth=1
	s_and_b32 vcc_lo, exec_lo, s14
	s_cbranch_vccz .LBB69_86
; %bb.85:                               ;   in Loop: Header=BB69_74 Depth=1
	v_add_co_u32 v4, vcc_lo, v47, v31
	v_add_co_ci_u32_e64 v5, null, 0, v48, vcc_lo
	v_add_co_u32 v6, vcc_lo, v43, v31
	v_add_co_ci_u32_e64 v7, null, 0, v44, vcc_lo
	;; [unrolled: 2-line block ×3, first 2 shown]
	global_load_dword v80, v[2:3], off
	global_load_dword v77, v[4:5], off
	;; [unrolled: 1-line block ×4, first 2 shown]
.LBB69_86:                              ;   in Loop: Header=BB69_74 Depth=1
	ds_read_b32 v6, v36
	ds_read_b128 v[2:5], v35
	v_cndmask_b32_e64 v28, 0, 1, s2
                                        ; implicit-def: $vgpr83
                                        ; implicit-def: $vgpr84
                                        ; implicit-def: $vgpr81
                                        ; implicit-def: $vgpr82
	s_waitcnt vmcnt(0) lgkmcnt(1)
	v_mul_f32_e32 v7, v80, v6
	v_mul_f32_e32 v8, v77, v6
	;; [unrolled: 1-line block ×4, first 2 shown]
	ds_write2_b32 v37, v7, v8 offset1:67
	ds_write2_b32 v37, v9, v6 offset0:134 offset1:201
	s_waitcnt lgkmcnt(0)
	s_barrier
	buffer_gl0_inv
	ds_read2_b32 v[16:17], v74 offset1:1
	ds_read2_b32 v[14:15], v74 offset0:2 offset1:3
	v_add_co_u32 v6, vcc_lo, v49, v31
	v_add_co_ci_u32_e64 v7, null, 0, v50, vcc_lo
	s_andn2_b32 vcc_lo, exec_lo, s2
	s_mov_b32 s2, -1
	s_waitcnt lgkmcnt(0)
	s_barrier
	buffer_gl0_inv
	s_cbranch_vccnz .LBB69_96
; %bb.87:                               ;   in Loop: Header=BB69_74 Depth=1
	v_add_nc_u32_e32 v8, 16, v32
	v_mov_b32_e32 v81, 0
	v_mov_b32_e32 v82, 0
	s_mov_b32 s2, exec_lo
	v_cmpx_gt_i32_e64 s12, v8
	s_cbranch_execz .LBB69_89
; %bb.88:                               ;   in Loop: Header=BB69_74 Depth=1
	global_load_dword v82, v[6:7], off
.LBB69_89:                              ;   in Loop: Header=BB69_74 Depth=1
	s_or_b32 exec_lo, exec_lo, s2
	v_add_nc_u32_e32 v8, 17, v32
	s_mov_b32 s2, exec_lo
	v_cmpx_gt_i32_e64 s12, v8
	s_cbranch_execz .LBB69_91
; %bb.90:                               ;   in Loop: Header=BB69_74 Depth=1
	v_add_co_u32 v8, vcc_lo, v51, v31
	v_add_co_ci_u32_e64 v9, null, 0, v52, vcc_lo
	global_load_dword v81, v[8:9], off
.LBB69_91:                              ;   in Loop: Header=BB69_74 Depth=1
	s_or_b32 exec_lo, exec_lo, s2
	v_add_nc_u32_e32 v8, 18, v32
	v_mov_b32_e32 v83, 0
	v_mov_b32_e32 v84, 0
	s_mov_b32 s2, exec_lo
	v_cmpx_gt_i32_e64 s12, v8
	s_cbranch_execz .LBB69_93
; %bb.92:                               ;   in Loop: Header=BB69_74 Depth=1
	v_add_co_u32 v8, vcc_lo, v53, v31
	v_add_co_ci_u32_e64 v9, null, 0, v54, vcc_lo
	global_load_dword v84, v[8:9], off
.LBB69_93:                              ;   in Loop: Header=BB69_74 Depth=1
	s_or_b32 exec_lo, exec_lo, s2
	v_add_nc_u32_e32 v8, 19, v32
	s_mov_b32 s2, exec_lo
	v_cmpx_gt_i32_e64 s12, v8
	s_cbranch_execz .LBB69_95
; %bb.94:                               ;   in Loop: Header=BB69_74 Depth=1
	v_add_co_u32 v8, vcc_lo, v55, v31
	v_add_co_ci_u32_e64 v9, null, 0, v56, vcc_lo
	global_load_dword v83, v[8:9], off
.LBB69_95:                              ;   in Loop: Header=BB69_74 Depth=1
	s_or_b32 exec_lo, exec_lo, s2
	s_mov_b32 s2, 0
.LBB69_96:                              ;   in Loop: Header=BB69_74 Depth=1
	s_and_b32 vcc_lo, exec_lo, s2
	s_cbranch_vccz .LBB69_98
; %bb.97:                               ;   in Loop: Header=BB69_74 Depth=1
	v_add_co_u32 v8, vcc_lo, v51, v31
	v_add_co_ci_u32_e64 v9, null, 0, v52, vcc_lo
	v_add_co_u32 v10, vcc_lo, v53, v31
	v_add_co_ci_u32_e64 v11, null, 0, v54, vcc_lo
	v_add_co_u32 v12, vcc_lo, v55, v31
	v_add_co_ci_u32_e64 v13, null, 0, v56, vcc_lo
	global_load_dword v82, v[6:7], off
	global_load_dword v81, v[8:9], off
	global_load_dword v84, v[10:11], off
	global_load_dword v83, v[12:13], off
.LBB69_98:                              ;   in Loop: Header=BB69_74 Depth=1
	ds_read_b32 v10, v36
	ds_read_b128 v[6:9], v35 offset:64
	v_cmp_ne_u32_e32 vcc_lo, 1, v28
                                        ; implicit-def: $vgpr87
                                        ; implicit-def: $vgpr88
                                        ; implicit-def: $vgpr85
                                        ; implicit-def: $vgpr86
	s_and_b32 vcc_lo, exec_lo, vcc_lo
	s_waitcnt vmcnt(0) lgkmcnt(1)
	v_mul_f32_e32 v11, v82, v10
	v_mul_f32_e32 v12, v81, v10
	;; [unrolled: 1-line block ×4, first 2 shown]
	ds_write2_b32 v37, v11, v12 offset1:67
	ds_write2_b32 v37, v13, v10 offset0:134 offset1:201
	s_waitcnt lgkmcnt(0)
	s_barrier
	buffer_gl0_inv
	ds_read2_b32 v[22:23], v74 offset1:1
	ds_read2_b32 v[20:21], v74 offset0:2 offset1:3
	v_add_co_u32 v10, s2, v57, v31
	v_add_co_ci_u32_e64 v11, null, 0, v58, s2
	s_mov_b32 s2, -1
	s_waitcnt lgkmcnt(0)
	s_barrier
	buffer_gl0_inv
	s_cbranch_vccnz .LBB69_108
; %bb.99:                               ;   in Loop: Header=BB69_74 Depth=1
	v_add_nc_u32_e32 v12, 32, v32
	v_mov_b32_e32 v85, 0
	v_mov_b32_e32 v86, 0
	s_mov_b32 s2, exec_lo
	v_cmpx_gt_i32_e64 s12, v12
	s_cbranch_execz .LBB69_101
; %bb.100:                              ;   in Loop: Header=BB69_74 Depth=1
	global_load_dword v86, v[10:11], off
.LBB69_101:                             ;   in Loop: Header=BB69_74 Depth=1
	s_or_b32 exec_lo, exec_lo, s2
	v_add_nc_u32_e32 v12, 33, v32
	s_mov_b32 s2, exec_lo
	v_cmpx_gt_i32_e64 s12, v12
	s_cbranch_execz .LBB69_103
; %bb.102:                              ;   in Loop: Header=BB69_74 Depth=1
	v_add_co_u32 v12, vcc_lo, v59, v31
	v_add_co_ci_u32_e64 v13, null, 0, v60, vcc_lo
	global_load_dword v85, v[12:13], off
.LBB69_103:                             ;   in Loop: Header=BB69_74 Depth=1
	s_or_b32 exec_lo, exec_lo, s2
	v_add_nc_u32_e32 v12, 34, v32
	v_mov_b32_e32 v87, 0
	v_mov_b32_e32 v88, 0
	s_mov_b32 s2, exec_lo
	v_cmpx_gt_i32_e64 s12, v12
	s_cbranch_execz .LBB69_105
; %bb.104:                              ;   in Loop: Header=BB69_74 Depth=1
	v_add_co_u32 v12, vcc_lo, v61, v31
	v_add_co_ci_u32_e64 v13, null, 0, v62, vcc_lo
	global_load_dword v88, v[12:13], off
.LBB69_105:                             ;   in Loop: Header=BB69_74 Depth=1
	s_or_b32 exec_lo, exec_lo, s2
	v_add_nc_u32_e32 v12, 35, v32
	s_mov_b32 s2, exec_lo
	v_cmpx_gt_i32_e64 s12, v12
	s_cbranch_execz .LBB69_107
; %bb.106:                              ;   in Loop: Header=BB69_74 Depth=1
	v_add_co_u32 v12, vcc_lo, v63, v31
	v_add_co_ci_u32_e64 v13, null, 0, v64, vcc_lo
	global_load_dword v87, v[12:13], off
.LBB69_107:                             ;   in Loop: Header=BB69_74 Depth=1
	s_or_b32 exec_lo, exec_lo, s2
	s_mov_b32 s2, 0
.LBB69_108:                             ;   in Loop: Header=BB69_74 Depth=1
	s_and_b32 vcc_lo, exec_lo, s2
	s_cbranch_vccz .LBB69_110
; %bb.109:                              ;   in Loop: Header=BB69_74 Depth=1
	v_add_co_u32 v12, vcc_lo, v59, v31
	v_add_co_ci_u32_e64 v13, null, 0, v60, vcc_lo
	v_add_co_u32 v24, vcc_lo, v61, v31
	v_add_co_ci_u32_e64 v25, null, 0, v62, vcc_lo
	;; [unrolled: 2-line block ×3, first 2 shown]
	global_load_dword v86, v[10:11], off
	global_load_dword v85, v[12:13], off
	;; [unrolled: 1-line block ×4, first 2 shown]
.LBB69_110:                             ;   in Loop: Header=BB69_74 Depth=1
	ds_read_b32 v24, v36
	ds_read_b128 v[10:13], v35 offset:128
	v_cmp_ne_u32_e32 vcc_lo, 1, v28
	v_add_co_u32 v28, s2, v65, v31
	v_add_co_ci_u32_e64 v29, null, 0, v66, s2
	s_and_b32 vcc_lo, exec_lo, vcc_lo
	s_mov_b32 s2, -1
                                        ; implicit-def: $vgpr91
                                        ; implicit-def: $vgpr92
                                        ; implicit-def: $vgpr89
                                        ; implicit-def: $vgpr90
	s_waitcnt vmcnt(0) lgkmcnt(1)
	v_mul_f32_e32 v25, v86, v24
	v_mul_f32_e32 v26, v85, v24
	v_mul_f32_e32 v27, v88, v24
	v_mul_f32_e32 v24, v87, v24
	ds_write2_b32 v37, v25, v26 offset1:67
	ds_write2_b32 v37, v27, v24 offset0:134 offset1:201
	s_waitcnt lgkmcnt(0)
	s_barrier
	buffer_gl0_inv
	ds_read2_b32 v[26:27], v74 offset1:1
	ds_read2_b32 v[24:25], v74 offset0:2 offset1:3
	s_waitcnt lgkmcnt(0)
	s_barrier
	buffer_gl0_inv
	s_cbranch_vccnz .LBB69_120
; %bb.111:                              ;   in Loop: Header=BB69_74 Depth=1
	v_add_nc_u32_e32 v90, 48, v32
	v_mov_b32_e32 v89, 0
	v_cmp_gt_i32_e32 vcc_lo, s12, v90
	v_mov_b32_e32 v90, 0
	s_and_saveexec_b32 s2, vcc_lo
	s_cbranch_execz .LBB69_113
; %bb.112:                              ;   in Loop: Header=BB69_74 Depth=1
	global_load_dword v90, v[28:29], off
.LBB69_113:                             ;   in Loop: Header=BB69_74 Depth=1
	s_or_b32 exec_lo, exec_lo, s2
	s_mov_b32 s2, exec_lo
	v_cmpx_gt_i32_e64 s12, v73
	s_cbranch_execz .LBB69_115
; %bb.114:                              ;   in Loop: Header=BB69_74 Depth=1
	v_add_co_u32 v91, vcc_lo, v67, v31
	v_add_co_ci_u32_e64 v92, null, 0, v68, vcc_lo
	global_load_dword v89, v[91:92], off
.LBB69_115:                             ;   in Loop: Header=BB69_74 Depth=1
	s_or_b32 exec_lo, exec_lo, s2
	v_mov_b32_e32 v91, 0
	v_mov_b32_e32 v92, 0
	s_mov_b32 s2, exec_lo
	v_cmpx_gt_i32_e64 s12, v75
	s_cbranch_execz .LBB69_117
; %bb.116:                              ;   in Loop: Header=BB69_74 Depth=1
	v_add_co_u32 v92, vcc_lo, v69, v31
	v_add_co_ci_u32_e64 v93, null, 0, v70, vcc_lo
	global_load_dword v92, v[92:93], off
.LBB69_117:                             ;   in Loop: Header=BB69_74 Depth=1
	s_or_b32 exec_lo, exec_lo, s2
	s_mov_b32 s2, exec_lo
	v_cmpx_gt_i32_e64 s12, v76
	s_cbranch_execz .LBB69_119
; %bb.118:                              ;   in Loop: Header=BB69_74 Depth=1
	v_add_co_u32 v93, vcc_lo, v71, v31
	v_add_co_ci_u32_e64 v94, null, 0, v72, vcc_lo
	global_load_dword v91, v[93:94], off
.LBB69_119:                             ;   in Loop: Header=BB69_74 Depth=1
	s_or_b32 exec_lo, exec_lo, s2
	s_mov_b32 s2, 0
.LBB69_120:                             ;   in Loop: Header=BB69_74 Depth=1
	s_and_b32 vcc_lo, exec_lo, s2
	s_cbranch_vccz .LBB69_122
; %bb.121:                              ;   in Loop: Header=BB69_74 Depth=1
	s_waitcnt vmcnt(0)
	v_add_co_u32 v91, vcc_lo, v67, v31
	v_add_co_ci_u32_e64 v92, null, 0, v68, vcc_lo
	v_add_co_u32 v93, vcc_lo, v69, v31
	v_add_co_ci_u32_e64 v94, null, 0, v70, vcc_lo
	;; [unrolled: 2-line block ×3, first 2 shown]
	global_load_dword v90, v[28:29], off
	global_load_dword v89, v[91:92], off
	global_load_dword v92, v[93:94], off
	global_load_dword v91, v[95:96], off
.LBB69_122:                             ;   in Loop: Header=BB69_74 Depth=1
	v_add_f32_e32 v22, 0, v22
	v_add_f32_e32 v16, 0, v16
	;; [unrolled: 1-line block ×3, first 2 shown]
	v_cmp_gt_i32_e32 vcc_lo, s12, v0
	v_add_f32_e32 v22, v22, v23
	v_add_f32_e32 v16, v16, v17
	;; [unrolled: 1-line block ×3, first 2 shown]
	s_or_b32 s2, s13, vcc_lo
	s_and_b32 s12, s1, s2
	v_add_f32_e32 v20, v22, v20
	v_add_f32_e32 v14, v16, v14
	;; [unrolled: 1-line block ×5, first 2 shown]
	ds_read_b32 v20, v36
	ds_read_b128 v[14:17], v35 offset:192
	v_add_f32_e32 v24, v24, v25
	s_waitcnt vmcnt(0) lgkmcnt(1)
	v_mul_f32_e32 v21, v90, v20
	v_mul_f32_e32 v25, v89, v20
	ds_write2_b32 v37, v21, v25 offset1:67
	v_mul_f32_e32 v21, v92, v20
	v_mul_f32_e32 v20, v91, v20
	ds_write2_b32 v37, v21, v20 offset0:134 offset1:201
	s_waitcnt lgkmcnt(0)
	s_barrier
	buffer_gl0_inv
	ds_read2_b32 v[20:21], v74 offset1:1
	s_waitcnt lgkmcnt(0)
	v_add_f32_e32 v20, 0, v20
	v_add_f32_e32 v25, v20, v21
	ds_read2_b32 v[20:21], v74 offset0:2 offset1:3
	s_waitcnt lgkmcnt(0)
	s_barrier
	buffer_gl0_inv
	v_add_f32_e32 v20, v25, v20
	v_add_f32_e32 v20, v20, v21
	ds_write2_b32 v38, v23, v22 offset1:16
	ds_write2_b32 v38, v24, v20 offset0:32 offset1:48
	s_waitcnt lgkmcnt(0)
	s_barrier
	buffer_gl0_inv
	s_and_saveexec_b32 s2, s12
	s_cbranch_execz .LBB69_124
; %bb.123:                              ;   in Loop: Header=BB69_74 Depth=1
	ds_read2_b32 v[20:21], v39 offset1:1
	ds_read2_b32 v[22:23], v39 offset0:2 offset1:3
	ds_read2_b32 v[24:25], v39 offset0:4 offset1:5
	;; [unrolled: 1-line block ×3, first 2 shown]
	s_waitcnt lgkmcnt(3)
	v_add_f32_e32 v20, v20, v21
	s_waitcnt lgkmcnt(2)
	v_add_f32_e32 v20, v20, v22
	v_add_f32_e32 v22, v20, v23
	ds_read2_b32 v[20:21], v39 offset0:8 offset1:9
	s_waitcnt lgkmcnt(2)
	v_add_f32_e32 v22, v22, v24
	v_add_f32_e32 v24, v22, v25
	ds_read2_b32 v[22:23], v39 offset0:10 offset1:11
	;; [unrolled: 4-line block ×3, first 2 shown]
	ds_read_b32 v27, v39 offset:56
	s_waitcnt lgkmcnt(3)
	v_add_f32_e32 v20, v26, v20
	v_add_f32_e32 v20, v20, v21
	s_waitcnt lgkmcnt(2)
	v_add_f32_e32 v20, v20, v22
	ds_read_b32 v22, v40
	v_add_f32_e32 v20, v20, v23
	s_waitcnt lgkmcnt(2)
	v_add_f32_e32 v21, v20, v24
	v_add_nc_u32_e32 v20, s11, v0
	v_add_f32_e32 v23, v21, v25
	v_ashrrev_i32_e32 v21, 31, v20
	s_waitcnt lgkmcnt(1)
	v_add_f32_e32 v23, v23, v27
	v_lshlrev_b64 v[20:21], 2, v[20:21]
	s_waitcnt lgkmcnt(0)
	v_add_f32_e32 v22, v23, v22
	v_add_co_u32 v20, vcc_lo, s3, v20
	v_add_co_ci_u32_e64 v21, null, s7, v21, vcc_lo
	global_store_dword v[20:21], v22, off
.LBB69_124:                             ;   in Loop: Header=BB69_74 Depth=1
	s_or_b32 exec_lo, exec_lo, s2
	v_fmac_f32_e32 v30, v80, v2
	v_add_co_u32 v41, vcc_lo, v41, s4
	v_add_co_ci_u32_e64 v42, null, s5, v42, vcc_lo
	v_fmac_f32_e32 v30, v77, v3
	v_add_co_u32 v43, vcc_lo, v43, s4
	v_add_co_ci_u32_e64 v44, null, s5, v44, vcc_lo
	;; [unrolled: 3-line block ×15, first 2 shown]
	v_add_co_u32 v71, vcc_lo, v71, s4
	v_fmac_f32_e32 v30, v91, v17
	v_add_co_ci_u32_e64 v72, null, s5, v72, vcc_lo
	s_add_i32 s2, s6, 1
	s_add_i32 s6, s6, 2
	;; [unrolled: 1-line block ×3, first 2 shown]
	s_cmp_ge_u32 s6, s9
	s_waitcnt_vscnt null, 0x0
	s_barrier
	buffer_gl0_inv
	s_cbranch_scc1 .LBB69_126
; %bb.125:                              ;   in Loop: Header=BB69_74 Depth=1
	s_mov_b32 s6, s2
	s_cmp_eq_u32 s8, s6
	s_cselect_b32 s12, s26, 0
	s_and_saveexec_b32 s2, s0
	s_cbranch_execnz .LBB69_71
	s_branch .LBB69_74
.LBB69_126:
	v_cmp_gt_i32_e32 vcc_lo, s10, v0
	v_mad_u32_u24 v1, 0x10c, v1, v31
	s_or_b32 s1, s18, vcc_lo
	ds_write_b32 v1, v30
	s_and_b32 s0, s0, s1
	s_waitcnt lgkmcnt(0)
	s_barrier
	buffer_gl0_inv
	s_and_saveexec_b32 s1, s0
	s_cbranch_execz .LBB69_128
; %bb.127:
	ds_read2_b32 v[0:1], v31 offset1:67
	ds_read2_b32 v[2:3], v31 offset0:134 offset1:201
	s_waitcnt lgkmcnt(1)
	v_add_f32_e32 v0, v0, v1
	s_waitcnt lgkmcnt(0)
	v_add_f32_e32 v2, v0, v2
	v_lshlrev_b64 v[0:1], 2, v[18:19]
	v_add_f32_e32 v2, v2, v3
	v_add_co_u32 v0, vcc_lo, s3, v0
	v_add_co_ci_u32_e64 v1, null, s7, v1, vcc_lo
	global_store_dword v[0:1], v2, off
.LBB69_128:
	s_endpgm
	.section	.rodata,"a",@progbits
	.p2align	6, 0x0
	.amdhsa_kernel _ZL26rocblas_hemvn_kernel_upperILb0ELi64ELi4ELi33ELi32ELi16ElPKfS1_PfEviT6_lT7_lT5_lS4_lS5_lS3_lT8_i
		.amdhsa_group_segment_fixed_size 4800
		.amdhsa_private_segment_fixed_size 0
		.amdhsa_kernarg_size 376
		.amdhsa_user_sgpr_count 6
		.amdhsa_user_sgpr_private_segment_buffer 1
		.amdhsa_user_sgpr_dispatch_ptr 0
		.amdhsa_user_sgpr_queue_ptr 0
		.amdhsa_user_sgpr_kernarg_segment_ptr 1
		.amdhsa_user_sgpr_dispatch_id 0
		.amdhsa_user_sgpr_flat_scratch_init 0
		.amdhsa_user_sgpr_private_segment_size 0
		.amdhsa_wavefront_size32 1
		.amdhsa_uses_dynamic_stack 0
		.amdhsa_system_sgpr_private_segment_wavefront_offset 0
		.amdhsa_system_sgpr_workgroup_id_x 1
		.amdhsa_system_sgpr_workgroup_id_y 0
		.amdhsa_system_sgpr_workgroup_id_z 1
		.amdhsa_system_sgpr_workgroup_info 0
		.amdhsa_system_vgpr_workitem_id 1
		.amdhsa_next_free_vgpr 97
		.amdhsa_next_free_sgpr 32
		.amdhsa_reserve_vcc 1
		.amdhsa_reserve_flat_scratch 0
		.amdhsa_float_round_mode_32 0
		.amdhsa_float_round_mode_16_64 0
		.amdhsa_float_denorm_mode_32 3
		.amdhsa_float_denorm_mode_16_64 3
		.amdhsa_dx10_clamp 1
		.amdhsa_ieee_mode 1
		.amdhsa_fp16_overflow 0
		.amdhsa_workgroup_processor_mode 1
		.amdhsa_memory_ordered 1
		.amdhsa_forward_progress 1
		.amdhsa_shared_vgpr_count 0
		.amdhsa_exception_fp_ieee_invalid_op 0
		.amdhsa_exception_fp_denorm_src 0
		.amdhsa_exception_fp_ieee_div_zero 0
		.amdhsa_exception_fp_ieee_overflow 0
		.amdhsa_exception_fp_ieee_underflow 0
		.amdhsa_exception_fp_ieee_inexact 0
		.amdhsa_exception_int_div_zero 0
	.end_amdhsa_kernel
	.section	.text._ZL26rocblas_hemvn_kernel_upperILb0ELi64ELi4ELi33ELi32ELi16ElPKfS1_PfEviT6_lT7_lT5_lS4_lS5_lS3_lT8_i,"axG",@progbits,_ZL26rocblas_hemvn_kernel_upperILb0ELi64ELi4ELi33ELi32ELi16ElPKfS1_PfEviT6_lT7_lT5_lS4_lS5_lS3_lT8_i,comdat
.Lfunc_end69:
	.size	_ZL26rocblas_hemvn_kernel_upperILb0ELi64ELi4ELi33ELi32ELi16ElPKfS1_PfEviT6_lT7_lT5_lS4_lS5_lS3_lT8_i, .Lfunc_end69-_ZL26rocblas_hemvn_kernel_upperILb0ELi64ELi4ELi33ELi32ELi16ElPKfS1_PfEviT6_lT7_lT5_lS4_lS5_lS3_lT8_i
                                        ; -- End function
	.set _ZL26rocblas_hemvn_kernel_upperILb0ELi64ELi4ELi33ELi32ELi16ElPKfS1_PfEviT6_lT7_lT5_lS4_lS5_lS3_lT8_i.num_vgpr, 97
	.set _ZL26rocblas_hemvn_kernel_upperILb0ELi64ELi4ELi33ELi32ELi16ElPKfS1_PfEviT6_lT7_lT5_lS4_lS5_lS3_lT8_i.num_agpr, 0
	.set _ZL26rocblas_hemvn_kernel_upperILb0ELi64ELi4ELi33ELi32ELi16ElPKfS1_PfEviT6_lT7_lT5_lS4_lS5_lS3_lT8_i.numbered_sgpr, 32
	.set _ZL26rocblas_hemvn_kernel_upperILb0ELi64ELi4ELi33ELi32ELi16ElPKfS1_PfEviT6_lT7_lT5_lS4_lS5_lS3_lT8_i.num_named_barrier, 0
	.set _ZL26rocblas_hemvn_kernel_upperILb0ELi64ELi4ELi33ELi32ELi16ElPKfS1_PfEviT6_lT7_lT5_lS4_lS5_lS3_lT8_i.private_seg_size, 0
	.set _ZL26rocblas_hemvn_kernel_upperILb0ELi64ELi4ELi33ELi32ELi16ElPKfS1_PfEviT6_lT7_lT5_lS4_lS5_lS3_lT8_i.uses_vcc, 1
	.set _ZL26rocblas_hemvn_kernel_upperILb0ELi64ELi4ELi33ELi32ELi16ElPKfS1_PfEviT6_lT7_lT5_lS4_lS5_lS3_lT8_i.uses_flat_scratch, 0
	.set _ZL26rocblas_hemvn_kernel_upperILb0ELi64ELi4ELi33ELi32ELi16ElPKfS1_PfEviT6_lT7_lT5_lS4_lS5_lS3_lT8_i.has_dyn_sized_stack, 0
	.set _ZL26rocblas_hemvn_kernel_upperILb0ELi64ELi4ELi33ELi32ELi16ElPKfS1_PfEviT6_lT7_lT5_lS4_lS5_lS3_lT8_i.has_recursion, 0
	.set _ZL26rocblas_hemvn_kernel_upperILb0ELi64ELi4ELi33ELi32ELi16ElPKfS1_PfEviT6_lT7_lT5_lS4_lS5_lS3_lT8_i.has_indirect_call, 0
	.section	.AMDGPU.csdata,"",@progbits
; Kernel info:
; codeLenInByte = 7760
; TotalNumSgprs: 34
; NumVgprs: 97
; ScratchSize: 0
; MemoryBound: 0
; FloatMode: 240
; IeeeMode: 1
; LDSByteSize: 4800 bytes/workgroup (compile time only)
; SGPRBlocks: 0
; VGPRBlocks: 12
; NumSGPRsForWavesPerEU: 34
; NumVGPRsForWavesPerEU: 97
; Occupancy: 9
; WaveLimiterHint : 0
; COMPUTE_PGM_RSRC2:SCRATCH_EN: 0
; COMPUTE_PGM_RSRC2:USER_SGPR: 6
; COMPUTE_PGM_RSRC2:TRAP_HANDLER: 0
; COMPUTE_PGM_RSRC2:TGID_X_EN: 1
; COMPUTE_PGM_RSRC2:TGID_Y_EN: 0
; COMPUTE_PGM_RSRC2:TGID_Z_EN: 1
; COMPUTE_PGM_RSRC2:TIDIG_COMP_CNT: 1
	.section	.text._ZL36rocblas_hemvn_kernel_upper_block_sumILi64ElPKfPffEviT1_lS3_lT2_lT0_lPT3_i,"axG",@progbits,_ZL36rocblas_hemvn_kernel_upper_block_sumILi64ElPKfPffEviT1_lS3_lT2_lT0_lPT3_i,comdat
	.globl	_ZL36rocblas_hemvn_kernel_upper_block_sumILi64ElPKfPffEviT1_lS3_lT2_lT0_lPT3_i ; -- Begin function _ZL36rocblas_hemvn_kernel_upper_block_sumILi64ElPKfPffEviT1_lS3_lT2_lT0_lPT3_i
	.p2align	8
	.type	_ZL36rocblas_hemvn_kernel_upper_block_sumILi64ElPKfPffEviT1_lS3_lT2_lT0_lPT3_i,@function
_ZL36rocblas_hemvn_kernel_upper_block_sumILi64ElPKfPffEviT1_lS3_lT2_lT0_lPT3_i: ; @_ZL36rocblas_hemvn_kernel_upper_block_sumILi64ElPKfPffEviT1_lS3_lT2_lT0_lPT3_i
; %bb.0:
	s_load_dwordx8 s[8:15], s[4:5], 0x8
	s_mov_b32 s18, 0
	s_waitcnt lgkmcnt(0)
	s_mul_i32 s1, s11, s7
	s_mul_hi_u32 s2, s10, s7
	s_mul_i32 s0, s10, s7
	s_add_i32 s1, s2, s1
	s_mul_i32 s2, s15, s7
	s_lshl_b64 s[0:1], s[0:1], 2
	s_mul_hi_u32 s3, s14, s7
	s_add_u32 s0, s8, s0
	s_addc_u32 s1, s9, s1
	s_add_i32 s3, s3, s2
	s_mul_i32 s2, s14, s7
	s_lshl_b64 s[2:3], s[2:3], 2
	s_add_u32 s2, s12, s2
	s_addc_u32 s3, s13, s3
	s_load_dword s16, s[0:1], 0x0
	s_load_dword s17, s[2:3], 0x0
	s_waitcnt lgkmcnt(0)
	v_cmp_eq_f32_e64 s0, s16, 0
	v_cmp_eq_f32_e64 s1, s17, 1.0
	s_and_b32 s0, s0, s1
	s_and_b32 vcc_lo, exec_lo, s0
	s_cbranch_vccnz .LBB70_19
; %bb.1:
	s_clause 0x2
	s_load_dwordx8 s[8:15], s[4:5], 0x30
	s_load_dwordx2 s[0:1], s[4:5], 0x28
	s_load_dword s2, s[4:5], 0x0
	v_lshl_or_b32 v0, s6, 6, v0
	s_waitcnt lgkmcnt(0)
	s_mul_i32 s3, s13, s7
	s_mul_hi_u32 s13, s12, s7
	s_mul_i32 s12, s12, s7
	s_add_i32 s13, s13, s3
	v_cmp_neq_f32_e64 s3, s16, 0
	s_lshl_b64 s[12:13], s[12:13], 2
	s_add_u32 s12, s0, s12
	s_addc_u32 s13, s1, s13
	s_lshl_b64 s[0:1], s[8:9], 2
	s_add_u32 s8, s12, s0
	v_cmp_gt_i32_e64 s0, s2, v0
	s_addc_u32 s9, s13, s1
	s_and_b32 vcc_lo, exec_lo, s3
	s_cbranch_vccnz .LBB70_6
; %bb.2:
	s_mov_b32 s1, 0
                                        ; implicit-def: $vgpr3
                                        ; implicit-def: $vgpr1_vgpr2
	s_and_saveexec_b32 s3, s0
	s_cbranch_execz .LBB70_7
; %bb.3:
	v_ashrrev_i32_e32 v3, 31, v0
	v_mul_lo_u32 v4, s11, v0
	v_mad_u64_u32 v[1:2], null, s10, v0, 0
	v_cmp_eq_f32_e64 s0, s17, 0
	v_mul_lo_u32 v5, s10, v3
	v_mov_b32_e32 v3, 0
	s_and_b32 vcc_lo, exec_lo, s0
	v_add3_u32 v2, v2, v5, v4
	s_cbranch_vccnz .LBB70_5
; %bb.4:
	v_lshlrev_b64 v[3:4], 2, v[1:2]
	v_add_co_u32 v3, vcc_lo, s8, v3
	v_add_co_ci_u32_e64 v4, null, s9, v4, vcc_lo
	global_load_dword v3, v[3:4], off
	s_waitcnt vmcnt(0)
	v_mul_f32_e32 v3, s17, v3
.LBB70_5:
	s_mov_b32 s18, exec_lo
	s_or_b32 exec_lo, exec_lo, s3
	s_and_b32 vcc_lo, exec_lo, s1
	s_cbranch_vccnz .LBB70_8
	s_branch .LBB70_17
.LBB70_6:
                                        ; implicit-def: $vgpr3
                                        ; implicit-def: $vgpr1_vgpr2
	s_cbranch_execnz .LBB70_8
	s_branch .LBB70_17
.LBB70_7:
	s_or_b32 exec_lo, exec_lo, s3
	s_and_b32 vcc_lo, exec_lo, s1
	s_cbranch_vccz .LBB70_17
.LBB70_8:
	s_mov_b32 s12, exec_lo
                                        ; implicit-def: $vgpr3
                                        ; implicit-def: $vgpr1_vgpr2
	v_cmpx_gt_i32_e64 s2, v0
	s_cbranch_execz .LBB70_16
; %bb.9:
	v_ashrrev_i32_e32 v1, 31, v0
	v_mov_b32_e32 v4, 0
	s_cmp_lt_i32 s6, 0
	s_cbranch_scc1 .LBB70_12
; %bb.10:
	s_load_dword s0, s[4:5], 0x58
	s_ashr_i32 s3, s2, 31
	s_mul_hi_u32 s1, s2, s7
	s_mul_i32 s4, s3, s7
	v_lshlrev_b64 v[2:3], 2, v[0:1]
	s_add_i32 s1, s1, s4
	s_mul_i32 s4, s2, s7
	v_mov_b32_e32 v4, 0
	s_waitcnt lgkmcnt(0)
	s_mul_i32 s1, s1, s0
	s_mul_hi_u32 s5, s4, s0
	s_mul_i32 s0, s4, s0
	s_add_i32 s1, s5, s1
	s_lshl_b64 s[0:1], s[0:1], 2
	s_add_u32 s0, s14, s0
	s_addc_u32 s1, s15, s1
	v_add_co_u32 v2, vcc_lo, s0, v2
	v_add_co_ci_u32_e64 v3, null, s1, v3, vcc_lo
	s_add_i32 s4, s6, 1
	s_lshl_b64 s[0:1], s[2:3], 2
.LBB70_11:                              ; =>This Inner Loop Header: Depth=1
	global_load_dword v5, v[2:3], off
	v_add_co_u32 v2, vcc_lo, v2, s0
	v_add_co_ci_u32_e64 v3, null, s1, v3, vcc_lo
	s_add_i32 s4, s4, -1
	s_cmp_eq_u32 s4, 0
	s_waitcnt vmcnt(0)
	v_add_f32_e32 v4, v4, v5
	s_cbranch_scc0 .LBB70_11
.LBB70_12:
	v_mul_lo_u32 v5, s11, v0
	v_mul_lo_u32 v6, s10, v1
	v_cmp_eq_f32_e64 s0, s17, 0
	s_and_b32 vcc_lo, exec_lo, s0
	s_mov_b32 s0, 0
	s_cbranch_vccz .LBB70_20
; %bb.13:
	v_mad_u64_u32 v[1:2], null, s10, v0, 0
	v_mul_f32_e32 v3, s16, v4
	v_add3_u32 v2, v2, v6, v5
	s_andn2_b32 vcc_lo, exec_lo, s0
	s_cbranch_vccnz .LBB70_15
.LBB70_14:
	v_mad_u64_u32 v[1:2], null, s10, v0, 0
	v_add3_u32 v2, v2, v6, v5
	v_lshlrev_b64 v[5:6], 2, v[1:2]
	v_add_co_u32 v5, vcc_lo, s8, v5
	v_add_co_ci_u32_e64 v6, null, s9, v6, vcc_lo
	global_load_dword v0, v[5:6], off
	s_waitcnt vmcnt(0)
	v_mul_f32_e32 v3, s17, v0
	v_fmac_f32_e32 v3, s16, v4
.LBB70_15:
	s_or_b32 s18, s18, exec_lo
.LBB70_16:
	s_or_b32 exec_lo, exec_lo, s12
.LBB70_17:
	s_and_saveexec_b32 s0, s18
	s_cbranch_execz .LBB70_19
; %bb.18:
	v_lshlrev_b64 v[0:1], 2, v[1:2]
	v_add_co_u32 v0, vcc_lo, s8, v0
	v_add_co_ci_u32_e64 v1, null, s9, v1, vcc_lo
	global_store_dword v[0:1], v3, off
.LBB70_19:
	s_endpgm
.LBB70_20:
                                        ; implicit-def: $vgpr3
                                        ; implicit-def: $vgpr1_vgpr2
	s_branch .LBB70_14
	.section	.rodata,"a",@progbits
	.p2align	6, 0x0
	.amdhsa_kernel _ZL36rocblas_hemvn_kernel_upper_block_sumILi64ElPKfPffEviT1_lS3_lT2_lT0_lPT3_i
		.amdhsa_group_segment_fixed_size 0
		.amdhsa_private_segment_fixed_size 0
		.amdhsa_kernarg_size 344
		.amdhsa_user_sgpr_count 6
		.amdhsa_user_sgpr_private_segment_buffer 1
		.amdhsa_user_sgpr_dispatch_ptr 0
		.amdhsa_user_sgpr_queue_ptr 0
		.amdhsa_user_sgpr_kernarg_segment_ptr 1
		.amdhsa_user_sgpr_dispatch_id 0
		.amdhsa_user_sgpr_flat_scratch_init 0
		.amdhsa_user_sgpr_private_segment_size 0
		.amdhsa_wavefront_size32 1
		.amdhsa_uses_dynamic_stack 0
		.amdhsa_system_sgpr_private_segment_wavefront_offset 0
		.amdhsa_system_sgpr_workgroup_id_x 1
		.amdhsa_system_sgpr_workgroup_id_y 0
		.amdhsa_system_sgpr_workgroup_id_z 1
		.amdhsa_system_sgpr_workgroup_info 0
		.amdhsa_system_vgpr_workitem_id 0
		.amdhsa_next_free_vgpr 7
		.amdhsa_next_free_sgpr 19
		.amdhsa_reserve_vcc 1
		.amdhsa_reserve_flat_scratch 0
		.amdhsa_float_round_mode_32 0
		.amdhsa_float_round_mode_16_64 0
		.amdhsa_float_denorm_mode_32 3
		.amdhsa_float_denorm_mode_16_64 3
		.amdhsa_dx10_clamp 1
		.amdhsa_ieee_mode 1
		.amdhsa_fp16_overflow 0
		.amdhsa_workgroup_processor_mode 1
		.amdhsa_memory_ordered 1
		.amdhsa_forward_progress 1
		.amdhsa_shared_vgpr_count 0
		.amdhsa_exception_fp_ieee_invalid_op 0
		.amdhsa_exception_fp_denorm_src 0
		.amdhsa_exception_fp_ieee_div_zero 0
		.amdhsa_exception_fp_ieee_overflow 0
		.amdhsa_exception_fp_ieee_underflow 0
		.amdhsa_exception_fp_ieee_inexact 0
		.amdhsa_exception_int_div_zero 0
	.end_amdhsa_kernel
	.section	.text._ZL36rocblas_hemvn_kernel_upper_block_sumILi64ElPKfPffEviT1_lS3_lT2_lT0_lPT3_i,"axG",@progbits,_ZL36rocblas_hemvn_kernel_upper_block_sumILi64ElPKfPffEviT1_lS3_lT2_lT0_lPT3_i,comdat
.Lfunc_end70:
	.size	_ZL36rocblas_hemvn_kernel_upper_block_sumILi64ElPKfPffEviT1_lS3_lT2_lT0_lPT3_i, .Lfunc_end70-_ZL36rocblas_hemvn_kernel_upper_block_sumILi64ElPKfPffEviT1_lS3_lT2_lT0_lPT3_i
                                        ; -- End function
	.set _ZL36rocblas_hemvn_kernel_upper_block_sumILi64ElPKfPffEviT1_lS3_lT2_lT0_lPT3_i.num_vgpr, 7
	.set _ZL36rocblas_hemvn_kernel_upper_block_sumILi64ElPKfPffEviT1_lS3_lT2_lT0_lPT3_i.num_agpr, 0
	.set _ZL36rocblas_hemvn_kernel_upper_block_sumILi64ElPKfPffEviT1_lS3_lT2_lT0_lPT3_i.numbered_sgpr, 19
	.set _ZL36rocblas_hemvn_kernel_upper_block_sumILi64ElPKfPffEviT1_lS3_lT2_lT0_lPT3_i.num_named_barrier, 0
	.set _ZL36rocblas_hemvn_kernel_upper_block_sumILi64ElPKfPffEviT1_lS3_lT2_lT0_lPT3_i.private_seg_size, 0
	.set _ZL36rocblas_hemvn_kernel_upper_block_sumILi64ElPKfPffEviT1_lS3_lT2_lT0_lPT3_i.uses_vcc, 1
	.set _ZL36rocblas_hemvn_kernel_upper_block_sumILi64ElPKfPffEviT1_lS3_lT2_lT0_lPT3_i.uses_flat_scratch, 0
	.set _ZL36rocblas_hemvn_kernel_upper_block_sumILi64ElPKfPffEviT1_lS3_lT2_lT0_lPT3_i.has_dyn_sized_stack, 0
	.set _ZL36rocblas_hemvn_kernel_upper_block_sumILi64ElPKfPffEviT1_lS3_lT2_lT0_lPT3_i.has_recursion, 0
	.set _ZL36rocblas_hemvn_kernel_upper_block_sumILi64ElPKfPffEviT1_lS3_lT2_lT0_lPT3_i.has_indirect_call, 0
	.section	.AMDGPU.csdata,"",@progbits
; Kernel info:
; codeLenInByte = 724
; TotalNumSgprs: 21
; NumVgprs: 7
; ScratchSize: 0
; MemoryBound: 0
; FloatMode: 240
; IeeeMode: 1
; LDSByteSize: 0 bytes/workgroup (compile time only)
; SGPRBlocks: 0
; VGPRBlocks: 0
; NumSGPRsForWavesPerEU: 21
; NumVGPRsForWavesPerEU: 7
; Occupancy: 16
; WaveLimiterHint : 0
; COMPUTE_PGM_RSRC2:SCRATCH_EN: 0
; COMPUTE_PGM_RSRC2:USER_SGPR: 6
; COMPUTE_PGM_RSRC2:TRAP_HANDLER: 0
; COMPUTE_PGM_RSRC2:TGID_X_EN: 1
; COMPUTE_PGM_RSRC2:TGID_Y_EN: 0
; COMPUTE_PGM_RSRC2:TGID_Z_EN: 1
; COMPUTE_PGM_RSRC2:TIDIG_COMP_CNT: 0
	.section	.text._ZL26rocblas_hemvn_kernel_upperILb0ELi64ELi4ELi33ELi32ELi16EiPKfS1_PfEviT6_lT7_lT5_lS4_lS5_lS3_lT8_i,"axG",@progbits,_ZL26rocblas_hemvn_kernel_upperILb0ELi64ELi4ELi33ELi32ELi16EiPKfS1_PfEviT6_lT7_lT5_lS4_lS5_lS3_lT8_i,comdat
	.globl	_ZL26rocblas_hemvn_kernel_upperILb0ELi64ELi4ELi33ELi32ELi16EiPKfS1_PfEviT6_lT7_lT5_lS4_lS5_lS3_lT8_i ; -- Begin function _ZL26rocblas_hemvn_kernel_upperILb0ELi64ELi4ELi33ELi32ELi16EiPKfS1_PfEviT6_lT7_lT5_lS4_lS5_lS3_lT8_i
	.p2align	8
	.type	_ZL26rocblas_hemvn_kernel_upperILb0ELi64ELi4ELi33ELi32ELi16EiPKfS1_PfEviT6_lT7_lT5_lS4_lS5_lS3_lT8_i,@function
_ZL26rocblas_hemvn_kernel_upperILb0ELi64ELi4ELi33ELi32ELi16EiPKfS1_PfEviT6_lT7_lT5_lS4_lS5_lS3_lT8_i: ; @_ZL26rocblas_hemvn_kernel_upperILb0ELi64ELi4ELi33ELi32ELi16EiPKfS1_PfEviT6_lT7_lT5_lS4_lS5_lS3_lT8_i
; %bb.0:
	s_load_dwordx2 s[2:3], s[4:5], 0x84
	s_add_u32 s0, s4, 0x78
	s_addc_u32 s1, s5, 0
	s_waitcnt lgkmcnt(0)
	s_lshr_b32 s8, s2, 16
	s_and_b32 s2, s2, 0xffff
	s_and_b32 s3, s3, 0xffff
	s_mul_i32 s2, s8, s2
	s_mul_i32 s2, s2, s3
	s_cmpk_lg_i32 s2, 0x100
	s_cbranch_scc1 .LBB71_128
; %bb.1:
	s_clause 0x1
	s_load_dwordx8 s[16:23], s[4:5], 0x8
	s_load_dwordx8 s[8:15], s[4:5], 0x50
	s_waitcnt lgkmcnt(0)
	s_mul_i32 s3, s19, s7
	s_mul_hi_u32 s19, s18, s7
	s_mul_i32 s2, s18, s7
	s_add_i32 s3, s19, s3
	s_mul_i32 s13, s13, s7
	s_lshl_b64 s[2:3], s[2:3], 2
	s_mul_hi_u32 s18, s12, s7
	s_add_u32 s2, s16, s2
	s_addc_u32 s3, s17, s3
	s_add_i32 s13, s18, s13
	s_mul_i32 s12, s12, s7
	s_lshl_b64 s[12:13], s[12:13], 2
	s_add_u32 s10, s10, s12
	s_addc_u32 s11, s11, s13
	s_load_dword s2, s[2:3], 0x0
	s_load_dword s3, s[10:11], 0x0
	s_waitcnt lgkmcnt(0)
	v_cmp_eq_f32_e64 s2, s2, 0
	v_cmp_eq_f32_e64 s3, s3, 1.0
	s_and_b32 s3, s2, s3
	s_and_b32 vcc_lo, exec_lo, s3
	s_cbranch_vccnz .LBB71_128
; %bb.2:
	s_and_b32 vcc_lo, exec_lo, s2
	s_cbranch_vccnz .LBB71_128
; %bb.3:
	s_clause 0x2
	s_load_dwordx4 s[16:19], s[4:5], 0x30
	s_load_dwordx2 s[2:3], s[4:5], 0x40
	s_load_dword s24, s[4:5], 0x48
	s_mul_i32 s9, s9, s7
	s_mul_hi_u32 s10, s8, s7
	s_mul_i32 s8, s8, s7
	s_add_i32 s9, s10, s9
	s_load_dword s26, s[0:1], 0x0
	s_lshl_b64 s[10:11], s[8:9], 2
	s_load_dword s9, s[4:5], 0x0
	s_waitcnt lgkmcnt(0)
	s_add_u32 s8, s18, s10
	s_addc_u32 s10, s19, s11
	s_lshl_b64 s[2:3], s[2:3], 2
	s_add_u32 s2, s8, s2
	s_addc_u32 s3, s10, s3
	s_lshl_b32 s18, s6, 6
	s_add_i32 s1, s26, -1
	v_add_nc_u32_e32 v18, s18, v0
	s_ashr_i32 s25, s9, 31
	s_lshr_b32 s0, s25, 26
	v_mul_lo_u32 v2, s24, v18
	s_add_i32 s0, s9, s0
	s_andn2_b32 s0, s0, 63
	s_sub_i32 s27, s9, s0
	v_cmp_eq_u32_e64 s0, 0, v1
	s_cmp_eq_u32 s6, s1
	v_ashrrev_i32_e32 v3, 31, v2
	s_cselect_b32 s10, s27, 0
	v_lshlrev_b64 v[2:3], 2, v[2:3]
	v_add_co_u32 v6, vcc_lo, s2, v2
	v_add_co_ci_u32_e64 v7, null, s3, v3, vcc_lo
	s_and_saveexec_b32 s1, s0
	s_cbranch_execz .LBB71_7
; %bb.4:
	v_cmp_gt_i32_e32 vcc_lo, s10, v0
	s_cmp_eq_u32 s10, 0
	v_mov_b32_e32 v2, 0
	s_cselect_b32 s2, -1, 0
	s_or_b32 s3, s2, vcc_lo
	s_and_saveexec_b32 s2, s3
	s_cbranch_execz .LBB71_6
; %bb.5:
	global_load_dword v2, v[6:7], off
.LBB71_6:
	s_or_b32 exec_lo, exec_lo, s2
	v_lshlrev_b32_e32 v3, 2, v0
	s_waitcnt vmcnt(0)
	ds_write_b32 v3, v2 offset:4544
.LBB71_7:
	s_or_b32 exec_lo, exec_lo, s1
	s_load_dword s12, s[4:5], 0x28
	v_lshl_add_u32 v14, v1, 6, v0
	v_and_b32_e32 v2, 31, v0
	s_mul_i32 s1, s17, s7
	s_mul_hi_u32 s3, s16, s7
	s_mul_i32 s2, s16, s7
	v_lshrrev_b32_e32 v5, 5, v14
	s_add_i32 s3, s3, s1
	v_lshlrev_b32_e32 v15, 2, v2
	s_lshl_b64 s[2:3], s[2:3], 2
	s_add_u32 s1, s20, s2
	s_addc_u32 s4, s21, s3
	s_lshl_b64 s[2:3], s[22:23], 2
	s_add_u32 s1, s1, s2
	s_addc_u32 s4, s4, s3
	s_ashr_i32 s19, s18, 31
	s_lshl_b64 s[2:3], s[18:19], 2
	s_waitcnt lgkmcnt(0)
	v_mad_u64_u32 v[3:4], null, s12, v5, v[2:3]
	s_add_u32 s5, s1, s2
	s_mul_i32 s2, s12, s18
	s_addc_u32 s4, s4, s3
	s_ashr_i32 s3, s2, 31
	v_cmp_gt_i32_e64 s1, s10, v2
	s_lshl_b64 s[2:3], s[2:3], 2
	v_ashrrev_i32_e32 v4, 31, v3
	s_cmp_eq_u32 s10, 0
	s_cselect_b32 s28, -1, 0
	s_cmp_lg_u32 s10, 0
	v_lshlrev_b64 v[8:9], 2, v[3:4]
	s_cselect_b32 s19, -1, 0
	v_add_co_u32 v3, vcc_lo, s5, v8
	v_add_co_ci_u32_e64 v4, null, s4, v9, vcc_lo
	s_and_b32 vcc_lo, exec_lo, s19
	v_add_co_u32 v10, s2, v3, s2
	v_add_co_ci_u32_e64 v11, null, s3, v4, s2
	s_cbranch_vccz .LBB71_17
; %bb.8:
	v_sub_co_u32 v3, vcc_lo, v10, v15
	s_ashr_i32 s11, s10, 31
	v_subrev_co_ci_u32_e64 v4, null, 0, v11, vcc_lo
	s_lshl_b64 s[2:3], s[10:11], 2
	v_mov_b32_e32 v16, 0
	v_add_co_u32 v3, vcc_lo, v3, s2
	v_add_co_ci_u32_e64 v4, null, s3, v4, vcc_lo
	v_mov_b32_e32 v13, 0
	v_add_co_u32 v3, vcc_lo, v3, -4
	v_add_co_ci_u32_e64 v4, null, -1, v4, vcc_lo
	s_mov_b32 s4, exec_lo
	v_cndmask_b32_e64 v3, v3, v10, s1
	v_cndmask_b32_e64 v4, v4, v11, s1
	v_cmpx_gt_i32_e64 s10, v5
	s_cbranch_execz .LBB71_10
; %bb.9:
	global_load_dword v13, v[3:4], off
.LBB71_10:
	s_or_b32 exec_lo, exec_lo, s4
	v_add_nc_u32_e32 v17, 8, v5
	v_mul_u32_u24_e32 v12, 0x84, v5
	v_mad_u32_u24 v19, 0x84, v5, v15
	s_mov_b32 s4, exec_lo
	s_waitcnt vmcnt(0)
	ds_write_b32 v19, v13
	v_cmpx_gt_i32_e64 s10, v17
	s_cbranch_execz .LBB71_12
; %bb.11:
	s_lshl_b32 s16, s12, 3
	s_ashr_i32 s17, s16, 31
	s_lshl_b64 s[16:17], s[16:17], 2
	v_add_co_u32 v16, vcc_lo, v3, s16
	v_add_co_ci_u32_e64 v17, null, s17, v4, vcc_lo
	global_load_dword v16, v[16:17], off
.LBB71_12:
	s_or_b32 exec_lo, exec_lo, s4
	v_add_nc_u32_e32 v17, 16, v5
	v_add_nc_u32_e32 v12, v12, v15
	v_mov_b32_e32 v13, 0
	v_cmp_gt_i32_e32 vcc_lo, s10, v17
	v_mov_b32_e32 v17, 0
	s_waitcnt vmcnt(0)
	ds_write_b32 v12, v16 offset:1056
	s_and_saveexec_b32 s4, vcc_lo
	s_cbranch_execz .LBB71_14
; %bb.13:
	s_lshl_b32 s16, s12, 4
	s_ashr_i32 s17, s16, 31
	s_lshl_b64 s[16:17], s[16:17], 2
	v_add_co_u32 v16, vcc_lo, v3, s16
	v_add_co_ci_u32_e64 v17, null, s17, v4, vcc_lo
	global_load_dword v17, v[16:17], off
.LBB71_14:
	s_or_b32 exec_lo, exec_lo, s4
	v_add_nc_u32_e32 v16, 24, v5
	s_mov_b32 s4, exec_lo
	s_waitcnt vmcnt(0)
	ds_write_b32 v12, v17 offset:2112
	v_cmpx_gt_i32_e64 s10, v16
	s_cbranch_execz .LBB71_16
; %bb.15:
	s_mul_i32 s16, s12, 24
	s_ashr_i32 s17, s16, 31
	s_lshl_b64 s[16:17], s[16:17], 2
	v_add_co_u32 v16, vcc_lo, v3, s16
	v_add_co_ci_u32_e64 v17, null, s17, v4, vcc_lo
	global_load_dword v13, v[16:17], off
.LBB71_16:
	s_or_b32 exec_lo, exec_lo, s4
	v_add_co_u32 v3, vcc_lo, v3, v15
	v_add_co_ci_u32_e64 v4, null, 0, v4, vcc_lo
	s_waitcnt vmcnt(0)
	ds_write_b32 v12, v13 offset:3168
	v_sub_co_u32 v3, vcc_lo, v3, s2
	v_subrev_co_ci_u32_e64 v4, null, s3, v4, vcc_lo
	v_add_co_u32 v3, vcc_lo, v3, 4
	v_add_co_ci_u32_e64 v4, null, 0, v4, vcc_lo
	v_cndmask_b32_e64 v3, v3, v10, s1
	v_cndmask_b32_e64 v4, v4, v11, s1
	v_mul_u32_u24_e32 v21, 0x84, v5
	s_branch .LBB71_19
.LBB71_17:
                                        ; implicit-def: $vgpr3_vgpr4
	v_mul_u32_u24_e32 v21, 0x84, v5
	s_cbranch_execz .LBB71_19
; %bb.18:
	s_lshl_b32 s2, s12, 3
	s_ashr_i32 s13, s12, 31
	s_ashr_i32 s3, s2, 31
	s_lshl_b64 s[2:3], s[2:3], 2
	v_add_co_u32 v3, vcc_lo, v10, s2
	v_add_co_ci_u32_e64 v4, null, s3, v11, vcc_lo
	s_lshl_b64 s[2:3], s[12:13], 5
	v_add_co_u32 v12, vcc_lo, v3, s2
	v_add_co_ci_u32_e64 v13, null, s3, v4, vcc_lo
	v_add_co_u32 v16, vcc_lo, v12, s2
	v_add_co_ci_u32_e64 v17, null, s3, v13, vcc_lo
	s_clause 0x3
	global_load_dword v19, v[10:11], off
	global_load_dword v20, v[3:4], off
	;; [unrolled: 1-line block ×4, first 2 shown]
	v_mov_b32_e32 v3, v10
	v_lshl_add_u32 v16, v2, 2, v21
	v_mov_b32_e32 v4, v11
	s_waitcnt vmcnt(3)
	ds_write_b32 v16, v19
	s_waitcnt vmcnt(2)
	ds_write_b32 v16, v20 offset:1056
	s_waitcnt vmcnt(1)
	ds_write_b32 v16, v12 offset:2112
	;; [unrolled: 2-line block ×3, first 2 shown]
.LBB71_19:
	v_lshlrev_b32_e32 v16, 2, v5
	v_lshl_or_b32 v10, v2, 7, v15
	s_waitcnt lgkmcnt(0)
	s_barrier
	buffer_gl0_inv
	v_cmp_gt_u32_e64 s2, v16, v2
	v_lshl_add_u32 v12, v16, 2, v10
	v_mad_u32_u24 v10, 0x210, v5, v15
	s_and_saveexec_b32 s1, s2
	s_cbranch_execz .LBB71_21
; %bb.20:
	ds_read_b32 v11, v10
	s_waitcnt lgkmcnt(0)
	ds_write_b32 v12, v11
.LBB71_21:
	s_or_b32 exec_lo, exec_lo, s1
	v_or_b32_e32 v23, 1, v16
	v_cmp_ge_u32_e64 s3, v16, v2
	v_mad_u32_u24 v11, 0x84, v23, v15
	s_and_saveexec_b32 s1, s3
	s_cbranch_execz .LBB71_23
; %bb.22:
	ds_read_b32 v13, v11
	s_waitcnt lgkmcnt(0)
	ds_write_b32 v12, v13 offset:4
.LBB71_23:
	s_or_b32 exec_lo, exec_lo, s1
	v_or_b32_e32 v13, 2, v16
	v_cmp_gt_u32_e64 s4, v13, v2
	s_and_saveexec_b32 s1, s4
	s_cbranch_execz .LBB71_25
; %bb.24:
	v_mad_u32_u24 v13, 0x84, v13, v15
	ds_read_b32 v13, v13
	s_waitcnt lgkmcnt(0)
	ds_write_b32 v12, v13 offset:8
.LBB71_25:
	s_or_b32 exec_lo, exec_lo, s1
	v_or_b32_e32 v17, 3, v16
	s_mov_b32 s1, exec_lo
	v_cmp_gt_u32_e64 s5, v17, v2
	v_mul_u32_u24_e32 v13, 0x84, v17
	v_cmpx_le_u32_e64 v17, v2
	s_xor_b32 s1, exec_lo, s1
; %bb.26:
	v_mul_u32_u24_e32 v13, 0x84, v17
                                        ; implicit-def: $vgpr17
                                        ; implicit-def: $vgpr12
; %bb.27:
	s_andn2_saveexec_b32 s1, s1
	s_cbranch_execz .LBB71_29
; %bb.28:
	v_mad_u32_u24 v17, 0x84, v17, v15
	ds_read_b32 v17, v17
	s_waitcnt lgkmcnt(0)
	ds_write_b32 v12, v17 offset:12
.LBB71_29:
	s_or_b32 exec_lo, exec_lo, s1
	v_lshlrev_b32_e32 v25, 2, v16
	s_waitcnt lgkmcnt(0)
	s_barrier
	buffer_gl0_inv
	ds_read_b32 v12, v10
	ds_read_b128 v[26:29], v25 offset:4544
	ds_read2_b32 v[10:11], v11 offset1:33
	v_add_nc_u32_e32 v20, v15, v13
	v_mul_u32_u24_e32 v17, 33, v2
	v_mov_b32_e32 v32, 0
	v_cmp_gt_u32_e64 s1, 32, v14
	ds_read_b32 v13, v20
	v_lshlrev_b32_e32 v17, 2, v17
	s_waitcnt lgkmcnt(0)
	s_barrier
	buffer_gl0_inv
	v_lshl_add_u32 v19, v5, 2, v17
	v_fma_f32 v12, v12, v26, 0
	v_fmac_f32_e32 v12, v10, v27
	v_fmac_f32_e32 v12, v11, v28
	;; [unrolled: 1-line block ×3, first 2 shown]
	ds_write_b32 v19, v12
	s_waitcnt lgkmcnt(0)
	s_barrier
	buffer_gl0_inv
	s_and_saveexec_b32 s8, s1
	s_cbranch_execz .LBB71_31
; %bb.30:
	ds_read2_b32 v[10:11], v17 offset1:1
	ds_read2_b32 v[12:13], v17 offset0:2 offset1:3
	ds_read2_b32 v[26:27], v17 offset0:4 offset1:5
	;; [unrolled: 1-line block ×3, first 2 shown]
	s_waitcnt lgkmcnt(3)
	v_add_f32_e32 v10, v10, v11
	s_waitcnt lgkmcnt(2)
	v_add_f32_e32 v10, v10, v12
	v_add_f32_e32 v10, v10, v13
	s_waitcnt lgkmcnt(1)
	v_add_f32_e32 v10, v10, v26
	;; [unrolled: 3-line block ×3, first 2 shown]
	v_add_f32_e32 v32, v10, v29
.LBB71_31:
	s_or_b32 exec_lo, exec_lo, s8
	s_lshl_b32 s20, s12, 5
	s_ashr_i32 s21, s20, 31
	s_barrier
	s_lshl_b64 s[16:17], s[20:21], 2
	buffer_gl0_inv
	v_add_co_u32 v12, vcc_lo, v3, s16
	v_add_co_ci_u32_e64 v13, null, s17, v4, vcc_lo
	v_add_co_u32 v10, vcc_lo, 0x80, v12
	v_add_co_ci_u32_e64 v11, null, 0, v13, vcc_lo
	s_and_b32 vcc_lo, exec_lo, s19
	s_cbranch_vccz .LBB71_41
; %bb.32:
	v_sub_co_u32 v3, vcc_lo, v12, v15
	s_ashr_i32 s11, s10, 31
	v_subrev_co_ci_u32_e64 v4, null, 0, v13, vcc_lo
	s_lshl_b64 s[22:23], s[10:11], 2
	v_or_b32_e32 v22, 32, v2
	v_add_co_u32 v3, vcc_lo, v3, s22
	v_add_co_ci_u32_e64 v4, null, s23, v4, vcc_lo
	v_mov_b32_e32 v26, 0
	v_add_co_u32 v3, vcc_lo, v3, -4
	v_add_co_ci_u32_e64 v4, null, -1, v4, vcc_lo
	v_cmp_gt_i32_e32 vcc_lo, s10, v22
	v_mov_b32_e32 v22, 0
	s_sub_i32 s11, s10, 32
	s_mov_b32 s13, exec_lo
	v_cndmask_b32_e32 v4, v4, v11, vcc_lo
	v_cndmask_b32_e32 v3, v3, v10, vcc_lo
	v_cmpx_gt_i32_e64 s11, v5
	s_cbranch_execz .LBB71_34
; %bb.33:
	global_load_dword v22, v[3:4], off
.LBB71_34:
	s_or_b32 exec_lo, exec_lo, s13
	v_add_nc_u32_e32 v24, 8, v5
	v_mad_u32_u24 v27, 0x84, v5, v15
	s_mov_b32 s13, exec_lo
	s_waitcnt vmcnt(0)
	ds_write_b32 v27, v22
	v_cmpx_gt_i32_e64 s11, v24
	s_cbranch_execz .LBB71_36
; %bb.35:
	s_lshl_b32 s30, s12, 3
	s_ashr_i32 s31, s30, 31
	s_lshl_b64 s[30:31], s[30:31], 2
	v_add_co_u32 v26, s8, v3, s30
	v_add_co_ci_u32_e64 v27, null, s31, v4, s8
	global_load_dword v26, v[26:27], off
.LBB71_36:
	s_or_b32 exec_lo, exec_lo, s13
	v_add_nc_u32_e32 v27, 16, v5
	v_add_nc_u32_e32 v22, v21, v15
	v_mov_b32_e32 v24, 0
	v_cmp_gt_i32_e64 s8, s11, v27
	v_mov_b32_e32 v27, 0
	s_waitcnt vmcnt(0)
	ds_write_b32 v22, v26 offset:1056
	s_and_saveexec_b32 s13, s8
	s_cbranch_execz .LBB71_38
; %bb.37:
	s_lshl_b32 s30, s12, 4
	s_ashr_i32 s31, s30, 31
	s_lshl_b64 s[30:31], s[30:31], 2
	v_add_co_u32 v26, s8, v3, s30
	v_add_co_ci_u32_e64 v27, null, s31, v4, s8
	global_load_dword v27, v[26:27], off
.LBB71_38:
	s_or_b32 exec_lo, exec_lo, s13
	v_add_nc_u32_e32 v26, 24, v5
	s_waitcnt vmcnt(0)
	ds_write_b32 v22, v27 offset:2112
	v_cmp_gt_i32_e64 s8, s11, v26
	s_and_saveexec_b32 s11, s8
	s_cbranch_execz .LBB71_40
; %bb.39:
	s_mul_i32 s30, s12, 24
	s_ashr_i32 s31, s30, 31
	s_lshl_b64 s[30:31], s[30:31], 2
	v_add_co_u32 v26, s8, v3, s30
	v_add_co_ci_u32_e64 v27, null, s31, v4, s8
	global_load_dword v24, v[26:27], off
.LBB71_40:
	s_or_b32 exec_lo, exec_lo, s11
	v_add_co_u32 v3, s8, v3, v15
	v_add_co_ci_u32_e64 v4, null, 0, v4, s8
	s_waitcnt vmcnt(0)
	ds_write_b32 v22, v24 offset:3168
	v_sub_co_u32 v3, s8, v3, s22
	v_subrev_co_ci_u32_e64 v4, null, s23, v4, s8
	v_add_co_u32 v3, s8, 0x84, v3
	v_add_co_ci_u32_e64 v4, null, 0, v4, s8
	v_cndmask_b32_e32 v3, v3, v10, vcc_lo
	v_cndmask_b32_e32 v4, v4, v11, vcc_lo
	v_mul_u32_u24_e32 v24, 0x210, v5
	v_mad_u32_u24 v22, 0x84, v5, v15
	s_branch .LBB71_43
.LBB71_41:
                                        ; implicit-def: $vgpr3_vgpr4
	v_mul_u32_u24_e32 v24, 0x210, v5
	v_mad_u32_u24 v22, 0x84, v5, v15
	s_cbranch_execz .LBB71_43
; %bb.42:
	s_lshl_b32 s22, s12, 3
	s_ashr_i32 s13, s12, 31
	s_ashr_i32 s23, s22, 31
	s_lshl_b64 s[22:23], s[22:23], 2
	v_add_co_u32 v3, vcc_lo, v12, s22
	v_add_co_ci_u32_e64 v4, null, s23, v13, vcc_lo
	s_lshl_b64 s[22:23], s[12:13], 5
	v_add_co_u32 v26, vcc_lo, v3, s22
	v_add_co_ci_u32_e64 v27, null, s23, v4, vcc_lo
	v_add_co_u32 v28, vcc_lo, v26, s22
	v_add_co_ci_u32_e64 v29, null, s23, v27, vcc_lo
	s_clause 0x3
	global_load_dword v12, v[12:13], off offset:128
	global_load_dword v13, v[3:4], off offset:128
	;; [unrolled: 1-line block ×4, first 2 shown]
	v_mov_b32_e32 v3, v10
	v_mov_b32_e32 v4, v11
	s_waitcnt vmcnt(3)
	ds_write_b32 v22, v12
	s_waitcnt vmcnt(2)
	ds_write_b32 v22, v13 offset:1056
	s_waitcnt vmcnt(1)
	ds_write_b32 v22, v26 offset:2112
	;; [unrolled: 2-line block ×3, first 2 shown]
.LBB71_43:
	v_mul_u32_u24_e32 v11, 0x84, v23
	v_add_nc_u32_e32 v23, v15, v24
	v_lshl_add_u32 v10, v16, 2, v17
	s_waitcnt lgkmcnt(0)
	s_barrier
	buffer_gl0_inv
	s_and_saveexec_b32 s8, s2
	s_cbranch_execnz .LBB71_60
; %bb.44:
	s_or_b32 exec_lo, exec_lo, s8
	v_add_nc_u32_e32 v24, v15, v11
	s_and_saveexec_b32 s2, s3
	s_cbranch_execnz .LBB71_61
.LBB71_45:
	s_or_b32 exec_lo, exec_lo, s2
	s_and_saveexec_b32 s2, s4
	s_cbranch_execnz .LBB71_62
.LBB71_46:
	s_or_b32 exec_lo, exec_lo, s2
	v_add_nc_u32_e32 v25, 0x11c0, v25
	s_and_saveexec_b32 s2, s5
	s_cbranch_execz .LBB71_48
.LBB71_47:
	ds_read_b32 v11, v20
	s_waitcnt lgkmcnt(0)
	ds_write_b32 v10, v11 offset:12
.LBB71_48:
	s_or_b32 exec_lo, exec_lo, s2
	s_waitcnt lgkmcnt(0)
	s_barrier
	buffer_gl0_inv
	ds_read_b32 v28, v23
	ds_read_b128 v[10:13], v25 offset:128
	ds_read2_b32 v[26:27], v24 offset1:33
	ds_read_b32 v29, v20
	v_cmp_eq_u32_e64 s2, 1, v5
	s_waitcnt lgkmcnt(0)
	s_barrier
	buffer_gl0_inv
	v_fma_f32 v10, v28, v10, 0
	v_fmac_f32_e32 v10, v26, v11
	v_fmac_f32_e32 v10, v27, v12
	;; [unrolled: 1-line block ×3, first 2 shown]
	ds_write_b32 v19, v10
	s_waitcnt lgkmcnt(0)
	s_barrier
	buffer_gl0_inv
	s_and_saveexec_b32 s3, s2
	s_cbranch_execz .LBB71_50
; %bb.49:
	ds_read2_b32 v[10:11], v17 offset1:1
	ds_read2_b32 v[12:13], v17 offset0:2 offset1:3
	ds_read2_b32 v[26:27], v17 offset0:4 offset1:5
	;; [unrolled: 1-line block ×3, first 2 shown]
	s_waitcnt lgkmcnt(3)
	v_add_f32_e32 v10, v10, v11
	s_waitcnt lgkmcnt(2)
	v_add_f32_e32 v10, v10, v12
	v_add_f32_e32 v10, v10, v13
	s_waitcnt lgkmcnt(1)
	v_add_f32_e32 v10, v10, v26
	;; [unrolled: 3-line block ×3, first 2 shown]
	v_add_f32_e32 v32, v10, v29
.LBB71_50:
	s_or_b32 exec_lo, exec_lo, s3
	v_add_co_u32 v12, vcc_lo, 0xffffff80, v3
	v_add_co_ci_u32_e64 v13, null, -1, v4, vcc_lo
	s_and_b32 vcc_lo, exec_lo, s19
	s_barrier
	buffer_gl0_inv
	s_cbranch_vccz .LBB71_63
; %bb.51:
	v_sub_co_u32 v10, vcc_lo, v3, v15
	s_ashr_i32 s11, s10, 31
	v_subrev_co_ci_u32_e64 v11, null, 0, v4, vcc_lo
	s_lshl_b64 s[4:5], s[10:11], 2
	v_mov_b32_e32 v29, 0
	v_add_co_u32 v10, vcc_lo, v10, s4
	v_add_co_ci_u32_e64 v11, null, s5, v11, vcc_lo
	v_mov_b32_e32 v26, 0
	v_add_co_u32 v10, vcc_lo, 0xffffff7c, v10
	v_add_co_ci_u32_e64 v11, null, -1, v11, vcc_lo
	v_cmp_gt_i32_e32 vcc_lo, s10, v2
	s_sub_i32 s8, s10, 32
	s_mov_b32 s11, exec_lo
	v_cndmask_b32_e32 v11, v11, v13, vcc_lo
	v_cndmask_b32_e32 v10, v10, v12, vcc_lo
	v_cmpx_gt_i32_e64 s8, v5
	s_cbranch_execz .LBB71_53
; %bb.52:
	global_load_dword v26, v[10:11], off
.LBB71_53:
	s_or_b32 exec_lo, exec_lo, s11
	v_add_nc_u32_e32 v2, 8, v5
	s_mov_b32 s11, exec_lo
	s_waitcnt vmcnt(0)
	ds_write_b32 v22, v26
	v_cmpx_gt_i32_e64 s8, v2
	s_cbranch_execz .LBB71_55
; %bb.54:
	s_lshl_b32 s22, s12, 3
	s_ashr_i32 s23, s22, 31
	s_lshl_b64 s[22:23], s[22:23], 2
	v_add_co_u32 v26, s3, v10, s22
	v_add_co_ci_u32_e64 v27, null, s23, v11, s3
	global_load_dword v29, v[26:27], off
.LBB71_55:
	s_or_b32 exec_lo, exec_lo, s11
	v_add_nc_u32_e32 v26, 16, v5
	v_add_nc_u32_e32 v27, v21, v15
	v_mov_b32_e32 v28, 0
	v_mov_b32_e32 v30, 0
	s_mov_b32 s11, exec_lo
	s_waitcnt vmcnt(0)
	ds_write_b32 v27, v29 offset:1056
	v_cmpx_gt_i32_e64 s8, v26
	s_cbranch_execz .LBB71_57
; %bb.56:
	s_lshl_b32 s22, s12, 4
	s_ashr_i32 s23, s22, 31
	s_lshl_b64 s[22:23], s[22:23], 2
	v_add_co_u32 v29, s3, v10, s22
	v_add_co_ci_u32_e64 v30, null, s23, v11, s3
	global_load_dword v30, v[29:30], off
.LBB71_57:
	s_or_b32 exec_lo, exec_lo, s11
	v_add_nc_u32_e32 v21, 24, v5
	s_waitcnt vmcnt(0)
	ds_write_b32 v27, v30 offset:2112
	v_cmp_gt_i32_e64 s3, s8, v21
	s_and_saveexec_b32 s8, s3
	s_cbranch_execz .LBB71_59
; %bb.58:
	s_mul_i32 s22, s12, 24
	s_ashr_i32 s23, s22, 31
	s_lshl_b64 s[22:23], s[22:23], 2
	v_add_co_u32 v28, s3, v10, s22
	v_add_co_ci_u32_e64 v29, null, s23, v11, s3
	global_load_dword v28, v[28:29], off
.LBB71_59:
	s_or_b32 exec_lo, exec_lo, s8
	v_add_co_u32 v10, s3, v10, v15
	v_add_co_ci_u32_e64 v11, null, 0, v11, s3
	s_waitcnt vmcnt(0)
	ds_write_b32 v27, v28 offset:3168
	v_sub_co_u32 v10, s3, v10, s4
	v_subrev_co_ci_u32_e64 v11, null, s5, v11, s3
	v_add_co_u32 v10, s3, v10, 4
	v_add_co_ci_u32_e64 v11, null, 0, v11, s3
	v_cndmask_b32_e32 v10, v10, v12, vcc_lo
	v_cndmask_b32_e32 v11, v11, v13, vcc_lo
	s_branch .LBB71_65
.LBB71_60:
	ds_read_b32 v12, v23
	s_waitcnt lgkmcnt(0)
	ds_write_b32 v10, v12
	s_or_b32 exec_lo, exec_lo, s8
	v_add_nc_u32_e32 v24, v15, v11
	s_and_saveexec_b32 s2, s3
	s_cbranch_execz .LBB71_45
.LBB71_61:
	ds_read_b32 v11, v24
	s_waitcnt lgkmcnt(0)
	ds_write_b32 v10, v11 offset:4
	s_or_b32 exec_lo, exec_lo, s2
	s_and_saveexec_b32 s2, s4
	s_cbranch_execz .LBB71_46
.LBB71_62:
	ds_read_b32 v11, v24 offset:132
	s_waitcnt lgkmcnt(0)
	ds_write_b32 v10, v11 offset:8
	s_or_b32 exec_lo, exec_lo, s2
	v_add_nc_u32_e32 v25, 0x11c0, v25
	s_and_saveexec_b32 s2, s5
	s_cbranch_execnz .LBB71_47
	s_branch .LBB71_48
.LBB71_63:
                                        ; implicit-def: $vgpr10_vgpr11
                                        ; implicit-def: $vgpr2
                                        ; implicit-def: $vgpr26
                                        ; implicit-def: $vgpr21
	s_cbranch_execz .LBB71_65
; %bb.64:
	s_lshl_b32 s4, s12, 3
	s_ashr_i32 s13, s12, 31
	s_ashr_i32 s5, s4, 31
	v_add_nc_u32_e32 v2, 8, v5
	s_lshl_b64 s[4:5], s[4:5], 2
	v_add_nc_u32_e32 v21, 24, v5
	v_add_co_u32 v10, vcc_lo, v3, s4
	v_add_co_ci_u32_e64 v11, null, s5, v4, vcc_lo
	s_lshl_b64 s[4:5], s[12:13], 5
	v_add_co_u32 v26, vcc_lo, v10, s4
	v_add_co_ci_u32_e64 v27, null, s5, v11, vcc_lo
	v_add_co_u32 v28, vcc_lo, v26, s4
	v_add_co_ci_u32_e64 v29, null, s5, v27, vcc_lo
	s_clause 0x3
	global_load_dword v3, v[3:4], off offset:-128
	global_load_dword v4, v[10:11], off offset:-128
	;; [unrolled: 1-line block ×4, first 2 shown]
	v_mov_b32_e32 v10, v12
	v_add_nc_u32_e32 v26, 16, v5
	v_mov_b32_e32 v11, v13
	s_waitcnt vmcnt(3)
	ds_write_b32 v22, v3
	s_waitcnt vmcnt(2)
	ds_write_b32 v22, v4 offset:1056
	s_waitcnt vmcnt(1)
	ds_write_b32 v22, v15 offset:2112
	;; [unrolled: 2-line block ×3, first 2 shown]
.LBB71_65:
	v_lshlrev_b32_e32 v2, 2, v2
	v_add_nc_u32_e32 v3, v17, v16
	v_lshlrev_b32_e32 v5, 2, v26
	v_lshlrev_b32_e32 v12, 2, v21
	s_waitcnt lgkmcnt(0)
	v_add_nc_u32_e32 v4, v17, v2
	s_barrier
	buffer_gl0_inv
	ds_read_b32 v13, v16 offset:4544
	ds_read_b32 v21, v3
	ds_read_b32 v22, v4
	;; [unrolled: 1-line block ×3, first 2 shown]
	ds_read_b32 v23, v12 offset:4544
	ds_read_b32 v26, v5 offset:4544
	;; [unrolled: 1-line block ×3, first 2 shown]
	v_add_nc_u32_e32 v2, v17, v5
	v_add_nc_u32_e32 v3, v17, v12
	ds_read_b32 v28, v2
	ds_read_b32 v29, v3
	ds_read_b128 v[2:5], v25 offset:128
	ds_read_b32 v16, v20
	s_waitcnt lgkmcnt(9)
	v_fma_f32 v20, v21, v13, 0
	ds_read2_b32 v[12:13], v24 offset1:33
	s_waitcnt lgkmcnt(0)
	s_barrier
	buffer_gl0_inv
	v_fmac_f32_e32 v20, v22, v27
	v_fmac_f32_e32 v20, v28, v26
	;; [unrolled: 1-line block ×3, first 2 shown]
	ds_write_b32 v19, v20
	s_waitcnt lgkmcnt(0)
	s_barrier
	buffer_gl0_inv
	s_and_saveexec_b32 s3, s2
	s_cbranch_execz .LBB71_67
; %bb.66:
	ds_read2_b32 v[20:21], v17 offset1:1
	ds_read2_b32 v[22:23], v17 offset0:2 offset1:3
	ds_read2_b32 v[24:25], v17 offset0:4 offset1:5
	ds_read2_b32 v[26:27], v17 offset0:6 offset1:7
	s_waitcnt lgkmcnt(3)
	v_add_f32_e32 v20, v32, v20
	v_add_f32_e32 v20, v20, v21
	s_waitcnt lgkmcnt(2)
	v_add_f32_e32 v20, v20, v22
	v_add_f32_e32 v20, v20, v23
	;; [unrolled: 3-line block ×4, first 2 shown]
.LBB71_67:
	s_or_b32 exec_lo, exec_lo, s3
	v_fma_f32 v2, v15, v2, 0
	s_barrier
	buffer_gl0_inv
	v_fmac_f32_e32 v2, v12, v3
	v_fmac_f32_e32 v2, v13, v4
	;; [unrolled: 1-line block ×3, first 2 shown]
	ds_write_b32 v19, v2
	s_waitcnt lgkmcnt(0)
	s_barrier
	buffer_gl0_inv
	s_and_saveexec_b32 s2, s1
	s_cbranch_execz .LBB71_69
; %bb.68:
	ds_read2_b32 v[2:3], v17 offset1:1
	ds_read2_b32 v[4:5], v17 offset0:2 offset1:3
	ds_read2_b32 v[12:13], v17 offset0:4 offset1:5
	;; [unrolled: 1-line block ×3, first 2 shown]
	s_waitcnt lgkmcnt(3)
	v_add_f32_e32 v2, v32, v2
	v_add_f32_e32 v2, v2, v3
	s_waitcnt lgkmcnt(2)
	v_add_f32_e32 v2, v2, v4
	v_add_f32_e32 v2, v2, v5
	s_waitcnt lgkmcnt(1)
	v_add_f32_e32 v2, v2, v12
	v_add_f32_e32 v2, v2, v13
	s_waitcnt lgkmcnt(0)
	v_add_f32_e32 v2, v2, v15
	v_add_f32_e32 v32, v2, v16
.LBB71_69:
	s_or_b32 exec_lo, exec_lo, s2
	s_mul_hi_u32 s1, s9, s7
	s_mul_i32 s25, s25, s7
	s_mul_i32 s2, s9, s7
	s_add_i32 s1, s1, s25
	s_mul_hi_u32 s3, s2, s26
	s_mul_i32 s1, s1, s26
	s_mul_i32 s2, s2, s26
	s_add_i32 s3, s3, s1
	s_mul_hi_i32 s5, s9, s6
	s_lshl_b64 s[2:3], s[2:3], 2
	s_mul_i32 s4, s9, s6
	s_add_u32 s1, s14, s2
	s_addc_u32 s8, s15, s3
	s_lshl_b64 s[2:3], s[4:5], 2
	v_lshlrev_b32_e32 v33, 2, v0
	s_add_u32 s7, s1, s2
	s_addc_u32 s11, s8, s3
	s_add_i32 s1, s6, 1
	s_cmp_ge_u32 s1, s26
	s_barrier
	buffer_gl0_inv
	s_cbranch_scc1 .LBB71_126
; %bb.70:
	v_lshlrev_b32_e32 v34, 2, v1
	s_mul_i32 s2, s24, s18
	s_ashr_i32 s13, s12, 31
	s_ashr_i32 s3, s2, 31
	s_lshl_b32 s30, s24, 6
	v_mad_u64_u32 v[2:3], null, s12, v34, v[0:1]
	s_lshl_b64 s[2:3], s[2:3], 2
	s_lshl_b32 s22, s12, 1
	v_sub_co_u32 v35, vcc_lo, v6, s2
	v_subrev_co_ci_u32_e64 v36, null, s3, v7, vcc_lo
	v_ashrrev_i32_e32 v3, 31, v2
	v_add_co_u32 v37, vcc_lo, v10, s16
	v_add_co_ci_u32_e64 v38, null, s17, v11, vcc_lo
	v_sub_co_u32 v39, vcc_lo, 0, v8
	v_lshlrev_b64 v[4:5], 2, v[2:3]
	v_sub_co_ci_u32_e64 v40, null, 0, v9, vcc_lo
	v_add_co_u32 v6, vcc_lo, s20, v2
	v_add_co_ci_u32_e64 v7, null, s21, v3, vcc_lo
	v_sub_co_u32 v41, vcc_lo, v4, v8
	v_sub_co_ci_u32_e64 v42, null, v5, v9, vcc_lo
	v_lshlrev_b64 v[4:5], 2, v[6:7]
	s_lshl_b32 s2, s12, 4
	s_mul_i32 s34, s12, 3
	s_ashr_i32 s3, s2, 31
	s_mul_i32 s24, s24, s1
	s_mul_i32 s33, s12, 12
	s_lshl_b64 s[18:19], s[12:13], 3
	s_add_i32 s29, s26, -2
	s_ashr_i32 s23, s22, 31
	s_ashr_i32 s35, s34, 31
	s_lshl_b64 s[14:15], s[12:13], 2
	s_lshl_b32 s4, s24, 6
	s_lshl_b64 s[8:9], s[2:3], 4
	s_mul_hi_i32 s31, s12, 12
	v_add_co_u32 v6, vcc_lo, s33, v4
	s_add_u32 s1, s18, s16
	v_add_co_ci_u32_e64 v7, null, s31, v5, vcc_lo
	s_addc_u32 s5, s19, s17
	v_add_co_u32 v43, vcc_lo, v10, s1
	s_add_u32 s36, s14, s16
	v_add_co_ci_u32_e64 v44, null, s5, v11, vcc_lo
	v_add_co_u32 v45, vcc_lo, v10, v6
	s_addc_u32 s37, s15, s17
	s_lshl_b64 s[22:23], s[22:23], 2
	v_add_co_ci_u32_e64 v46, null, v11, v7, vcc_lo
	v_add_co_u32 v47, vcc_lo, v10, s36
	s_add_u32 s38, s16, s22
	s_addc_u32 s39, s17, s23
	s_lshl_b64 s[24:25], s[34:35], 2
	v_add_co_ci_u32_e64 v48, null, s37, v11, vcc_lo
	v_add_co_u32 v49, vcc_lo, v10, s38
	s_add_u32 s38, s16, s24
	v_add_co_ci_u32_e64 v50, null, s39, v11, vcc_lo
	s_addc_u32 s39, s17, s25
	s_lshl_b64 s[34:35], s[2:3], 2
	v_add_co_u32 v51, vcc_lo, v10, s38
	s_add_u32 s38, s16, s34
	v_add_co_ci_u32_e64 v52, null, s39, v11, vcc_lo
	s_addc_u32 s39, s17, s35
	v_add_co_u32 v53, vcc_lo, v10, s38
	s_add_u32 s36, s36, s34
	s_addc_u32 s37, s37, s35
	v_add_co_ci_u32_e64 v54, null, s39, v11, vcc_lo
	v_add_co_u32 v55, vcc_lo, v10, s36
	s_add_u32 s36, s38, s22
	v_add_co_ci_u32_e64 v56, null, s37, v11, vcc_lo
	s_addc_u32 s37, s39, s23
	v_add_co_u32 v57, vcc_lo, v10, s36
	s_add_u32 s36, s38, s24
	v_add_co_ci_u32_e64 v58, null, s37, v11, vcc_lo
	s_addc_u32 s37, s39, s25
	s_add_u32 s34, s1, s34
	s_addc_u32 s35, s5, s35
	s_add_u32 s20, s20, s2
	s_addc_u32 s21, s21, s3
	v_add_co_u32 v2, vcc_lo, s20, v2
	v_add_co_ci_u32_e64 v3, null, s21, v3, vcc_lo
	v_add_co_u32 v59, vcc_lo, v10, s36
	v_add_co_ci_u32_e64 v60, null, s37, v11, vcc_lo
	v_lshlrev_b64 v[2:3], 2, v[2:3]
	v_add_co_u32 v61, vcc_lo, v10, s34
	v_add_co_ci_u32_e64 v62, null, s35, v11, vcc_lo
	s_lshl_b64 s[20:21], s[2:3], 3
	v_add_co_u32 v2, vcc_lo, s33, v2
	v_add_co_ci_u32_e64 v3, null, s31, v3, vcc_lo
	s_add_u32 s16, s20, s16
	s_addc_u32 s17, s21, s17
	s_add_u32 s34, s16, s14
	v_add_co_u32 v63, vcc_lo, v10, v2
	s_addc_u32 s35, s17, s15
	s_add_u32 s36, s16, s22
	v_add_co_ci_u32_e64 v64, null, v11, v3, vcc_lo
	v_add_co_u32 v65, vcc_lo, v10, s16
	s_addc_u32 s37, s17, s23
	s_add_u32 s16, s16, s24
	v_mad_i64_i32 v[2:3], null, s2, 12, v[4:5]
	v_add_co_ci_u32_e64 v66, null, s17, v11, vcc_lo
	s_addc_u32 s17, s17, s25
	s_add_u32 s1, s1, s20
	s_addc_u32 s5, s5, s21
	s_add_u32 s20, s33, s20
	s_addc_u32 s21, s31, s21
	v_add_co_u32 v8, vcc_lo, s20, v4
	v_add_co_ci_u32_e64 v9, null, s21, v5, vcc_lo
	v_add_co_u32 v67, vcc_lo, v10, v2
	s_mul_i32 s20, s12, 0xc0
	s_mul_hi_i32 s21, s2, 12
	v_add_co_ci_u32_e64 v68, null, v11, v3, vcc_lo
	v_add_co_u32 v12, vcc_lo, v2, s14
	s_add_u32 s14, s20, s18
	v_add_co_ci_u32_e64 v13, null, s15, v3, vcc_lo
	s_addc_u32 s15, s21, s19
	s_add_u32 s2, s12, s2
	v_add_co_u32 v15, vcc_lo, v2, s22
	v_mad_u64_u32 v[6:7], null, s2, 12, v[4:5]
	v_add_co_ci_u32_e64 v16, null, s23, v3, vcc_lo
	v_add_co_u32 v17, vcc_lo, v2, s24
	s_addc_u32 s2, s13, s3
	v_add_co_ci_u32_e64 v19, null, s25, v3, vcc_lo
	v_mov_b32_e32 v2, v7
	v_add_co_u32 v4, vcc_lo, s14, v4
	v_add_co_ci_u32_e64 v5, null, s15, v5, vcc_lo
	v_mad_u64_u32 v[2:3], null, s2, 12, v[2:3]
	v_add_co_u32 v69, vcc_lo, v10, s34
	v_add_co_ci_u32_e64 v70, null, s35, v11, vcc_lo
	v_add_co_u32 v71, vcc_lo, v10, v6
	v_add_co_ci_u32_e64 v72, null, v11, v2, vcc_lo
	;; [unrolled: 2-line block ×7, first 2 shown]
	v_add_co_u32 v83, vcc_lo, v10, v4
	v_lshrrev_b32_e32 v2, 2, v14
	v_and_b32_e32 v3, 48, v0
	v_and_b32_e32 v4, 15, v0
	v_add_co_ci_u32_e64 v84, null, v11, v5, vcc_lo
	v_and_b32_e32 v2, 0x1ffc, v2
	v_lshlrev_b32_e32 v3, 2, v3
	v_or_b32_e32 v5, 60, v33
	v_mul_u32_u24_e32 v6, 0x10c, v4
	v_and_b32_e32 v7, 0x7ff0, v14
	v_add_co_u32 v85, vcc_lo, v10, s16
	v_add_co_ci_u32_e64 v86, null, s17, v11, vcc_lo
	v_add_co_u32 v87, vcc_lo, v10, s1
	v_add_co_ci_u32_e64 v88, null, s5, v11, vcc_lo
	v_mad_u32_u24 v89, 0x10c, v4, v2
	v_mad_u32_u24 v90, 0x10c, v4, v3
	;; [unrolled: 1-line block ×3, first 2 shown]
	v_cmp_gt_u32_e64 s1, 64, v14
	v_add_nc_u32_e32 v92, v6, v7
	v_lshl_add_u32 v93, v1, 4, 0x10c0
	v_add_nc_u32_e32 v94, 0x11c0, v33
	v_mad_u32_u24 v95, 0x430, v1, v33
	v_add_nc_u32_e32 v96, 17, v34
	v_add_nc_u32_e32 v97, 18, v34
	;; [unrolled: 1-line block ×12, first 2 shown]
	s_cmp_eq_u32 s29, s6
	s_cselect_b32 s3, s27, 0
	s_and_saveexec_b32 s2, s0
	s_cbranch_execz .LBB71_74
.LBB71_71:
	v_cmp_gt_i32_e32 vcc_lo, s3, v0
	s_cmp_eq_u32 s3, 0
	v_mov_b32_e32 v2, 0
	s_cselect_b32 s5, -1, 0
	s_or_b32 s5, s5, vcc_lo
	s_and_saveexec_b32 s12, s5
	s_cbranch_execz .LBB71_73
; %bb.72:
	s_ashr_i32 s5, s4, 31
	s_lshl_b64 s[14:15], s[4:5], 2
	v_add_co_u32 v2, vcc_lo, v35, s14
	v_add_co_ci_u32_e64 v3, null, s15, v36, vcc_lo
	global_load_dword v2, v[2:3], off
.LBB71_73:
	s_or_b32 exec_lo, exec_lo, s12
	v_add_nc_u32_e32 v3, 0x10c0, v33
	s_waitcnt vmcnt(0)
	ds_write_b32 v3, v2
.LBB71_74:                              ; =>This Inner Loop Header: Depth=1
	s_or_b32 exec_lo, exec_lo, s2
	s_cmp_eq_u32 s3, 0
	v_add_co_u32 v2, vcc_lo, v37, v41
	s_cselect_b32 s5, -1, 0
	s_cmp_lg_u32 s3, 0
	v_add_co_ci_u32_e64 v3, null, v38, v42, vcc_lo
	s_cselect_b32 s2, -1, 0
	s_mov_b32 s12, -1
	s_and_b32 vcc_lo, exec_lo, s2
	s_waitcnt lgkmcnt(0)
	s_barrier
	buffer_gl0_inv
                                        ; implicit-def: $vgpr108
                                        ; implicit-def: $vgpr109
                                        ; implicit-def: $vgpr107
                                        ; implicit-def: $vgpr110
	s_cbranch_vccz .LBB71_84
; %bb.75:                               ;   in Loop: Header=BB71_74 Depth=1
	v_mov_b32_e32 v107, 0
	v_mov_b32_e32 v110, 0
	s_mov_b32 s12, exec_lo
	v_cmpx_gt_i32_e64 s3, v34
	s_cbranch_execz .LBB71_77
; %bb.76:                               ;   in Loop: Header=BB71_74 Depth=1
	global_load_dword v110, v[2:3], off
.LBB71_77:                              ;   in Loop: Header=BB71_74 Depth=1
	s_or_b32 exec_lo, exec_lo, s12
	v_or_b32_e32 v4, 1, v34
	s_mov_b32 s12, exec_lo
	v_cmpx_gt_i32_e64 s3, v4
	s_cbranch_execz .LBB71_79
; %bb.78:                               ;   in Loop: Header=BB71_74 Depth=1
	v_add_co_u32 v4, vcc_lo, v47, v41
	v_add_co_ci_u32_e64 v5, null, v48, v42, vcc_lo
	global_load_dword v107, v[4:5], off
.LBB71_79:                              ;   in Loop: Header=BB71_74 Depth=1
	s_or_b32 exec_lo, exec_lo, s12
	v_or_b32_e32 v4, 2, v34
	v_mov_b32_e32 v108, 0
	v_mov_b32_e32 v109, 0
	s_mov_b32 s12, exec_lo
	v_cmpx_gt_i32_e64 s3, v4
	s_cbranch_execz .LBB71_81
; %bb.80:                               ;   in Loop: Header=BB71_74 Depth=1
	v_add_co_u32 v4, vcc_lo, v49, v41
	v_add_co_ci_u32_e64 v5, null, v50, v42, vcc_lo
	global_load_dword v109, v[4:5], off
.LBB71_81:                              ;   in Loop: Header=BB71_74 Depth=1
	s_or_b32 exec_lo, exec_lo, s12
	v_or_b32_e32 v4, 3, v34
	s_mov_b32 s12, exec_lo
	v_cmpx_gt_i32_e64 s3, v4
	s_cbranch_execz .LBB71_83
; %bb.82:                               ;   in Loop: Header=BB71_74 Depth=1
	v_add_co_u32 v4, vcc_lo, v51, v41
	v_add_co_ci_u32_e64 v5, null, v52, v42, vcc_lo
	global_load_dword v108, v[4:5], off
.LBB71_83:                              ;   in Loop: Header=BB71_74 Depth=1
	s_or_b32 exec_lo, exec_lo, s12
	s_mov_b32 s12, 0
.LBB71_84:                              ;   in Loop: Header=BB71_74 Depth=1
	s_and_b32 vcc_lo, exec_lo, s12
	s_cbranch_vccz .LBB71_86
; %bb.85:                               ;   in Loop: Header=BB71_74 Depth=1
	v_add_co_u32 v4, vcc_lo, v47, v41
	v_add_co_ci_u32_e64 v5, null, v48, v42, vcc_lo
	v_add_co_u32 v6, vcc_lo, v43, v41
	v_add_co_ci_u32_e64 v7, null, v44, v42, vcc_lo
	;; [unrolled: 2-line block ×3, first 2 shown]
	global_load_dword v110, v[2:3], off
	global_load_dword v107, v[4:5], off
	;; [unrolled: 1-line block ×4, first 2 shown]
.LBB71_86:                              ;   in Loop: Header=BB71_74 Depth=1
	ds_read_b32 v6, v94
	ds_read_b128 v[2:5], v93
	v_cndmask_b32_e64 v14, 0, 1, s2
                                        ; implicit-def: $vgpr113
                                        ; implicit-def: $vgpr114
                                        ; implicit-def: $vgpr111
                                        ; implicit-def: $vgpr112
	s_waitcnt vmcnt(0) lgkmcnt(1)
	v_mul_f32_e32 v7, v110, v6
	v_mul_f32_e32 v8, v107, v6
	;; [unrolled: 1-line block ×4, first 2 shown]
	ds_write2_b32 v95, v7, v8 offset1:67
	ds_write2_b32 v95, v9, v6 offset0:134 offset1:201
	s_waitcnt lgkmcnt(0)
	s_barrier
	buffer_gl0_inv
	ds_read2_b32 v[22:23], v92 offset1:1
	ds_read2_b32 v[20:21], v92 offset0:2 offset1:3
	v_add_co_u32 v6, vcc_lo, v53, v41
	v_add_co_ci_u32_e64 v7, null, v54, v42, vcc_lo
	s_andn2_b32 vcc_lo, exec_lo, s2
	s_mov_b32 s2, -1
	s_waitcnt lgkmcnt(0)
	s_barrier
	buffer_gl0_inv
	s_cbranch_vccnz .LBB71_96
; %bb.87:                               ;   in Loop: Header=BB71_74 Depth=1
	v_add_nc_u32_e32 v8, 16, v34
	v_mov_b32_e32 v111, 0
	v_mov_b32_e32 v112, 0
	s_mov_b32 s2, exec_lo
	v_cmpx_gt_i32_e64 s3, v8
	s_cbranch_execz .LBB71_89
; %bb.88:                               ;   in Loop: Header=BB71_74 Depth=1
	global_load_dword v112, v[6:7], off
.LBB71_89:                              ;   in Loop: Header=BB71_74 Depth=1
	s_or_b32 exec_lo, exec_lo, s2
	s_mov_b32 s2, exec_lo
	v_cmpx_gt_i32_e64 s3, v96
	s_cbranch_execz .LBB71_91
; %bb.90:                               ;   in Loop: Header=BB71_74 Depth=1
	v_add_co_u32 v8, vcc_lo, v55, v41
	v_add_co_ci_u32_e64 v9, null, v56, v42, vcc_lo
	global_load_dword v111, v[8:9], off
.LBB71_91:                              ;   in Loop: Header=BB71_74 Depth=1
	s_or_b32 exec_lo, exec_lo, s2
	v_mov_b32_e32 v113, 0
	v_mov_b32_e32 v114, 0
	s_mov_b32 s2, exec_lo
	v_cmpx_gt_i32_e64 s3, v97
	s_cbranch_execz .LBB71_93
; %bb.92:                               ;   in Loop: Header=BB71_74 Depth=1
	v_add_co_u32 v8, vcc_lo, v57, v41
	v_add_co_ci_u32_e64 v9, null, v58, v42, vcc_lo
	global_load_dword v114, v[8:9], off
.LBB71_93:                              ;   in Loop: Header=BB71_74 Depth=1
	s_or_b32 exec_lo, exec_lo, s2
	s_mov_b32 s2, exec_lo
	v_cmpx_gt_i32_e64 s3, v98
	s_cbranch_execz .LBB71_95
; %bb.94:                               ;   in Loop: Header=BB71_74 Depth=1
	v_add_co_u32 v8, vcc_lo, v59, v41
	v_add_co_ci_u32_e64 v9, null, v60, v42, vcc_lo
	global_load_dword v113, v[8:9], off
.LBB71_95:                              ;   in Loop: Header=BB71_74 Depth=1
	s_or_b32 exec_lo, exec_lo, s2
	s_mov_b32 s2, 0
.LBB71_96:                              ;   in Loop: Header=BB71_74 Depth=1
	s_and_b32 vcc_lo, exec_lo, s2
	s_cbranch_vccz .LBB71_98
; %bb.97:                               ;   in Loop: Header=BB71_74 Depth=1
	v_add_co_u32 v8, vcc_lo, v55, v41
	v_add_co_ci_u32_e64 v9, null, v56, v42, vcc_lo
	v_add_co_u32 v10, vcc_lo, v61, v41
	v_add_co_ci_u32_e64 v11, null, v62, v42, vcc_lo
	;; [unrolled: 2-line block ×3, first 2 shown]
	global_load_dword v112, v[6:7], off
	global_load_dword v111, v[8:9], off
	;; [unrolled: 1-line block ×4, first 2 shown]
.LBB71_98:                              ;   in Loop: Header=BB71_74 Depth=1
	ds_read_b32 v10, v94
	ds_read_b128 v[6:9], v93 offset:64
	v_cmp_ne_u32_e32 vcc_lo, 1, v14
                                        ; implicit-def: $vgpr117
                                        ; implicit-def: $vgpr118
                                        ; implicit-def: $vgpr115
                                        ; implicit-def: $vgpr116
	s_and_b32 vcc_lo, exec_lo, vcc_lo
	s_waitcnt vmcnt(0) lgkmcnt(1)
	v_mul_f32_e32 v11, v112, v10
	v_mul_f32_e32 v12, v111, v10
	;; [unrolled: 1-line block ×4, first 2 shown]
	ds_write2_b32 v95, v11, v12 offset1:67
	ds_write2_b32 v95, v13, v10 offset0:134 offset1:201
	s_waitcnt lgkmcnt(0)
	s_barrier
	buffer_gl0_inv
	ds_read2_b32 v[26:27], v92 offset1:1
	ds_read2_b32 v[24:25], v92 offset0:2 offset1:3
	v_add_co_u32 v10, s2, v65, v41
	v_add_co_ci_u32_e64 v11, null, v66, v42, s2
	s_mov_b32 s2, -1
	s_waitcnt lgkmcnt(0)
	s_barrier
	buffer_gl0_inv
	s_cbranch_vccnz .LBB71_108
; %bb.99:                               ;   in Loop: Header=BB71_74 Depth=1
	v_mov_b32_e32 v115, 0
	v_mov_b32_e32 v116, 0
	s_mov_b32 s2, exec_lo
	v_cmpx_gt_i32_e64 s3, v99
	s_cbranch_execz .LBB71_101
; %bb.100:                              ;   in Loop: Header=BB71_74 Depth=1
	global_load_dword v116, v[10:11], off
.LBB71_101:                             ;   in Loop: Header=BB71_74 Depth=1
	s_or_b32 exec_lo, exec_lo, s2
	s_mov_b32 s2, exec_lo
	v_cmpx_gt_i32_e64 s3, v100
	s_cbranch_execz .LBB71_103
; %bb.102:                              ;   in Loop: Header=BB71_74 Depth=1
	v_add_co_u32 v12, vcc_lo, v69, v41
	v_add_co_ci_u32_e64 v13, null, v70, v42, vcc_lo
	global_load_dword v115, v[12:13], off
.LBB71_103:                             ;   in Loop: Header=BB71_74 Depth=1
	s_or_b32 exec_lo, exec_lo, s2
	v_mov_b32_e32 v117, 0
	v_mov_b32_e32 v118, 0
	s_mov_b32 s2, exec_lo
	v_cmpx_gt_i32_e64 s3, v101
	s_cbranch_execz .LBB71_105
; %bb.104:                              ;   in Loop: Header=BB71_74 Depth=1
	v_add_co_u32 v12, vcc_lo, v73, v41
	v_add_co_ci_u32_e64 v13, null, v74, v42, vcc_lo
	global_load_dword v118, v[12:13], off
.LBB71_105:                             ;   in Loop: Header=BB71_74 Depth=1
	s_or_b32 exec_lo, exec_lo, s2
	s_mov_b32 s2, exec_lo
	v_cmpx_gt_i32_e64 s3, v102
	s_cbranch_execz .LBB71_107
; %bb.106:                              ;   in Loop: Header=BB71_74 Depth=1
	v_add_co_u32 v12, vcc_lo, v85, v41
	v_add_co_ci_u32_e64 v13, null, v86, v42, vcc_lo
	global_load_dword v117, v[12:13], off
.LBB71_107:                             ;   in Loop: Header=BB71_74 Depth=1
	s_or_b32 exec_lo, exec_lo, s2
	s_mov_b32 s2, 0
.LBB71_108:                             ;   in Loop: Header=BB71_74 Depth=1
	s_and_b32 vcc_lo, exec_lo, s2
	s_cbranch_vccz .LBB71_110
; %bb.109:                              ;   in Loop: Header=BB71_74 Depth=1
	v_add_co_u32 v12, vcc_lo, v69, v41
	v_add_co_ci_u32_e64 v13, null, v70, v42, vcc_lo
	v_add_co_u32 v15, vcc_lo, v87, v41
	v_add_co_ci_u32_e64 v16, null, v88, v42, vcc_lo
	;; [unrolled: 2-line block ×3, first 2 shown]
	global_load_dword v116, v[10:11], off
	global_load_dword v115, v[12:13], off
	;; [unrolled: 1-line block ×4, first 2 shown]
.LBB71_110:                             ;   in Loop: Header=BB71_74 Depth=1
	ds_read_b32 v15, v94
	ds_read_b128 v[10:13], v93 offset:128
	v_cmp_ne_u32_e32 vcc_lo, 1, v14
	v_add_co_u32 v14, s2, v67, v39
                                        ; implicit-def: $vgpr121
                                        ; implicit-def: $vgpr122
                                        ; implicit-def: $vgpr119
                                        ; implicit-def: $vgpr120
	s_and_b32 vcc_lo, exec_lo, vcc_lo
	s_waitcnt vmcnt(0) lgkmcnt(1)
	v_mul_f32_e32 v16, v116, v15
	v_mul_f32_e32 v17, v115, v15
	;; [unrolled: 1-line block ×4, first 2 shown]
	ds_write2_b32 v95, v16, v17 offset1:67
	ds_write2_b32 v95, v28, v15 offset0:134 offset1:201
	s_waitcnt lgkmcnt(0)
	s_barrier
	buffer_gl0_inv
	ds_read2_b32 v[30:31], v92 offset1:1
	ds_read2_b32 v[28:29], v92 offset0:2 offset1:3
	v_add_co_ci_u32_e64 v15, null, v68, v40, s2
	s_mov_b32 s2, -1
	s_waitcnt lgkmcnt(0)
	s_barrier
	buffer_gl0_inv
	s_cbranch_vccnz .LBB71_120
; %bb.111:                              ;   in Loop: Header=BB71_74 Depth=1
	v_mov_b32_e32 v119, 0
	v_mov_b32_e32 v120, 0
	s_mov_b32 s2, exec_lo
	v_cmpx_gt_i32_e64 s3, v103
	s_cbranch_execz .LBB71_113
; %bb.112:                              ;   in Loop: Header=BB71_74 Depth=1
	global_load_dword v120, v[14:15], off
.LBB71_113:                             ;   in Loop: Header=BB71_74 Depth=1
	s_or_b32 exec_lo, exec_lo, s2
	s_mov_b32 s2, exec_lo
	v_cmpx_gt_i32_e64 s3, v104
	s_cbranch_execz .LBB71_115
; %bb.114:                              ;   in Loop: Header=BB71_74 Depth=1
	v_add_co_u32 v16, vcc_lo, v77, v39
	v_add_co_ci_u32_e64 v17, null, v78, v40, vcc_lo
	global_load_dword v119, v[16:17], off
.LBB71_115:                             ;   in Loop: Header=BB71_74 Depth=1
	s_or_b32 exec_lo, exec_lo, s2
	v_mov_b32_e32 v121, 0
	v_mov_b32_e32 v122, 0
	s_mov_b32 s2, exec_lo
	v_cmpx_gt_i32_e64 s3, v105
	s_cbranch_execz .LBB71_117
; %bb.116:                              ;   in Loop: Header=BB71_74 Depth=1
	v_add_co_u32 v16, vcc_lo, v79, v39
	v_add_co_ci_u32_e64 v17, null, v80, v40, vcc_lo
	global_load_dword v122, v[16:17], off
.LBB71_117:                             ;   in Loop: Header=BB71_74 Depth=1
	s_or_b32 exec_lo, exec_lo, s2
	s_mov_b32 s2, exec_lo
	v_cmpx_gt_i32_e64 s3, v106
	s_cbranch_execz .LBB71_119
; %bb.118:                              ;   in Loop: Header=BB71_74 Depth=1
	v_add_co_u32 v16, vcc_lo, v81, v39
	v_add_co_ci_u32_e64 v17, null, v82, v40, vcc_lo
	global_load_dword v121, v[16:17], off
.LBB71_119:                             ;   in Loop: Header=BB71_74 Depth=1
	s_or_b32 exec_lo, exec_lo, s2
	s_mov_b32 s2, 0
.LBB71_120:                             ;   in Loop: Header=BB71_74 Depth=1
	s_and_b32 vcc_lo, exec_lo, s2
	s_cbranch_vccz .LBB71_122
; %bb.121:                              ;   in Loop: Header=BB71_74 Depth=1
	v_add_co_u32 v16, vcc_lo, v77, v39
	v_add_co_ci_u32_e64 v17, null, v78, v40, vcc_lo
	s_waitcnt vmcnt(0)
	v_add_co_u32 v121, vcc_lo, v83, v39
	v_add_co_ci_u32_e64 v122, null, v84, v40, vcc_lo
	v_add_co_u32 v123, vcc_lo, v71, v39
	v_add_co_ci_u32_e64 v124, null, v72, v40, vcc_lo
	global_load_dword v120, v[14:15], off
	global_load_dword v119, v[16:17], off
	;; [unrolled: 1-line block ×4, first 2 shown]
.LBB71_122:                             ;   in Loop: Header=BB71_74 Depth=1
	ds_read_b32 v123, v94
	ds_read_b128 v[14:17], v93 offset:192
	v_add_f32_e32 v26, 0, v26
	v_add_f32_e32 v22, 0, v22
	;; [unrolled: 1-line block ×3, first 2 shown]
	v_cmp_gt_i32_e32 vcc_lo, s3, v0
	v_add_f32_e32 v26, v26, v27
	v_add_f32_e32 v22, v22, v23
	v_add_f32_e32 v30, v30, v31
	s_or_b32 s2, s5, vcc_lo
	v_add_f32_e32 v24, v26, v24
	v_add_f32_e32 v20, v22, v20
	;; [unrolled: 1-line block ×3, first 2 shown]
	s_and_b32 s3, s1, s2
	v_add_f32_e32 v24, v24, v25
	v_add_f32_e32 v20, v20, v21
	s_waitcnt vmcnt(0) lgkmcnt(1)
	v_mul_f32_e32 v124, v120, v123
	v_mul_f32_e32 v125, v119, v123
	;; [unrolled: 1-line block ×4, first 2 shown]
	ds_write2_b32 v95, v124, v125 offset1:67
	ds_write2_b32 v95, v126, v123 offset0:134 offset1:201
	s_waitcnt lgkmcnt(0)
	s_barrier
	buffer_gl0_inv
	ds_read2_b32 v[123:124], v92 offset1:1
	ds_read2_b32 v[125:126], v92 offset0:2 offset1:3
	s_waitcnt lgkmcnt(0)
	s_barrier
	buffer_gl0_inv
	v_add_f32_e32 v123, 0, v123
	v_add_f32_e32 v23, v123, v124
	;; [unrolled: 1-line block ×5, first 2 shown]
	ds_write2_b32 v89, v20, v24 offset1:16
	ds_write2_b32 v89, v23, v21 offset0:32 offset1:48
	s_waitcnt lgkmcnt(0)
	s_barrier
	buffer_gl0_inv
	s_and_saveexec_b32 s2, s3
	s_cbranch_execz .LBB71_124
; %bb.123:                              ;   in Loop: Header=BB71_74 Depth=1
	ds_read2_b32 v[20:21], v90 offset1:1
	ds_read2_b32 v[22:23], v90 offset0:2 offset1:3
	ds_read2_b32 v[24:25], v90 offset0:4 offset1:5
	;; [unrolled: 1-line block ×3, first 2 shown]
	s_waitcnt lgkmcnt(3)
	v_add_f32_e32 v20, v20, v21
	s_waitcnt lgkmcnt(2)
	v_add_f32_e32 v20, v20, v22
	v_add_f32_e32 v22, v20, v23
	ds_read2_b32 v[20:21], v90 offset0:8 offset1:9
	s_waitcnt lgkmcnt(2)
	v_add_f32_e32 v22, v22, v24
	v_add_f32_e32 v24, v22, v25
	ds_read2_b32 v[22:23], v90 offset0:10 offset1:11
	;; [unrolled: 4-line block ×3, first 2 shown]
	ds_read_b32 v27, v90 offset:56
	s_waitcnt lgkmcnt(3)
	v_add_f32_e32 v20, v26, v20
	v_add_f32_e32 v20, v20, v21
	s_waitcnt lgkmcnt(2)
	v_add_f32_e32 v20, v20, v22
	ds_read_b32 v22, v91
	v_add_f32_e32 v20, v20, v23
	s_waitcnt lgkmcnt(2)
	v_add_f32_e32 v20, v20, v24
	v_add_f32_e32 v21, v20, v25
	v_ashrrev_i32_e32 v20, 31, v19
	s_waitcnt lgkmcnt(1)
	v_add_f32_e32 v23, v21, v27
	v_lshlrev_b64 v[20:21], 2, v[19:20]
	s_waitcnt lgkmcnt(0)
	v_add_f32_e32 v22, v23, v22
	v_add_co_u32 v20, vcc_lo, s7, v20
	v_add_co_ci_u32_e64 v21, null, s11, v21, vcc_lo
	global_store_dword v[20:21], v22, off
.LBB71_124:                             ;   in Loop: Header=BB71_74 Depth=1
	s_or_b32 exec_lo, exec_lo, s2
	v_fmac_f32_e32 v32, v110, v2
	v_add_co_u32 v37, vcc_lo, v37, s8
	v_add_co_ci_u32_e64 v38, null, s9, v38, vcc_lo
	v_fmac_f32_e32 v32, v107, v3
	v_add_co_u32 v43, vcc_lo, v43, s8
	v_add_co_ci_u32_e64 v44, null, s9, v44, vcc_lo
	;; [unrolled: 3-line block ×10, first 2 shown]
	v_add_co_u32 v61, vcc_lo, v61, s8
	v_add_co_ci_u32_e64 v62, null, s9, v62, vcc_lo
	v_add_co_u32 v63, vcc_lo, v63, s8
	v_fmac_f32_e32 v32, v118, v12
	v_add_co_ci_u32_e64 v64, null, s9, v64, vcc_lo
	v_add_co_u32 v65, vcc_lo, v65, s8
	v_add_co_ci_u32_e64 v66, null, s9, v66, vcc_lo
	v_add_co_u32 v69, vcc_lo, v69, s8
	v_fmac_f32_e32 v32, v117, v13
	v_add_co_ci_u32_e64 v70, null, s9, v70, vcc_lo
	v_add_co_u32 v73, vcc_lo, v73, s8
	v_add_co_ci_u32_e64 v74, null, s9, v74, vcc_lo
	v_add_co_u32 v85, vcc_lo, v85, s8
	;; [unrolled: 2-line block ×3, first 2 shown]
	v_fmac_f32_e32 v32, v120, v14
	v_add_co_ci_u32_e64 v88, null, s9, v88, vcc_lo
	v_add_co_u32 v75, vcc_lo, v75, s8
	v_add_co_ci_u32_e64 v76, null, s9, v76, vcc_lo
	v_add_co_u32 v67, vcc_lo, v67, s8
	v_fmac_f32_e32 v32, v119, v15
	v_add_co_ci_u32_e64 v68, null, s9, v68, vcc_lo
	v_add_co_u32 v77, vcc_lo, v77, s8
	v_add_co_ci_u32_e64 v78, null, s9, v78, vcc_lo
	v_add_co_u32 v79, vcc_lo, v79, s8
	v_add_co_ci_u32_e64 v80, null, s9, v80, vcc_lo
	v_add_co_u32 v81, vcc_lo, v81, s8
	v_fmac_f32_e32 v32, v122, v16
	v_add_co_ci_u32_e64 v82, null, s9, v82, vcc_lo
	v_add_co_u32 v83, vcc_lo, v83, s8
	v_add_co_ci_u32_e64 v84, null, s9, v84, vcc_lo
	v_add_co_u32 v71, vcc_lo, v71, s8
	v_add_nc_u32_e32 v19, 64, v19
	v_fmac_f32_e32 v32, v121, v17
	v_add_co_ci_u32_e64 v72, null, s9, v72, vcc_lo
	s_add_i32 s3, s6, 2
	s_add_i32 s2, s6, 1
	;; [unrolled: 1-line block ×3, first 2 shown]
	s_cmp_ge_u32 s3, s26
	s_waitcnt_vscnt null, 0x0
	s_barrier
	buffer_gl0_inv
	s_cbranch_scc1 .LBB71_126
; %bb.125:                              ;   in Loop: Header=BB71_74 Depth=1
	s_mov_b32 s6, s2
	s_cmp_eq_u32 s29, s6
	s_cselect_b32 s3, s27, 0
	s_and_saveexec_b32 s2, s0
	s_cbranch_execnz .LBB71_71
	s_branch .LBB71_74
.LBB71_126:
	v_cmp_gt_i32_e32 vcc_lo, s10, v0
	v_mad_u32_u24 v1, 0x10c, v1, v33
	s_or_b32 s1, s28, vcc_lo
	ds_write_b32 v1, v32
	s_and_b32 s0, s0, s1
	s_waitcnt lgkmcnt(0)
	s_barrier
	buffer_gl0_inv
	s_and_saveexec_b32 s1, s0
	s_cbranch_execz .LBB71_128
; %bb.127:
	ds_read2_b32 v[0:1], v33 offset1:67
	ds_read2_b32 v[2:3], v33 offset0:134 offset1:201
	v_ashrrev_i32_e32 v19, 31, v18
	s_waitcnt lgkmcnt(1)
	v_add_f32_e32 v0, v0, v1
	s_waitcnt lgkmcnt(0)
	v_add_f32_e32 v2, v0, v2
	v_lshlrev_b64 v[0:1], 2, v[18:19]
	v_add_f32_e32 v2, v2, v3
	v_add_co_u32 v0, vcc_lo, s7, v0
	v_add_co_ci_u32_e64 v1, null, s11, v1, vcc_lo
	global_store_dword v[0:1], v2, off
.LBB71_128:
	s_endpgm
	.section	.rodata,"a",@progbits
	.p2align	6, 0x0
	.amdhsa_kernel _ZL26rocblas_hemvn_kernel_upperILb0ELi64ELi4ELi33ELi32ELi16EiPKfS1_PfEviT6_lT7_lT5_lS4_lS5_lS3_lT8_i
		.amdhsa_group_segment_fixed_size 4800
		.amdhsa_private_segment_fixed_size 0
		.amdhsa_kernarg_size 376
		.amdhsa_user_sgpr_count 6
		.amdhsa_user_sgpr_private_segment_buffer 1
		.amdhsa_user_sgpr_dispatch_ptr 0
		.amdhsa_user_sgpr_queue_ptr 0
		.amdhsa_user_sgpr_kernarg_segment_ptr 1
		.amdhsa_user_sgpr_dispatch_id 0
		.amdhsa_user_sgpr_flat_scratch_init 0
		.amdhsa_user_sgpr_private_segment_size 0
		.amdhsa_wavefront_size32 1
		.amdhsa_uses_dynamic_stack 0
		.amdhsa_system_sgpr_private_segment_wavefront_offset 0
		.amdhsa_system_sgpr_workgroup_id_x 1
		.amdhsa_system_sgpr_workgroup_id_y 0
		.amdhsa_system_sgpr_workgroup_id_z 1
		.amdhsa_system_sgpr_workgroup_info 0
		.amdhsa_system_vgpr_workitem_id 1
		.amdhsa_next_free_vgpr 127
		.amdhsa_next_free_sgpr 40
		.amdhsa_reserve_vcc 1
		.amdhsa_reserve_flat_scratch 0
		.amdhsa_float_round_mode_32 0
		.amdhsa_float_round_mode_16_64 0
		.amdhsa_float_denorm_mode_32 3
		.amdhsa_float_denorm_mode_16_64 3
		.amdhsa_dx10_clamp 1
		.amdhsa_ieee_mode 1
		.amdhsa_fp16_overflow 0
		.amdhsa_workgroup_processor_mode 1
		.amdhsa_memory_ordered 1
		.amdhsa_forward_progress 1
		.amdhsa_shared_vgpr_count 0
		.amdhsa_exception_fp_ieee_invalid_op 0
		.amdhsa_exception_fp_denorm_src 0
		.amdhsa_exception_fp_ieee_div_zero 0
		.amdhsa_exception_fp_ieee_overflow 0
		.amdhsa_exception_fp_ieee_underflow 0
		.amdhsa_exception_fp_ieee_inexact 0
		.amdhsa_exception_int_div_zero 0
	.end_amdhsa_kernel
	.section	.text._ZL26rocblas_hemvn_kernel_upperILb0ELi64ELi4ELi33ELi32ELi16EiPKfS1_PfEviT6_lT7_lT5_lS4_lS5_lS3_lT8_i,"axG",@progbits,_ZL26rocblas_hemvn_kernel_upperILb0ELi64ELi4ELi33ELi32ELi16EiPKfS1_PfEviT6_lT7_lT5_lS4_lS5_lS3_lT8_i,comdat
.Lfunc_end71:
	.size	_ZL26rocblas_hemvn_kernel_upperILb0ELi64ELi4ELi33ELi32ELi16EiPKfS1_PfEviT6_lT7_lT5_lS4_lS5_lS3_lT8_i, .Lfunc_end71-_ZL26rocblas_hemvn_kernel_upperILb0ELi64ELi4ELi33ELi32ELi16EiPKfS1_PfEviT6_lT7_lT5_lS4_lS5_lS3_lT8_i
                                        ; -- End function
	.set _ZL26rocblas_hemvn_kernel_upperILb0ELi64ELi4ELi33ELi32ELi16EiPKfS1_PfEviT6_lT7_lT5_lS4_lS5_lS3_lT8_i.num_vgpr, 127
	.set _ZL26rocblas_hemvn_kernel_upperILb0ELi64ELi4ELi33ELi32ELi16EiPKfS1_PfEviT6_lT7_lT5_lS4_lS5_lS3_lT8_i.num_agpr, 0
	.set _ZL26rocblas_hemvn_kernel_upperILb0ELi64ELi4ELi33ELi32ELi16EiPKfS1_PfEviT6_lT7_lT5_lS4_lS5_lS3_lT8_i.numbered_sgpr, 40
	.set _ZL26rocblas_hemvn_kernel_upperILb0ELi64ELi4ELi33ELi32ELi16EiPKfS1_PfEviT6_lT7_lT5_lS4_lS5_lS3_lT8_i.num_named_barrier, 0
	.set _ZL26rocblas_hemvn_kernel_upperILb0ELi64ELi4ELi33ELi32ELi16EiPKfS1_PfEviT6_lT7_lT5_lS4_lS5_lS3_lT8_i.private_seg_size, 0
	.set _ZL26rocblas_hemvn_kernel_upperILb0ELi64ELi4ELi33ELi32ELi16EiPKfS1_PfEviT6_lT7_lT5_lS4_lS5_lS3_lT8_i.uses_vcc, 1
	.set _ZL26rocblas_hemvn_kernel_upperILb0ELi64ELi4ELi33ELi32ELi16EiPKfS1_PfEviT6_lT7_lT5_lS4_lS5_lS3_lT8_i.uses_flat_scratch, 0
	.set _ZL26rocblas_hemvn_kernel_upperILb0ELi64ELi4ELi33ELi32ELi16EiPKfS1_PfEviT6_lT7_lT5_lS4_lS5_lS3_lT8_i.has_dyn_sized_stack, 0
	.set _ZL26rocblas_hemvn_kernel_upperILb0ELi64ELi4ELi33ELi32ELi16EiPKfS1_PfEviT6_lT7_lT5_lS4_lS5_lS3_lT8_i.has_recursion, 0
	.set _ZL26rocblas_hemvn_kernel_upperILb0ELi64ELi4ELi33ELi32ELi16EiPKfS1_PfEviT6_lT7_lT5_lS4_lS5_lS3_lT8_i.has_indirect_call, 0
	.section	.AMDGPU.csdata,"",@progbits
; Kernel info:
; codeLenInByte = 7844
; TotalNumSgprs: 42
; NumVgprs: 127
; ScratchSize: 0
; MemoryBound: 0
; FloatMode: 240
; IeeeMode: 1
; LDSByteSize: 4800 bytes/workgroup (compile time only)
; SGPRBlocks: 0
; VGPRBlocks: 15
; NumSGPRsForWavesPerEU: 42
; NumVGPRsForWavesPerEU: 127
; Occupancy: 8
; WaveLimiterHint : 1
; COMPUTE_PGM_RSRC2:SCRATCH_EN: 0
; COMPUTE_PGM_RSRC2:USER_SGPR: 6
; COMPUTE_PGM_RSRC2:TRAP_HANDLER: 0
; COMPUTE_PGM_RSRC2:TGID_X_EN: 1
; COMPUTE_PGM_RSRC2:TGID_Y_EN: 0
; COMPUTE_PGM_RSRC2:TGID_Z_EN: 1
; COMPUTE_PGM_RSRC2:TIDIG_COMP_CNT: 1
	.section	.text._ZL36rocblas_hemvn_kernel_upper_block_sumILi64EiPKfPffEviT1_lS3_lT2_lT0_lPT3_i,"axG",@progbits,_ZL36rocblas_hemvn_kernel_upper_block_sumILi64EiPKfPffEviT1_lS3_lT2_lT0_lPT3_i,comdat
	.globl	_ZL36rocblas_hemvn_kernel_upper_block_sumILi64EiPKfPffEviT1_lS3_lT2_lT0_lPT3_i ; -- Begin function _ZL36rocblas_hemvn_kernel_upper_block_sumILi64EiPKfPffEviT1_lS3_lT2_lT0_lPT3_i
	.p2align	8
	.type	_ZL36rocblas_hemvn_kernel_upper_block_sumILi64EiPKfPffEviT1_lS3_lT2_lT0_lPT3_i,@function
_ZL36rocblas_hemvn_kernel_upper_block_sumILi64EiPKfPffEviT1_lS3_lT2_lT0_lPT3_i: ; @_ZL36rocblas_hemvn_kernel_upper_block_sumILi64EiPKfPffEviT1_lS3_lT2_lT0_lPT3_i
; %bb.0:
	s_load_dwordx8 s[8:15], s[4:5], 0x8
	s_waitcnt lgkmcnt(0)
	s_mul_i32 s1, s11, s7
	s_mul_hi_u32 s2, s10, s7
	s_mul_i32 s0, s10, s7
	s_add_i32 s1, s2, s1
	s_mul_i32 s2, s15, s7
	s_lshl_b64 s[0:1], s[0:1], 2
	s_mul_hi_u32 s3, s14, s7
	s_add_u32 s0, s8, s0
	s_addc_u32 s1, s9, s1
	s_add_i32 s3, s3, s2
	s_mul_i32 s2, s14, s7
	s_mov_b32 s14, 0
	s_lshl_b64 s[2:3], s[2:3], 2
	s_add_u32 s2, s12, s2
	s_addc_u32 s3, s13, s3
	s_load_dword s10, s[0:1], 0x0
	s_load_dword s13, s[2:3], 0x0
	s_waitcnt lgkmcnt(0)
	v_cmp_eq_f32_e64 s0, s10, 0
	v_cmp_eq_f32_e64 s1, s13, 1.0
	s_and_b32 s0, s0, s1
	s_and_b32 vcc_lo, exec_lo, s0
	s_cbranch_vccnz .LBB72_19
; %bb.1:
	s_clause 0x3
	s_load_dwordx4 s[0:3], s[4:5], 0x40
	s_load_dwordx4 s[16:19], s[4:5], 0x28
	s_load_dword s15, s[4:5], 0x38
	s_load_dword s8, s[4:5], 0x0
	v_lshl_or_b32 v0, s6, 6, v0
	s_waitcnt lgkmcnt(0)
	s_mul_i32 s1, s1, s7
	s_mul_hi_u32 s9, s0, s7
	s_mul_i32 s0, s0, s7
	s_add_i32 s1, s9, s1
	v_cmp_neq_f32_e64 s9, s10, 0
	s_lshl_b64 s[0:1], s[0:1], 2
	s_add_u32 s11, s16, s0
	s_addc_u32 s12, s17, s1
	s_lshl_b64 s[0:1], s[18:19], 2
	s_add_u32 s11, s11, s0
	v_cmp_gt_i32_e64 s0, s8, v0
	s_addc_u32 s12, s12, s1
	s_and_b32 vcc_lo, exec_lo, s9
	s_cbranch_vccnz .LBB72_6
; %bb.2:
	s_mov_b32 s1, 0
                                        ; implicit-def: $vgpr4
                                        ; implicit-def: $vgpr2_vgpr3
	s_and_saveexec_b32 s9, s0
	s_cbranch_execz .LBB72_7
; %bb.3:
	v_mul_lo_u32 v2, s15, v0
	v_cmp_eq_f32_e64 s0, s13, 0
	v_mov_b32_e32 v4, 0
	s_and_b32 vcc_lo, exec_lo, s0
	v_ashrrev_i32_e32 v3, 31, v2
	s_cbranch_vccnz .LBB72_5
; %bb.4:
	v_lshlrev_b64 v[4:5], 2, v[2:3]
	v_add_co_u32 v4, vcc_lo, s11, v4
	v_add_co_ci_u32_e64 v5, null, s12, v5, vcc_lo
	global_load_dword v1, v[4:5], off
	s_waitcnt vmcnt(0)
	v_mul_f32_e32 v4, s13, v1
.LBB72_5:
	s_mov_b32 s14, exec_lo
	s_or_b32 exec_lo, exec_lo, s9
	s_and_b32 vcc_lo, exec_lo, s1
	s_cbranch_vccnz .LBB72_8
	s_branch .LBB72_17
.LBB72_6:
                                        ; implicit-def: $vgpr4
                                        ; implicit-def: $vgpr2_vgpr3
	s_cbranch_execnz .LBB72_8
	s_branch .LBB72_17
.LBB72_7:
	s_or_b32 exec_lo, exec_lo, s9
	s_and_b32 vcc_lo, exec_lo, s1
	s_cbranch_vccz .LBB72_17
.LBB72_8:
	s_mov_b32 s16, exec_lo
                                        ; implicit-def: $vgpr4
                                        ; implicit-def: $vgpr2_vgpr3
	v_cmpx_gt_i32_e64 s8, v0
	s_cbranch_execz .LBB72_16
; %bb.9:
	v_mov_b32_e32 v1, 0
	s_cmp_lt_i32 s6, 0
	s_cbranch_scc1 .LBB72_12
; %bb.10:
	s_load_dword s0, s[4:5], 0x58
	s_ashr_i32 s9, s8, 31
	s_mul_hi_u32 s1, s8, s7
	s_mul_i32 s4, s9, s7
	v_mov_b32_e32 v1, 0
	s_mul_i32 s5, s8, s7
	s_add_i32 s1, s1, s4
	v_lshlrev_b64 v[2:3], 2, v[0:1]
	s_waitcnt lgkmcnt(0)
	s_mul_i32 s1, s1, s0
	s_mul_hi_u32 s4, s5, s0
	s_mul_i32 s0, s5, s0
	s_add_i32 s1, s4, s1
	s_lshl_b64 s[0:1], s[0:1], 2
	s_add_u32 s0, s2, s0
	s_addc_u32 s1, s3, s1
	v_add_co_u32 v2, vcc_lo, s0, v2
	v_add_co_ci_u32_e64 v3, null, s1, v3, vcc_lo
	s_add_i32 s2, s6, 1
	s_lshl_b64 s[0:1], s[8:9], 2
.LBB72_11:                              ; =>This Inner Loop Header: Depth=1
	global_load_dword v4, v[2:3], off
	v_add_co_u32 v2, vcc_lo, v2, s0
	v_add_co_ci_u32_e64 v3, null, s1, v3, vcc_lo
	s_add_i32 s2, s2, -1
	s_cmp_eq_u32 s2, 0
	s_waitcnt vmcnt(0)
	v_add_f32_e32 v1, v1, v4
	s_cbranch_scc0 .LBB72_11
.LBB72_12:
	v_mul_lo_u32 v2, s15, v0
	v_cmp_eq_f32_e64 s0, s13, 0
	s_and_b32 vcc_lo, exec_lo, s0
	s_mov_b32 s0, 0
	v_ashrrev_i32_e32 v3, 31, v2
	s_cbranch_vccz .LBB72_20
; %bb.13:
	v_mul_f32_e32 v4, s10, v1
	s_andn2_b32 vcc_lo, exec_lo, s0
	s_cbranch_vccnz .LBB72_15
.LBB72_14:
	v_lshlrev_b64 v[4:5], 2, v[2:3]
	v_add_co_u32 v4, vcc_lo, s11, v4
	v_add_co_ci_u32_e64 v5, null, s12, v5, vcc_lo
	global_load_dword v0, v[4:5], off
	s_waitcnt vmcnt(0)
	v_mul_f32_e32 v4, s13, v0
	v_fmac_f32_e32 v4, s10, v1
.LBB72_15:
	s_or_b32 s14, s14, exec_lo
.LBB72_16:
	s_or_b32 exec_lo, exec_lo, s16
.LBB72_17:
	s_and_saveexec_b32 s0, s14
	s_cbranch_execz .LBB72_19
; %bb.18:
	v_lshlrev_b64 v[0:1], 2, v[2:3]
	v_add_co_u32 v0, vcc_lo, s11, v0
	v_add_co_ci_u32_e64 v1, null, s12, v1, vcc_lo
	global_store_dword v[0:1], v4, off
.LBB72_19:
	s_endpgm
.LBB72_20:
                                        ; implicit-def: $vgpr4
	s_branch .LBB72_14
	.section	.rodata,"a",@progbits
	.p2align	6, 0x0
	.amdhsa_kernel _ZL36rocblas_hemvn_kernel_upper_block_sumILi64EiPKfPffEviT1_lS3_lT2_lT0_lPT3_i
		.amdhsa_group_segment_fixed_size 0
		.amdhsa_private_segment_fixed_size 0
		.amdhsa_kernarg_size 344
		.amdhsa_user_sgpr_count 6
		.amdhsa_user_sgpr_private_segment_buffer 1
		.amdhsa_user_sgpr_dispatch_ptr 0
		.amdhsa_user_sgpr_queue_ptr 0
		.amdhsa_user_sgpr_kernarg_segment_ptr 1
		.amdhsa_user_sgpr_dispatch_id 0
		.amdhsa_user_sgpr_flat_scratch_init 0
		.amdhsa_user_sgpr_private_segment_size 0
		.amdhsa_wavefront_size32 1
		.amdhsa_uses_dynamic_stack 0
		.amdhsa_system_sgpr_private_segment_wavefront_offset 0
		.amdhsa_system_sgpr_workgroup_id_x 1
		.amdhsa_system_sgpr_workgroup_id_y 0
		.amdhsa_system_sgpr_workgroup_id_z 1
		.amdhsa_system_sgpr_workgroup_info 0
		.amdhsa_system_vgpr_workitem_id 0
		.amdhsa_next_free_vgpr 6
		.amdhsa_next_free_sgpr 20
		.amdhsa_reserve_vcc 1
		.amdhsa_reserve_flat_scratch 0
		.amdhsa_float_round_mode_32 0
		.amdhsa_float_round_mode_16_64 0
		.amdhsa_float_denorm_mode_32 3
		.amdhsa_float_denorm_mode_16_64 3
		.amdhsa_dx10_clamp 1
		.amdhsa_ieee_mode 1
		.amdhsa_fp16_overflow 0
		.amdhsa_workgroup_processor_mode 1
		.amdhsa_memory_ordered 1
		.amdhsa_forward_progress 1
		.amdhsa_shared_vgpr_count 0
		.amdhsa_exception_fp_ieee_invalid_op 0
		.amdhsa_exception_fp_denorm_src 0
		.amdhsa_exception_fp_ieee_div_zero 0
		.amdhsa_exception_fp_ieee_overflow 0
		.amdhsa_exception_fp_ieee_underflow 0
		.amdhsa_exception_fp_ieee_inexact 0
		.amdhsa_exception_int_div_zero 0
	.end_amdhsa_kernel
	.section	.text._ZL36rocblas_hemvn_kernel_upper_block_sumILi64EiPKfPffEviT1_lS3_lT2_lT0_lPT3_i,"axG",@progbits,_ZL36rocblas_hemvn_kernel_upper_block_sumILi64EiPKfPffEviT1_lS3_lT2_lT0_lPT3_i,comdat
.Lfunc_end72:
	.size	_ZL36rocblas_hemvn_kernel_upper_block_sumILi64EiPKfPffEviT1_lS3_lT2_lT0_lPT3_i, .Lfunc_end72-_ZL36rocblas_hemvn_kernel_upper_block_sumILi64EiPKfPffEviT1_lS3_lT2_lT0_lPT3_i
                                        ; -- End function
	.set _ZL36rocblas_hemvn_kernel_upper_block_sumILi64EiPKfPffEviT1_lS3_lT2_lT0_lPT3_i.num_vgpr, 6
	.set _ZL36rocblas_hemvn_kernel_upper_block_sumILi64EiPKfPffEviT1_lS3_lT2_lT0_lPT3_i.num_agpr, 0
	.set _ZL36rocblas_hemvn_kernel_upper_block_sumILi64EiPKfPffEviT1_lS3_lT2_lT0_lPT3_i.numbered_sgpr, 20
	.set _ZL36rocblas_hemvn_kernel_upper_block_sumILi64EiPKfPffEviT1_lS3_lT2_lT0_lPT3_i.num_named_barrier, 0
	.set _ZL36rocblas_hemvn_kernel_upper_block_sumILi64EiPKfPffEviT1_lS3_lT2_lT0_lPT3_i.private_seg_size, 0
	.set _ZL36rocblas_hemvn_kernel_upper_block_sumILi64EiPKfPffEviT1_lS3_lT2_lT0_lPT3_i.uses_vcc, 1
	.set _ZL36rocblas_hemvn_kernel_upper_block_sumILi64EiPKfPffEviT1_lS3_lT2_lT0_lPT3_i.uses_flat_scratch, 0
	.set _ZL36rocblas_hemvn_kernel_upper_block_sumILi64EiPKfPffEviT1_lS3_lT2_lT0_lPT3_i.has_dyn_sized_stack, 0
	.set _ZL36rocblas_hemvn_kernel_upper_block_sumILi64EiPKfPffEviT1_lS3_lT2_lT0_lPT3_i.has_recursion, 0
	.set _ZL36rocblas_hemvn_kernel_upper_block_sumILi64EiPKfPffEviT1_lS3_lT2_lT0_lPT3_i.has_indirect_call, 0
	.section	.AMDGPU.csdata,"",@progbits
; Kernel info:
; codeLenInByte = 668
; TotalNumSgprs: 22
; NumVgprs: 6
; ScratchSize: 0
; MemoryBound: 0
; FloatMode: 240
; IeeeMode: 1
; LDSByteSize: 0 bytes/workgroup (compile time only)
; SGPRBlocks: 0
; VGPRBlocks: 0
; NumSGPRsForWavesPerEU: 22
; NumVGPRsForWavesPerEU: 6
; Occupancy: 16
; WaveLimiterHint : 0
; COMPUTE_PGM_RSRC2:SCRATCH_EN: 0
; COMPUTE_PGM_RSRC2:USER_SGPR: 6
; COMPUTE_PGM_RSRC2:TRAP_HANDLER: 0
; COMPUTE_PGM_RSRC2:TGID_X_EN: 1
; COMPUTE_PGM_RSRC2:TGID_Y_EN: 0
; COMPUTE_PGM_RSRC2:TGID_Z_EN: 1
; COMPUTE_PGM_RSRC2:TIDIG_COMP_CNT: 0
	.section	.text._ZL26rocblas_hemvn_kernel_upperILb0ELi64ELi4ELi33ELi32ELi16ElfPKfPfEviT6_lT7_lT5_lS4_lS5_lS3_lT8_i,"axG",@progbits,_ZL26rocblas_hemvn_kernel_upperILb0ELi64ELi4ELi33ELi32ELi16ElfPKfPfEviT6_lT7_lT5_lS4_lS5_lS3_lT8_i,comdat
	.globl	_ZL26rocblas_hemvn_kernel_upperILb0ELi64ELi4ELi33ELi32ELi16ElfPKfPfEviT6_lT7_lT5_lS4_lS5_lS3_lT8_i ; -- Begin function _ZL26rocblas_hemvn_kernel_upperILb0ELi64ELi4ELi33ELi32ELi16ElfPKfPfEviT6_lT7_lT5_lS4_lS5_lS3_lT8_i
	.p2align	8
	.type	_ZL26rocblas_hemvn_kernel_upperILb0ELi64ELi4ELi33ELi32ELi16ElfPKfPfEviT6_lT7_lT5_lS4_lS5_lS3_lT8_i,@function
_ZL26rocblas_hemvn_kernel_upperILb0ELi64ELi4ELi33ELi32ELi16ElfPKfPfEviT6_lT7_lT5_lS4_lS5_lS3_lT8_i: ; @_ZL26rocblas_hemvn_kernel_upperILb0ELi64ELi4ELi33ELi32ELi16ElfPKfPfEviT6_lT7_lT5_lS4_lS5_lS3_lT8_i
; %bb.0:
	s_load_dwordx2 s[2:3], s[4:5], 0x7c
	s_add_u32 s0, s4, 0x70
	s_addc_u32 s1, s5, 0
	s_waitcnt lgkmcnt(0)
	s_lshr_b32 s8, s2, 16
	s_and_b32 s2, s2, 0xffff
	s_and_b32 s3, s3, 0xffff
	s_mul_i32 s2, s8, s2
	s_mul_i32 s2, s2, s3
	s_cmpk_lg_i32 s2, 0x100
	s_cbranch_scc1 .LBB73_128
; %bb.1:
	s_clause 0x1
	s_load_dwordx2 s[24:25], s[4:5], 0x0
	s_load_dword s3, s[4:5], 0x50
	s_waitcnt lgkmcnt(0)
	v_cmp_eq_f32_e64 s2, s25, 0
	v_cmp_eq_f32_e64 s3, s3, 1.0
	s_and_b32 s3, s2, s3
	s_and_b32 vcc_lo, exec_lo, s3
	s_cbranch_vccnz .LBB73_128
; %bb.2:
	s_and_b32 vcc_lo, exec_lo, s2
	s_cbranch_vccnz .LBB73_128
; %bb.3:
	s_load_dwordx16 s[8:23], s[4:5], 0x10
	s_load_dword s25, s[0:1], 0x0
	s_waitcnt lgkmcnt(0)
	s_mul_i32 s3, s23, s7
	s_mul_hi_u32 s23, s22, s7
	s_mul_i32 s2, s22, s7
	s_add_i32 s3, s23, s3
	s_lshl_b64 s[2:3], s[2:3], 2
	s_add_u32 s16, s16, s2
	s_addc_u32 s17, s17, s3
	s_lshl_b64 s[2:3], s[18:19], 2
	s_add_u32 s2, s16, s2
	s_addc_u32 s3, s17, s3
	s_lshl_b32 s18, s6, 6
	s_ashr_i32 s27, s24, 31
	v_add_nc_u32_e32 v18, s18, v0
	s_lshr_b32 s0, s27, 26
	s_add_i32 s1, s25, -1
	s_add_i32 s0, s24, s0
	v_ashrrev_i32_e32 v19, 31, v18
	v_mul_lo_u32 v4, s21, v18
	v_mad_u64_u32 v[2:3], null, s20, v18, 0
	s_andn2_b32 s0, s0, 63
	v_mul_lo_u32 v5, s20, v19
	s_sub_i32 s26, s24, s0
	v_cmp_eq_u32_e64 s0, 0, v1
	s_cmp_eq_u32 s6, s1
	s_cselect_b32 s16, s26, 0
	v_add3_u32 v3, v3, v5, v4
	v_lshlrev_b64 v[2:3], 2, v[2:3]
	v_add_co_u32 v8, vcc_lo, s2, v2
	v_add_co_ci_u32_e64 v9, null, s3, v3, vcc_lo
	s_and_saveexec_b32 s1, s0
	s_cbranch_execz .LBB73_7
; %bb.4:
	v_cmp_gt_i32_e32 vcc_lo, s16, v0
	s_cmp_eq_u32 s16, 0
	v_mov_b32_e32 v2, 0
	s_cselect_b32 s2, -1, 0
	s_or_b32 s3, s2, vcc_lo
	s_and_saveexec_b32 s2, s3
	s_cbranch_execz .LBB73_6
; %bb.5:
	global_load_dword v2, v[8:9], off
.LBB73_6:
	s_or_b32 exec_lo, exec_lo, s2
	v_lshlrev_b32_e32 v3, 2, v0
	s_waitcnt vmcnt(0)
	ds_write_b32 v3, v2 offset:4544
.LBB73_7:
	s_or_b32 exec_lo, exec_lo, s1
	v_lshl_add_u32 v14, v1, 6, v0
	v_and_b32_e32 v2, 31, v0
	v_mov_b32_e32 v3, 0
	s_mul_i32 s1, s15, s7
	s_mul_hi_u32 s3, s14, s7
	v_lshrrev_b32_e32 v15, 5, v14
	s_mul_i32 s2, s14, s7
	s_add_i32 s3, s3, s1
	s_mul_hi_u32 s1, s12, s18
	s_lshl_b64 s[2:3], s[2:3], 2
	v_mad_u64_u32 v[4:5], null, s12, v15, v[2:3]
	s_add_u32 s8, s8, s2
	s_addc_u32 s9, s9, s3
	s_lshl_b64 s[2:3], s[10:11], 2
	s_mul_i32 s10, s13, s18
	s_add_u32 s11, s8, s2
	s_addc_u32 s3, s9, s3
	v_mad_u64_u32 v[5:6], null, s13, v15, v[5:6]
	s_ashr_i32 s19, s18, 31
	s_mul_i32 s2, s12, s18
	s_lshl_b64 s[8:9], s[18:19], 2
	s_mul_i32 s14, s12, s19
	s_add_u32 s8, s11, s8
	s_addc_u32 s9, s3, s9
	v_lshlrev_b64 v[6:7], 2, v[4:5]
	s_add_i32 s1, s1, s14
	v_lshlrev_b32_e32 v16, 2, v2
	s_add_i32 s3, s1, s10
	v_cmp_gt_i32_e64 s1, s16, v2
	s_lshl_b64 s[2:3], s[2:3], 2
	v_add_co_u32 v4, vcc_lo, s8, v6
	v_add_co_ci_u32_e64 v5, null, s9, v7, vcc_lo
	s_cmp_eq_u32 s16, 0
	v_add_co_u32 v10, s2, v4, s2
	s_cselect_b32 s11, -1, 0
	s_cmp_lg_u32 s16, 0
	v_add_co_ci_u32_e64 v11, null, s3, v5, s2
	s_cselect_b32 s28, -1, 0
	s_and_b32 vcc_lo, exec_lo, s28
	s_cbranch_vccz .LBB73_17
; %bb.8:
	v_sub_co_u32 v4, vcc_lo, v10, v16
	s_ashr_i32 s17, s16, 31
	v_subrev_co_ci_u32_e64 v5, null, 0, v11, vcc_lo
	s_lshl_b64 s[2:3], s[16:17], 2
	s_mov_b32 s8, exec_lo
	v_add_co_u32 v4, vcc_lo, v4, s2
	v_add_co_ci_u32_e64 v5, null, s3, v5, vcc_lo
	v_add_co_u32 v4, vcc_lo, v4, -4
	v_add_co_ci_u32_e64 v5, null, -1, v5, vcc_lo
	v_cndmask_b32_e64 v4, v4, v10, s1
	v_cndmask_b32_e64 v5, v5, v11, s1
	v_cmpx_gt_i32_e64 s16, v15
	s_cbranch_execz .LBB73_10
; %bb.9:
	global_load_dword v3, v[4:5], off
.LBB73_10:
	s_or_b32 exec_lo, exec_lo, s8
	v_lshlrev_b32_e32 v12, 2, v2
	v_add_nc_u32_e32 v13, 8, v15
	v_mul_u32_u24_e32 v17, 0x84, v15
	v_mov_b32_e32 v20, 0
	v_mad_u32_u24 v21, 0x84, v15, v12
	v_cmp_gt_i32_e32 vcc_lo, s16, v13
	v_mov_b32_e32 v13, 0
	s_waitcnt vmcnt(0)
	ds_write_b32 v21, v3
	s_and_saveexec_b32 s8, vcc_lo
	s_cbranch_execz .LBB73_12
; %bb.11:
	s_lshl_b64 s[14:15], s[12:13], 5
	v_add_co_u32 v20, vcc_lo, v4, s14
	v_add_co_ci_u32_e64 v21, null, s15, v5, vcc_lo
	global_load_dword v20, v[20:21], off
.LBB73_12:
	s_or_b32 exec_lo, exec_lo, s8
	v_add_nc_u32_e32 v3, 16, v15
	v_add_nc_u32_e32 v12, v17, v12
	s_mov_b32 s8, exec_lo
	s_waitcnt vmcnt(0)
	ds_write_b32 v12, v20 offset:1056
	v_cmpx_gt_i32_e64 s16, v3
	s_cbranch_execz .LBB73_14
; %bb.13:
	s_lshl_b64 s[14:15], s[12:13], 6
	v_add_co_u32 v20, vcc_lo, v4, s14
	v_add_co_ci_u32_e64 v21, null, s15, v5, vcc_lo
	global_load_dword v13, v[20:21], off
.LBB73_14:
	s_or_b32 exec_lo, exec_lo, s8
	v_add_nc_u32_e32 v3, 24, v15
	v_mov_b32_e32 v17, 0
	s_mov_b32 s8, exec_lo
	s_waitcnt vmcnt(0)
	ds_write_b32 v12, v13 offset:2112
	v_cmpx_gt_i32_e64 s16, v3
	s_cbranch_execz .LBB73_16
; %bb.15:
	v_mad_u64_u32 v[20:21], null, 0x60, s12, v[4:5]
	v_mov_b32_e32 v3, v21
	v_mad_u64_u32 v[21:22], null, 0x60, s13, v[3:4]
	global_load_dword v17, v[20:21], off
.LBB73_16:
	s_or_b32 exec_lo, exec_lo, s8
	v_add_co_u32 v3, vcc_lo, v4, v16
	v_add_co_ci_u32_e64 v4, null, 0, v5, vcc_lo
	s_waitcnt vmcnt(0)
	ds_write_b32 v12, v17 offset:3168
	v_sub_co_u32 v3, vcc_lo, v3, s2
	v_subrev_co_ci_u32_e64 v4, null, s3, v4, vcc_lo
	v_add_co_u32 v3, vcc_lo, v3, 4
	v_add_co_ci_u32_e64 v4, null, 0, v4, vcc_lo
	v_cndmask_b32_e64 v3, v3, v10, s1
	v_cndmask_b32_e64 v4, v4, v11, s1
	v_mul_u32_u24_e32 v22, 0x84, v15
	s_branch .LBB73_19
.LBB73_17:
                                        ; implicit-def: $vgpr3_vgpr4
	v_mul_u32_u24_e32 v22, 0x84, v15
	s_cbranch_execz .LBB73_19
; %bb.18:
	s_lshl_b64 s[2:3], s[12:13], 5
	v_add_co_u32 v3, vcc_lo, v10, s2
	v_add_co_ci_u32_e64 v4, null, s3, v11, vcc_lo
	v_add_co_u32 v12, vcc_lo, v3, s2
	v_add_co_ci_u32_e64 v13, null, s3, v4, vcc_lo
	;; [unrolled: 2-line block ×3, first 2 shown]
	s_clause 0x3
	global_load_dword v5, v[10:11], off
	global_load_dword v17, v[3:4], off
	global_load_dword v12, v[12:13], off
	global_load_dword v13, v[20:21], off
	v_mov_b32_e32 v3, v10
	v_lshl_add_u32 v20, v2, 2, v22
	v_mov_b32_e32 v4, v11
	s_waitcnt vmcnt(3)
	ds_write_b32 v20, v5
	s_waitcnt vmcnt(2)
	ds_write_b32 v20, v17 offset:1056
	s_waitcnt vmcnt(1)
	ds_write_b32 v20, v12 offset:2112
	;; [unrolled: 2-line block ×3, first 2 shown]
.LBB73_19:
	v_lshlrev_b32_e32 v23, 2, v2
	v_lshlrev_b32_e32 v5, 2, v15
	s_waitcnt lgkmcnt(0)
	s_barrier
	buffer_gl0_inv
	v_lshl_or_b32 v10, v2, 7, v23
	v_cmp_gt_u32_e64 s2, v5, v2
	v_lshl_add_u32 v12, v5, 2, v10
	v_mad_u32_u24 v10, 0x210, v15, v23
	s_and_saveexec_b32 s1, s2
	s_cbranch_execz .LBB73_21
; %bb.20:
	ds_read_b32 v11, v10
	s_waitcnt lgkmcnt(0)
	ds_write_b32 v12, v11
.LBB73_21:
	s_or_b32 exec_lo, exec_lo, s1
	v_or_b32_e32 v25, 1, v5
	v_cmp_ge_u32_e64 s3, v5, v2
	v_mad_u32_u24 v11, 0x84, v25, v23
	s_and_saveexec_b32 s1, s3
	s_cbranch_execz .LBB73_23
; %bb.22:
	ds_read_b32 v13, v11
	s_waitcnt lgkmcnt(0)
	ds_write_b32 v12, v13 offset:4
.LBB73_23:
	s_or_b32 exec_lo, exec_lo, s1
	v_or_b32_e32 v13, 2, v5
	v_cmp_gt_u32_e64 s8, v13, v2
	s_and_saveexec_b32 s1, s8
	s_cbranch_execz .LBB73_25
; %bb.24:
	v_mad_u32_u24 v13, 0x84, v13, v23
	ds_read_b32 v13, v13
	s_waitcnt lgkmcnt(0)
	ds_write_b32 v12, v13 offset:8
.LBB73_25:
	s_or_b32 exec_lo, exec_lo, s1
	v_or_b32_e32 v17, 3, v5
	s_mov_b32 s1, exec_lo
	v_cmp_gt_u32_e64 s9, v17, v2
	v_mul_u32_u24_e32 v13, 0x84, v17
	v_cmpx_le_u32_e64 v17, v2
	s_xor_b32 s1, exec_lo, s1
; %bb.26:
	v_mul_u32_u24_e32 v13, 0x84, v17
                                        ; implicit-def: $vgpr17
                                        ; implicit-def: $vgpr12
; %bb.27:
	s_andn2_saveexec_b32 s1, s1
	s_cbranch_execz .LBB73_29
; %bb.28:
	v_mad_u32_u24 v17, 0x84, v17, v23
	ds_read_b32 v17, v17
	s_waitcnt lgkmcnt(0)
	ds_write_b32 v12, v17 offset:12
.LBB73_29:
	s_or_b32 exec_lo, exec_lo, s1
	v_lshlrev_b32_e32 v27, 2, v5
	s_waitcnt lgkmcnt(0)
	s_barrier
	buffer_gl0_inv
	ds_read_b32 v12, v10
	ds_read_b128 v[28:31], v27 offset:4544
	ds_read2_b32 v[10:11], v11 offset1:33
	v_add_nc_u32_e32 v21, v23, v13
	v_mul_u32_u24_e32 v17, 33, v2
	v_mov_b32_e32 v32, 0
	v_cmp_gt_u32_e64 s1, 32, v14
	ds_read_b32 v13, v21
	v_lshlrev_b32_e32 v17, 2, v17
	s_waitcnt lgkmcnt(0)
	s_barrier
	buffer_gl0_inv
	v_lshl_add_u32 v20, v15, 2, v17
	v_fma_f32 v12, v12, v28, 0
	v_fmac_f32_e32 v12, v10, v29
	v_fmac_f32_e32 v12, v11, v30
	;; [unrolled: 1-line block ×3, first 2 shown]
	ds_write_b32 v20, v12
	s_waitcnt lgkmcnt(0)
	s_barrier
	buffer_gl0_inv
	s_and_saveexec_b32 s10, s1
	s_cbranch_execz .LBB73_31
; %bb.30:
	ds_read2_b32 v[10:11], v17 offset1:1
	ds_read2_b32 v[12:13], v17 offset0:2 offset1:3
	ds_read2_b32 v[28:29], v17 offset0:4 offset1:5
	;; [unrolled: 1-line block ×3, first 2 shown]
	s_waitcnt lgkmcnt(3)
	v_add_f32_e32 v10, v10, v11
	s_waitcnt lgkmcnt(2)
	v_add_f32_e32 v10, v10, v12
	v_add_f32_e32 v10, v10, v13
	s_waitcnt lgkmcnt(1)
	v_add_f32_e32 v10, v10, v28
	;; [unrolled: 3-line block ×3, first 2 shown]
	v_add_f32_e32 v32, v10, v31
.LBB73_31:
	s_or_b32 exec_lo, exec_lo, s10
	s_lshl_b64 s[14:15], s[12:13], 7
	v_add_co_u32 v12, vcc_lo, v3, s14
	v_add_co_ci_u32_e64 v13, null, s15, v4, vcc_lo
	s_lshl_b64 s[14:15], s[12:13], 5
	v_add_co_u32 v10, vcc_lo, 0x80, v12
	v_add_co_ci_u32_e64 v11, null, 0, v13, vcc_lo
	s_and_b32 vcc_lo, exec_lo, s28
	s_barrier
	buffer_gl0_inv
	s_cbranch_vccz .LBB73_41
; %bb.32:
	v_sub_co_u32 v3, vcc_lo, v12, v16
	s_ashr_i32 s17, s16, 31
	v_subrev_co_ci_u32_e64 v4, null, 0, v13, vcc_lo
	s_lshl_b64 s[22:23], s[16:17], 2
	v_or_b32_e32 v24, 32, v2
	v_add_co_u32 v3, vcc_lo, v3, s22
	v_add_co_ci_u32_e64 v4, null, s23, v4, vcc_lo
	v_mov_b32_e32 v28, 0
	v_add_co_u32 v3, vcc_lo, v3, -4
	v_add_co_ci_u32_e64 v4, null, -1, v4, vcc_lo
	v_cmp_gt_i32_e32 vcc_lo, s16, v24
	v_mov_b32_e32 v24, 0
	s_sub_i32 s17, s16, 32
	s_mov_b32 s29, exec_lo
	v_cndmask_b32_e32 v4, v4, v11, vcc_lo
	v_cndmask_b32_e32 v3, v3, v10, vcc_lo
	v_cmpx_gt_i32_e64 s17, v15
	s_cbranch_execz .LBB73_34
; %bb.33:
	global_load_dword v24, v[3:4], off
.LBB73_34:
	s_or_b32 exec_lo, exec_lo, s29
	v_add_nc_u32_e32 v26, 8, v15
	v_mad_u32_u24 v29, 0x84, v15, v23
	s_mov_b32 s29, exec_lo
	s_waitcnt vmcnt(0)
	ds_write_b32 v29, v24
	v_cmpx_gt_i32_e64 s17, v26
	s_cbranch_execz .LBB73_36
; %bb.35:
	v_add_co_u32 v28, s10, v3, s14
	v_add_co_ci_u32_e64 v29, null, s15, v4, s10
	global_load_dword v28, v[28:29], off
.LBB73_36:
	s_or_b32 exec_lo, exec_lo, s29
	v_add_nc_u32_e32 v29, 16, v15
	v_add_nc_u32_e32 v24, v22, v23
	v_mov_b32_e32 v26, 0
	v_cmp_gt_i32_e64 s10, s17, v29
	v_mov_b32_e32 v29, 0
	s_waitcnt vmcnt(0)
	ds_write_b32 v24, v28 offset:1056
	s_and_saveexec_b32 s29, s10
	s_cbranch_execz .LBB73_38
; %bb.37:
	s_lshl_b64 s[30:31], s[12:13], 6
	v_add_co_u32 v28, s10, v3, s30
	v_add_co_ci_u32_e64 v29, null, s31, v4, s10
	global_load_dword v29, v[28:29], off
.LBB73_38:
	s_or_b32 exec_lo, exec_lo, s29
	v_add_nc_u32_e32 v28, 24, v15
	s_waitcnt vmcnt(0)
	ds_write_b32 v24, v29 offset:2112
	v_cmp_gt_i32_e64 s10, s17, v28
	s_and_saveexec_b32 s17, s10
	s_cbranch_execz .LBB73_40
; %bb.39:
	v_mad_u64_u32 v[28:29], null, 0x60, s12, v[3:4]
	v_mov_b32_e32 v26, v29
	v_mad_u64_u32 v[29:30], null, 0x60, s13, v[26:27]
	global_load_dword v26, v[28:29], off
.LBB73_40:
	s_or_b32 exec_lo, exec_lo, s17
	v_add_co_u32 v3, s10, v3, v16
	v_add_co_ci_u32_e64 v4, null, 0, v4, s10
	s_waitcnt vmcnt(0)
	ds_write_b32 v24, v26 offset:3168
	v_sub_co_u32 v3, s10, v3, s22
	v_subrev_co_ci_u32_e64 v4, null, s23, v4, s10
	v_add_co_u32 v3, s10, 0x84, v3
	v_add_co_ci_u32_e64 v4, null, 0, v4, s10
	v_cndmask_b32_e32 v3, v3, v10, vcc_lo
	v_cndmask_b32_e32 v4, v4, v11, vcc_lo
	v_mul_u32_u24_e32 v26, 0x210, v15
	v_mad_u32_u24 v24, 0x84, v15, v23
	s_branch .LBB73_43
.LBB73_41:
                                        ; implicit-def: $vgpr3_vgpr4
	v_mul_u32_u24_e32 v26, 0x210, v15
	v_mad_u32_u24 v24, 0x84, v15, v23
	s_cbranch_execz .LBB73_43
; %bb.42:
	v_add_co_u32 v3, vcc_lo, v12, s14
	v_add_co_ci_u32_e64 v4, null, s15, v13, vcc_lo
	v_add_co_u32 v28, vcc_lo, v3, s14
	v_add_co_ci_u32_e64 v29, null, s15, v4, vcc_lo
	;; [unrolled: 2-line block ×3, first 2 shown]
	s_clause 0x3
	global_load_dword v12, v[12:13], off offset:128
	global_load_dword v13, v[3:4], off offset:128
	;; [unrolled: 1-line block ×4, first 2 shown]
	v_mov_b32_e32 v3, v10
	v_mov_b32_e32 v4, v11
	s_waitcnt vmcnt(3)
	ds_write_b32 v24, v12
	s_waitcnt vmcnt(2)
	ds_write_b32 v24, v13 offset:1056
	s_waitcnt vmcnt(1)
	ds_write_b32 v24, v28 offset:2112
	;; [unrolled: 2-line block ×3, first 2 shown]
.LBB73_43:
	v_mul_u32_u24_e32 v11, 0x84, v25
	v_add_nc_u32_e32 v25, v23, v26
	v_lshl_add_u32 v10, v5, 2, v17
	s_waitcnt lgkmcnt(0)
	s_barrier
	buffer_gl0_inv
	s_and_saveexec_b32 s10, s2
	s_cbranch_execnz .LBB73_60
; %bb.44:
	s_or_b32 exec_lo, exec_lo, s10
	v_add_nc_u32_e32 v26, v23, v11
	s_and_saveexec_b32 s2, s3
	s_cbranch_execnz .LBB73_61
.LBB73_45:
	s_or_b32 exec_lo, exec_lo, s2
	s_and_saveexec_b32 s2, s8
	s_cbranch_execnz .LBB73_62
.LBB73_46:
	s_or_b32 exec_lo, exec_lo, s2
	v_add_nc_u32_e32 v27, 0x11c0, v27
	s_and_saveexec_b32 s2, s9
	s_cbranch_execz .LBB73_48
.LBB73_47:
	ds_read_b32 v11, v21
	s_waitcnt lgkmcnt(0)
	ds_write_b32 v10, v11 offset:12
.LBB73_48:
	s_or_b32 exec_lo, exec_lo, s2
	s_waitcnt lgkmcnt(0)
	s_barrier
	buffer_gl0_inv
	ds_read_b32 v30, v25
	ds_read_b128 v[10:13], v27 offset:128
	ds_read2_b32 v[28:29], v26 offset1:33
	ds_read_b32 v31, v21
	v_cmp_eq_u32_e64 s2, 1, v15
	s_waitcnt lgkmcnt(0)
	s_barrier
	buffer_gl0_inv
	v_fma_f32 v10, v30, v10, 0
	v_fmac_f32_e32 v10, v28, v11
	v_fmac_f32_e32 v10, v29, v12
	;; [unrolled: 1-line block ×3, first 2 shown]
	ds_write_b32 v20, v10
	s_waitcnt lgkmcnt(0)
	s_barrier
	buffer_gl0_inv
	s_and_saveexec_b32 s3, s2
	s_cbranch_execz .LBB73_50
; %bb.49:
	ds_read2_b32 v[10:11], v17 offset1:1
	ds_read2_b32 v[12:13], v17 offset0:2 offset1:3
	ds_read2_b32 v[28:29], v17 offset0:4 offset1:5
	;; [unrolled: 1-line block ×3, first 2 shown]
	s_waitcnt lgkmcnt(3)
	v_add_f32_e32 v10, v10, v11
	s_waitcnt lgkmcnt(2)
	v_add_f32_e32 v10, v10, v12
	v_add_f32_e32 v10, v10, v13
	s_waitcnt lgkmcnt(1)
	v_add_f32_e32 v10, v10, v28
	;; [unrolled: 3-line block ×3, first 2 shown]
	v_add_f32_e32 v32, v10, v31
.LBB73_50:
	s_or_b32 exec_lo, exec_lo, s3
	v_add_co_u32 v12, vcc_lo, 0xffffff80, v3
	v_add_co_ci_u32_e64 v13, null, -1, v4, vcc_lo
	s_and_b32 vcc_lo, exec_lo, s28
	s_barrier
	buffer_gl0_inv
	s_cbranch_vccz .LBB73_63
; %bb.51:
	v_sub_co_u32 v10, vcc_lo, v3, v16
	s_ashr_i32 s17, s16, 31
	v_subrev_co_ci_u32_e64 v11, null, 0, v4, vcc_lo
	s_lshl_b64 s[8:9], s[16:17], 2
	v_mov_b32_e32 v30, 0
	v_add_co_u32 v10, vcc_lo, v10, s8
	v_add_co_ci_u32_e64 v11, null, s9, v11, vcc_lo
	v_mov_b32_e32 v28, 0
	v_add_co_u32 v10, vcc_lo, 0xffffff7c, v10
	v_add_co_ci_u32_e64 v11, null, -1, v11, vcc_lo
	v_cmp_gt_i32_e32 vcc_lo, s16, v2
	s_sub_i32 s10, s16, 32
	s_mov_b32 s17, exec_lo
	v_cndmask_b32_e32 v11, v11, v13, vcc_lo
	v_cndmask_b32_e32 v10, v10, v12, vcc_lo
	v_cmpx_gt_i32_e64 s10, v15
	s_cbranch_execz .LBB73_53
; %bb.52:
	global_load_dword v28, v[10:11], off
.LBB73_53:
	s_or_b32 exec_lo, exec_lo, s17
	v_add_nc_u32_e32 v2, 8, v15
	s_mov_b32 s17, exec_lo
	s_waitcnt vmcnt(0)
	ds_write_b32 v24, v28
	v_cmpx_gt_i32_e64 s10, v2
	s_cbranch_execz .LBB73_55
; %bb.54:
	v_add_co_u32 v28, s3, v10, s14
	v_add_co_ci_u32_e64 v29, null, s15, v11, s3
	global_load_dword v30, v[28:29], off
.LBB73_55:
	s_or_b32 exec_lo, exec_lo, s17
	v_add_nc_u32_e32 v28, 16, v15
	v_add_nc_u32_e32 v23, v22, v23
	v_mov_b32_e32 v29, 0
	v_mov_b32_e32 v31, 0
	s_mov_b32 s17, exec_lo
	s_waitcnt vmcnt(0)
	ds_write_b32 v23, v30 offset:1056
	v_cmpx_gt_i32_e64 s10, v28
	s_cbranch_execz .LBB73_57
; %bb.56:
	s_lshl_b64 s[22:23], s[12:13], 6
	v_add_co_u32 v30, s3, v10, s22
	v_add_co_ci_u32_e64 v31, null, s23, v11, s3
	global_load_dword v31, v[30:31], off
.LBB73_57:
	s_or_b32 exec_lo, exec_lo, s17
	v_add_nc_u32_e32 v22, 24, v15
	s_waitcnt vmcnt(0)
	ds_write_b32 v23, v31 offset:2112
	v_cmp_gt_i32_e64 s3, s10, v22
	s_and_saveexec_b32 s10, s3
	s_cbranch_execz .LBB73_59
; %bb.58:
	v_mad_u64_u32 v[29:30], null, 0x60, s12, v[10:11]
	v_mad_u64_u32 v[30:31], null, 0x60, s13, v[30:31]
	global_load_dword v29, v[29:30], off
.LBB73_59:
	s_or_b32 exec_lo, exec_lo, s10
	v_add_co_u32 v10, s3, v10, v16
	v_add_co_ci_u32_e64 v11, null, 0, v11, s3
	s_waitcnt vmcnt(0)
	ds_write_b32 v23, v29 offset:3168
	v_sub_co_u32 v10, s3, v10, s8
	v_subrev_co_ci_u32_e64 v11, null, s9, v11, s3
	v_add_co_u32 v10, s3, v10, 4
	v_add_co_ci_u32_e64 v11, null, 0, v11, s3
	v_cndmask_b32_e32 v10, v10, v12, vcc_lo
	v_cndmask_b32_e32 v11, v11, v13, vcc_lo
	s_branch .LBB73_65
.LBB73_60:
	ds_read_b32 v12, v25
	s_waitcnt lgkmcnt(0)
	ds_write_b32 v10, v12
	s_or_b32 exec_lo, exec_lo, s10
	v_add_nc_u32_e32 v26, v23, v11
	s_and_saveexec_b32 s2, s3
	s_cbranch_execz .LBB73_45
.LBB73_61:
	ds_read_b32 v11, v26
	s_waitcnt lgkmcnt(0)
	ds_write_b32 v10, v11 offset:4
	s_or_b32 exec_lo, exec_lo, s2
	s_and_saveexec_b32 s2, s8
	s_cbranch_execz .LBB73_46
.LBB73_62:
	ds_read_b32 v11, v26 offset:132
	s_waitcnt lgkmcnt(0)
	ds_write_b32 v10, v11 offset:8
	s_or_b32 exec_lo, exec_lo, s2
	v_add_nc_u32_e32 v27, 0x11c0, v27
	s_and_saveexec_b32 s2, s9
	s_cbranch_execnz .LBB73_47
	s_branch .LBB73_48
.LBB73_63:
                                        ; implicit-def: $vgpr10_vgpr11
                                        ; implicit-def: $vgpr2
                                        ; implicit-def: $vgpr28
                                        ; implicit-def: $vgpr22
	s_cbranch_execz .LBB73_65
; %bb.64:
	v_add_co_u32 v10, vcc_lo, v3, s14
	v_add_co_ci_u32_e64 v11, null, s15, v4, vcc_lo
	v_add_nc_u32_e32 v2, 8, v15
	v_add_co_u32 v22, vcc_lo, v10, s14
	v_add_co_ci_u32_e64 v23, null, s15, v11, vcc_lo
	v_add_co_u32 v28, vcc_lo, v22, s14
	v_add_co_ci_u32_e64 v29, null, s15, v23, vcc_lo
	s_clause 0x3
	global_load_dword v3, v[3:4], off offset:-128
	global_load_dword v4, v[10:11], off offset:-128
	;; [unrolled: 1-line block ×4, first 2 shown]
	v_mov_b32_e32 v10, v12
	v_add_nc_u32_e32 v28, 16, v15
	v_add_nc_u32_e32 v22, 24, v15
	v_mov_b32_e32 v11, v13
	s_waitcnt vmcnt(3)
	ds_write_b32 v24, v3
	s_waitcnt vmcnt(2)
	ds_write_b32 v24, v4 offset:1056
	s_waitcnt vmcnt(1)
	ds_write_b32 v24, v16 offset:2112
	;; [unrolled: 2-line block ×3, first 2 shown]
.LBB73_65:
	v_lshlrev_b32_e32 v2, 2, v2
	v_add_nc_u32_e32 v3, v17, v5
	v_lshlrev_b32_e32 v12, 2, v28
	v_lshlrev_b32_e32 v13, 2, v22
	s_waitcnt lgkmcnt(0)
	v_add_nc_u32_e32 v4, v17, v2
	s_barrier
	buffer_gl0_inv
	ds_read_b32 v22, v5 offset:4544
	ds_read_b32 v23, v3
	ds_read_b32 v24, v4
	ds_read_b32 v15, v25
	ds_read_b32 v25, v13 offset:4544
	ds_read_b32 v28, v12 offset:4544
	;; [unrolled: 1-line block ×3, first 2 shown]
	v_add_nc_u32_e32 v2, v17, v12
	v_add_nc_u32_e32 v3, v17, v13
	ds_read_b32 v30, v2
	ds_read_b32 v31, v3
	ds_read_b128 v[2:5], v27 offset:128
	ds_read_b32 v16, v21
	ds_read2_b32 v[12:13], v26 offset1:33
	s_waitcnt lgkmcnt(0)
	s_barrier
	buffer_gl0_inv
	v_fma_f32 v21, v23, v22, 0
	v_fmac_f32_e32 v21, v24, v29
	v_fmac_f32_e32 v21, v30, v28
	;; [unrolled: 1-line block ×3, first 2 shown]
	ds_write_b32 v20, v21
	s_waitcnt lgkmcnt(0)
	s_barrier
	buffer_gl0_inv
	s_and_saveexec_b32 s3, s2
	s_cbranch_execz .LBB73_67
; %bb.66:
	ds_read2_b32 v[21:22], v17 offset1:1
	ds_read2_b32 v[23:24], v17 offset0:2 offset1:3
	ds_read2_b32 v[25:26], v17 offset0:4 offset1:5
	;; [unrolled: 1-line block ×3, first 2 shown]
	s_waitcnt lgkmcnt(3)
	v_add_f32_e32 v21, v32, v21
	v_add_f32_e32 v21, v21, v22
	s_waitcnt lgkmcnt(2)
	v_add_f32_e32 v21, v21, v23
	v_add_f32_e32 v21, v21, v24
	;; [unrolled: 3-line block ×4, first 2 shown]
.LBB73_67:
	s_or_b32 exec_lo, exec_lo, s3
	v_fma_f32 v2, v15, v2, 0
	s_barrier
	buffer_gl0_inv
	v_fmac_f32_e32 v2, v12, v3
	v_fmac_f32_e32 v2, v13, v4
	;; [unrolled: 1-line block ×3, first 2 shown]
	ds_write_b32 v20, v2
	s_waitcnt lgkmcnt(0)
	s_barrier
	buffer_gl0_inv
	s_and_saveexec_b32 s2, s1
	s_cbranch_execz .LBB73_69
; %bb.68:
	ds_read2_b32 v[2:3], v17 offset1:1
	ds_read2_b32 v[4:5], v17 offset0:2 offset1:3
	ds_read2_b32 v[12:13], v17 offset0:4 offset1:5
	;; [unrolled: 1-line block ×3, first 2 shown]
	s_waitcnt lgkmcnt(3)
	v_add_f32_e32 v2, v32, v2
	v_add_f32_e32 v2, v2, v3
	s_waitcnt lgkmcnt(2)
	v_add_f32_e32 v2, v2, v4
	v_add_f32_e32 v2, v2, v5
	;; [unrolled: 3-line block ×4, first 2 shown]
.LBB73_69:
	s_or_b32 exec_lo, exec_lo, s2
	s_load_dwordx2 s[2:3], s[4:5], 0x60
	s_mul_hi_u32 s1, s24, s7
	s_mul_i32 s27, s27, s7
	s_mul_i32 s4, s24, s7
	s_add_i32 s1, s1, s27
	s_mul_hi_u32 s5, s4, s25
	s_mul_i32 s1, s1, s25
	s_mul_i32 s4, s4, s25
	s_add_i32 s5, s5, s1
	s_mul_hi_i32 s9, s24, s6
	s_lshl_b64 s[4:5], s[4:5], 2
	s_mul_i32 s8, s24, s6
	v_lshlrev_b32_e32 v33, 2, v0
	s_waitcnt lgkmcnt(0)
	s_barrier
	buffer_gl0_inv
	s_add_u32 s1, s2, s4
	s_addc_u32 s2, s3, s5
	s_lshl_b64 s[4:5], s[8:9], 2
	s_add_u32 s3, s1, s4
	s_addc_u32 s7, s2, s5
	s_add_i32 s1, s6, 1
	s_cmp_ge_u32 s1, s25
	s_cbranch_scc1 .LBB73_126
; %bb.70:
	s_mul_i32 s1, s20, s19
	s_mul_hi_u32 s2, s20, s18
	s_mul_i32 s4, s21, s18
	s_add_i32 s1, s2, s1
	v_lshlrev_b32_e32 v17, 4, v1
	s_add_i32 s5, s1, s4
	s_mul_i32 s4, s20, s18
	v_lshrrev_b32_e32 v2, 2, v14
	v_and_b32_e32 v3, 48, v0
	s_lshl_b64 s[4:5], s[4:5], 2
	v_and_b32_e32 v4, 15, v0
	v_sub_co_u32 v35, vcc_lo, v8, s4
	v_subrev_co_ci_u32_e64 v36, null, s5, v9, vcc_lo
	v_and_b32_e32 v2, 0x1ffc, v2
	v_add_nc_u32_e32 v8, 0x80, v17
	v_lshlrev_b32_e32 v5, 2, v3
	v_or_b32_e32 v9, 60, v33
	v_add_nc_u32_e32 v15, 0x88, v17
	v_mul_u32_u24_e32 v20, 0x10c, v4
	v_mad_u32_u24 v40, 0x10c, v4, v2
	v_mad_u64_u32 v[2:3], null, s12, v8, 0
	v_mad_u32_u24 v41, 0x10c, v4, v5
	v_mad_u32_u24 v42, 0x10c, v4, v9
	v_mad_u64_u32 v[4:5], null, s12, v15, 0
	v_add_nc_u32_e32 v22, 0x8c, v17
	v_add_nc_u32_e32 v23, 0x84, v17
	v_and_b32_e32 v21, 0x7ff0, v14
	v_cmp_gt_u32_e64 s1, 64, v14
	v_sub_co_u32 v24, vcc_lo, v2, v6
	v_mad_u64_u32 v[8:9], null, s13, v8, v[3:4]
	v_mov_b32_e32 v3, v5
	v_mad_u64_u32 v[12:13], null, s12, v22, 0
	v_add_nc_u32_e32 v30, 0xcc, v17
	v_add_nc_u32_e32 v46, 0x10c, v17
	v_mad_u64_u32 v[14:15], null, s13, v15, v[3:4]
	v_mad_u64_u32 v[15:16], null, s12, v23, 0
	v_mov_b32_e32 v2, v13
	v_add_nc_u32_e32 v13, 0xc0, v17
	v_sub_co_ci_u32_e64 v25, null, v8, v7, vcc_lo
	v_sub_co_u32 v26, vcc_lo, v4, v6
	v_mov_b32_e32 v3, v16
	v_sub_co_ci_u32_e64 v27, null, v14, v7, vcc_lo
	v_mad_u64_u32 v[8:9], null, s12, v13, 0
	v_mad_u64_u32 v[4:5], null, s13, v22, v[2:3]
	v_add_nc_u32_e32 v14, 0xc4, v17
	v_sub_co_u32 v22, vcc_lo, v12, v6
	v_add_nc_u32_e32 v37, 0x10c0, v17
	v_add_nc_u32_e32 v47, 0x148, v17
	v_lshlrev_b32_e32 v34, 2, v1
	v_mad_u64_u32 v[2:3], null, s13, v23, v[3:4]
	v_sub_co_ci_u32_e64 v23, null, v4, v7, vcc_lo
	v_mad_u64_u32 v[4:5], null, s12, v14, 0
	v_mov_b32_e32 v3, v9
	v_sub_co_u32 v28, vcc_lo, v15, v6
	v_sub_co_ci_u32_e64 v29, null, v2, v7, vcc_lo
	v_add_nc_u32_e32 v9, 0xc8, v17
	v_mad_u64_u32 v[2:3], null, s13, v13, v[3:4]
	v_mov_b32_e32 v3, v5
	v_sub_co_u32 v31, vcc_lo, v8, v6
	v_mad_u64_u32 v[12:13], null, s12, v9, 0
	v_mad_u64_u32 v[14:15], null, s13, v14, v[3:4]
	;; [unrolled: 1-line block ×3, first 2 shown]
	v_sub_co_ci_u32_e64 v63, null, v2, v7, vcc_lo
	v_mov_b32_e32 v2, v13
	v_sub_co_u32 v64, vcc_lo, v4, v6
	v_add_nc_u32_e32 v13, 0x100, v17
	v_mov_b32_e32 v3, v16
	v_sub_co_ci_u32_e64 v65, null, v14, v7, vcc_lo
	v_add_nc_u32_e32 v14, 0x104, v17
	v_add_nc_u32_e32 v38, 0x11c0, v33
	v_mad_u64_u32 v[4:5], null, s13, v9, v[2:3]
	v_mad_u64_u32 v[8:9], null, s12, v13, 0
	v_mad_u32_u24 v39, 0x430, v1, v33
	v_or_b32_e32 v43, 1, v34
	v_or_b32_e32 v44, 2, v34
	;; [unrolled: 1-line block ×3, first 2 shown]
	v_mad_u64_u32 v[2:3], null, s13, v30, v[3:4]
	v_sub_co_u32 v30, vcc_lo, v12, v6
	v_sub_co_ci_u32_e64 v67, null, v4, v7, vcc_lo
	v_mad_u64_u32 v[4:5], null, s12, v14, 0
	v_mov_b32_e32 v3, v9
	v_sub_co_u32 v68, vcc_lo, v15, v6
	v_sub_co_ci_u32_e64 v69, null, v2, v7, vcc_lo
	v_add_nc_u32_e32 v9, 0x108, v17
	v_mad_u64_u32 v[2:3], null, s13, v13, v[3:4]
	v_mov_b32_e32 v3, v5
	v_sub_co_u32 v70, vcc_lo, v8, v6
	v_mad_u64_u32 v[12:13], null, s12, v9, 0
	v_mad_u64_u32 v[14:15], null, s13, v14, v[3:4]
	;; [unrolled: 1-line block ×3, first 2 shown]
	v_sub_co_ci_u32_e64 v71, null, v2, v7, vcc_lo
	v_mov_b32_e32 v2, v13
	v_add_nc_u32_e32 v13, 0x140, v17
	v_sub_co_u32 v72, vcc_lo, v4, v6
	v_mov_b32_e32 v3, v16
	v_sub_co_ci_u32_e64 v73, null, v14, v7, vcc_lo
	v_add_nc_u32_e32 v14, 0x144, v17
	v_sub_co_u32 v74, vcc_lo, v12, v6
	v_mad_u64_u32 v[4:5], null, s13, v9, v[2:3]
	v_mad_u64_u32 v[8:9], null, s12, v13, 0
	v_add_nc_u32_e32 v17, 0x14c, v17
	v_add_nc_u32_e32 v48, 18, v34
	;; [unrolled: 1-line block ×4, first 2 shown]
	v_mad_u64_u32 v[2:3], null, s13, v46, v[3:4]
	v_sub_co_ci_u32_e64 v75, null, v4, v7, vcc_lo
	v_mad_u64_u32 v[4:5], null, s12, v14, 0
	v_mov_b32_e32 v3, v9
	v_sub_co_u32 v9, vcc_lo, v15, v6
	v_sub_co_ci_u32_e64 v77, null, v2, v7, vcc_lo
	v_sub_co_u32 v8, vcc_lo, v8, v6
	v_mad_u64_u32 v[2:3], null, s13, v13, v[3:4]
	v_mov_b32_e32 v3, v5
	v_mad_u64_u32 v[12:13], null, s12, v47, 0
	v_add_nc_u32_e32 v46, 16, v34
	v_add_nc_u32_e32 v51, 33, v34
	v_mad_u64_u32 v[14:15], null, s13, v14, v[3:4]
	v_mad_u64_u32 v[15:16], null, s12, v17, 0
	v_sub_co_ci_u32_e64 v79, null, v2, v7, vcc_lo
	v_mov_b32_e32 v2, v13
	v_sub_co_u32 v13, vcc_lo, v4, v6
	v_sub_co_ci_u32_e64 v14, null, v14, v7, vcc_lo
	v_mov_b32_e32 v3, v16
	v_add_nc_u32_e32 v52, 34, v34
	v_add_nc_u32_e32 v53, 35, v34
	v_add_nc_u32_e32 v86, 48, v34
	v_add_nc_u32_e32 v87, 49, v34
	v_mad_u64_u32 v[4:5], null, s13, v47, v[2:3]
	v_add_nc_u32_e32 v47, 17, v34
	v_add_nc_u32_e32 v88, v20, v21
	;; [unrolled: 1-line block ×4, first 2 shown]
	s_add_i32 s8, s25, -2
	s_add_i32 s9, s18, 64
	v_mad_u64_u32 v[2:3], null, s13, v17, v[3:4]
	v_sub_co_u32 v3, vcc_lo, v12, v6
	v_sub_co_ci_u32_e64 v4, null, v4, v7, vcc_lo
	v_sub_co_u32 v5, vcc_lo, v15, v6
	v_sub_co_ci_u32_e64 v2, null, v2, v7, vcc_lo
	v_add_co_u32 v54, vcc_lo, v10, v24
	v_add_co_ci_u32_e64 v55, null, v11, v25, vcc_lo
	v_add_co_u32 v56, vcc_lo, v10, v26
	v_add_co_ci_u32_e64 v57, null, v11, v27, vcc_lo
	;; [unrolled: 2-line block ×16, first 2 shown]
	s_lshl_b64 s[4:5], s[12:13], 8
	s_cmp_eq_u32 s8, s6
	s_cselect_b32 s10, s26, 0
	s_and_saveexec_b32 s2, s0
	s_cbranch_execz .LBB73_74
.LBB73_71:
	v_cmp_gt_i32_e32 vcc_lo, s10, v0
	s_cmp_eq_u32 s10, 0
	v_mov_b32_e32 v2, 0
	s_cselect_b32 s12, -1, 0
	s_or_b32 s13, s12, vcc_lo
	s_and_saveexec_b32 s12, s13
	s_cbranch_execz .LBB73_73
; %bb.72:
	s_ashr_i32 s13, s9, 31
	s_mul_hi_u32 s14, s20, s9
	s_mul_i32 s13, s20, s13
	s_mul_i32 s15, s21, s9
	s_add_i32 s13, s14, s13
	s_mul_i32 s14, s20, s9
	s_add_i32 s15, s13, s15
	s_lshl_b64 s[14:15], s[14:15], 2
	v_add_co_u32 v2, vcc_lo, v35, s14
	v_add_co_ci_u32_e64 v3, null, s15, v36, vcc_lo
	global_load_dword v2, v[2:3], off
.LBB73_73:
	s_or_b32 exec_lo, exec_lo, s12
	v_add_nc_u32_e32 v3, 0x10c0, v33
	s_waitcnt vmcnt(0)
	ds_write_b32 v3, v2
.LBB73_74:                              ; =>This Inner Loop Header: Depth=1
	s_or_b32 exec_lo, exec_lo, s2
	s_cmp_eq_u32 s10, 0
	v_add_co_u32 v2, vcc_lo, v54, v33
	s_cselect_b32 s12, -1, 0
	s_cmp_lg_u32 s10, 0
	v_add_co_ci_u32_e64 v3, null, 0, v55, vcc_lo
	s_cselect_b32 s2, -1, 0
	s_mov_b32 s13, -1
	s_and_b32 vcc_lo, exec_lo, s2
	s_waitcnt lgkmcnt(0)
	s_barrier
	buffer_gl0_inv
                                        ; implicit-def: $vgpr92
                                        ; implicit-def: $vgpr93
                                        ; implicit-def: $vgpr91
                                        ; implicit-def: $vgpr94
	s_cbranch_vccz .LBB73_84
; %bb.75:                               ;   in Loop: Header=BB73_74 Depth=1
	v_mov_b32_e32 v91, 0
	v_mov_b32_e32 v94, 0
	s_mov_b32 s13, exec_lo
	v_cmpx_gt_i32_e64 s10, v34
	s_cbranch_execz .LBB73_77
; %bb.76:                               ;   in Loop: Header=BB73_74 Depth=1
	global_load_dword v94, v[2:3], off
.LBB73_77:                              ;   in Loop: Header=BB73_74 Depth=1
	s_or_b32 exec_lo, exec_lo, s13
	s_mov_b32 s13, exec_lo
	v_cmpx_gt_i32_e64 s10, v43
	s_cbranch_execz .LBB73_79
; %bb.78:                               ;   in Loop: Header=BB73_74 Depth=1
	v_add_co_u32 v4, vcc_lo, v60, v33
	v_add_co_ci_u32_e64 v5, null, 0, v61, vcc_lo
	global_load_dword v91, v[4:5], off
.LBB73_79:                              ;   in Loop: Header=BB73_74 Depth=1
	s_or_b32 exec_lo, exec_lo, s13
	v_mov_b32_e32 v92, 0
	v_mov_b32_e32 v93, 0
	s_mov_b32 s13, exec_lo
	v_cmpx_gt_i32_e64 s10, v44
	s_cbranch_execz .LBB73_81
; %bb.80:                               ;   in Loop: Header=BB73_74 Depth=1
	v_add_co_u32 v4, vcc_lo, v56, v33
	v_add_co_ci_u32_e64 v5, null, 0, v57, vcc_lo
	global_load_dword v93, v[4:5], off
.LBB73_81:                              ;   in Loop: Header=BB73_74 Depth=1
	s_or_b32 exec_lo, exec_lo, s13
	s_mov_b32 s13, exec_lo
	v_cmpx_gt_i32_e64 s10, v45
	s_cbranch_execz .LBB73_83
; %bb.82:                               ;   in Loop: Header=BB73_74 Depth=1
	v_add_co_u32 v4, vcc_lo, v58, v33
	v_add_co_ci_u32_e64 v5, null, 0, v59, vcc_lo
	global_load_dword v92, v[4:5], off
.LBB73_83:                              ;   in Loop: Header=BB73_74 Depth=1
	s_or_b32 exec_lo, exec_lo, s13
	s_mov_b32 s13, 0
.LBB73_84:                              ;   in Loop: Header=BB73_74 Depth=1
	s_and_b32 vcc_lo, exec_lo, s13
	s_cbranch_vccz .LBB73_86
; %bb.85:                               ;   in Loop: Header=BB73_74 Depth=1
	v_add_co_u32 v4, vcc_lo, v60, v33
	v_add_co_ci_u32_e64 v5, null, 0, v61, vcc_lo
	v_add_co_u32 v6, vcc_lo, v56, v33
	v_add_co_ci_u32_e64 v7, null, 0, v57, vcc_lo
	;; [unrolled: 2-line block ×3, first 2 shown]
	global_load_dword v94, v[2:3], off
	global_load_dword v91, v[4:5], off
	;; [unrolled: 1-line block ×4, first 2 shown]
.LBB73_86:                              ;   in Loop: Header=BB73_74 Depth=1
	ds_read_b32 v6, v38
	ds_read_b128 v[2:5], v37
	v_cndmask_b32_e64 v14, 0, 1, s2
                                        ; implicit-def: $vgpr97
                                        ; implicit-def: $vgpr98
                                        ; implicit-def: $vgpr95
                                        ; implicit-def: $vgpr96
	s_waitcnt vmcnt(0) lgkmcnt(1)
	v_mul_f32_e32 v7, v94, v6
	v_mul_f32_e32 v8, v91, v6
	;; [unrolled: 1-line block ×4, first 2 shown]
	ds_write2_b32 v39, v7, v8 offset1:67
	ds_write2_b32 v39, v9, v6 offset0:134 offset1:201
	s_waitcnt lgkmcnt(0)
	s_barrier
	buffer_gl0_inv
	ds_read2_b32 v[22:23], v88 offset1:1
	ds_read2_b32 v[20:21], v88 offset0:2 offset1:3
	v_add_co_u32 v6, vcc_lo, v62, v33
	v_add_co_ci_u32_e64 v7, null, 0, v63, vcc_lo
	s_andn2_b32 vcc_lo, exec_lo, s2
	s_mov_b32 s2, -1
	s_waitcnt lgkmcnt(0)
	s_barrier
	buffer_gl0_inv
	s_cbranch_vccnz .LBB73_96
; %bb.87:                               ;   in Loop: Header=BB73_74 Depth=1
	v_mov_b32_e32 v95, 0
	v_mov_b32_e32 v96, 0
	s_mov_b32 s2, exec_lo
	v_cmpx_gt_i32_e64 s10, v46
	s_cbranch_execz .LBB73_89
; %bb.88:                               ;   in Loop: Header=BB73_74 Depth=1
	global_load_dword v96, v[6:7], off
.LBB73_89:                              ;   in Loop: Header=BB73_74 Depth=1
	s_or_b32 exec_lo, exec_lo, s2
	s_mov_b32 s2, exec_lo
	v_cmpx_gt_i32_e64 s10, v47
	s_cbranch_execz .LBB73_91
; %bb.90:                               ;   in Loop: Header=BB73_74 Depth=1
	v_add_co_u32 v8, vcc_lo, v64, v33
	v_add_co_ci_u32_e64 v9, null, 0, v65, vcc_lo
	global_load_dword v95, v[8:9], off
.LBB73_91:                              ;   in Loop: Header=BB73_74 Depth=1
	s_or_b32 exec_lo, exec_lo, s2
	v_mov_b32_e32 v97, 0
	v_mov_b32_e32 v98, 0
	s_mov_b32 s2, exec_lo
	v_cmpx_gt_i32_e64 s10, v48
	s_cbranch_execz .LBB73_93
; %bb.92:                               ;   in Loop: Header=BB73_74 Depth=1
	v_add_co_u32 v8, vcc_lo, v66, v33
	v_add_co_ci_u32_e64 v9, null, 0, v67, vcc_lo
	global_load_dword v98, v[8:9], off
.LBB73_93:                              ;   in Loop: Header=BB73_74 Depth=1
	s_or_b32 exec_lo, exec_lo, s2
	s_mov_b32 s2, exec_lo
	v_cmpx_gt_i32_e64 s10, v49
	s_cbranch_execz .LBB73_95
; %bb.94:                               ;   in Loop: Header=BB73_74 Depth=1
	v_add_co_u32 v8, vcc_lo, v68, v33
	v_add_co_ci_u32_e64 v9, null, 0, v69, vcc_lo
	global_load_dword v97, v[8:9], off
.LBB73_95:                              ;   in Loop: Header=BB73_74 Depth=1
	s_or_b32 exec_lo, exec_lo, s2
	s_mov_b32 s2, 0
.LBB73_96:                              ;   in Loop: Header=BB73_74 Depth=1
	s_and_b32 vcc_lo, exec_lo, s2
	s_cbranch_vccz .LBB73_98
; %bb.97:                               ;   in Loop: Header=BB73_74 Depth=1
	v_add_co_u32 v8, vcc_lo, v64, v33
	v_add_co_ci_u32_e64 v9, null, 0, v65, vcc_lo
	v_add_co_u32 v10, vcc_lo, v66, v33
	v_add_co_ci_u32_e64 v11, null, 0, v67, vcc_lo
	;; [unrolled: 2-line block ×3, first 2 shown]
	global_load_dword v96, v[6:7], off
	global_load_dword v95, v[8:9], off
	;; [unrolled: 1-line block ×4, first 2 shown]
.LBB73_98:                              ;   in Loop: Header=BB73_74 Depth=1
	ds_read_b32 v10, v38
	ds_read_b128 v[6:9], v37 offset:64
	v_cmp_ne_u32_e32 vcc_lo, 1, v14
                                        ; implicit-def: $vgpr101
                                        ; implicit-def: $vgpr102
                                        ; implicit-def: $vgpr99
                                        ; implicit-def: $vgpr100
	s_and_b32 vcc_lo, exec_lo, vcc_lo
	s_waitcnt vmcnt(0) lgkmcnt(1)
	v_mul_f32_e32 v11, v96, v10
	v_mul_f32_e32 v12, v95, v10
	;; [unrolled: 1-line block ×4, first 2 shown]
	ds_write2_b32 v39, v11, v12 offset1:67
	ds_write2_b32 v39, v13, v10 offset0:134 offset1:201
	s_waitcnt lgkmcnt(0)
	s_barrier
	buffer_gl0_inv
	ds_read2_b32 v[26:27], v88 offset1:1
	ds_read2_b32 v[24:25], v88 offset0:2 offset1:3
	v_add_co_u32 v10, s2, v70, v33
	v_add_co_ci_u32_e64 v11, null, 0, v71, s2
	s_mov_b32 s2, -1
	s_waitcnt lgkmcnt(0)
	s_barrier
	buffer_gl0_inv
	s_cbranch_vccnz .LBB73_108
; %bb.99:                               ;   in Loop: Header=BB73_74 Depth=1
	v_mov_b32_e32 v99, 0
	v_mov_b32_e32 v100, 0
	s_mov_b32 s2, exec_lo
	v_cmpx_gt_i32_e64 s10, v50
	s_cbranch_execz .LBB73_101
; %bb.100:                              ;   in Loop: Header=BB73_74 Depth=1
	global_load_dword v100, v[10:11], off
.LBB73_101:                             ;   in Loop: Header=BB73_74 Depth=1
	s_or_b32 exec_lo, exec_lo, s2
	s_mov_b32 s2, exec_lo
	v_cmpx_gt_i32_e64 s10, v51
	s_cbranch_execz .LBB73_103
; %bb.102:                              ;   in Loop: Header=BB73_74 Depth=1
	v_add_co_u32 v12, vcc_lo, v72, v33
	v_add_co_ci_u32_e64 v13, null, 0, v73, vcc_lo
	global_load_dword v99, v[12:13], off
.LBB73_103:                             ;   in Loop: Header=BB73_74 Depth=1
	s_or_b32 exec_lo, exec_lo, s2
	v_mov_b32_e32 v101, 0
	v_mov_b32_e32 v102, 0
	s_mov_b32 s2, exec_lo
	v_cmpx_gt_i32_e64 s10, v52
	s_cbranch_execz .LBB73_105
; %bb.104:                              ;   in Loop: Header=BB73_74 Depth=1
	v_add_co_u32 v12, vcc_lo, v74, v33
	v_add_co_ci_u32_e64 v13, null, 0, v75, vcc_lo
	global_load_dword v102, v[12:13], off
.LBB73_105:                             ;   in Loop: Header=BB73_74 Depth=1
	s_or_b32 exec_lo, exec_lo, s2
	s_mov_b32 s2, exec_lo
	v_cmpx_gt_i32_e64 s10, v53
	s_cbranch_execz .LBB73_107
; %bb.106:                              ;   in Loop: Header=BB73_74 Depth=1
	v_add_co_u32 v12, vcc_lo, v76, v33
	v_add_co_ci_u32_e64 v13, null, 0, v77, vcc_lo
	global_load_dword v101, v[12:13], off
.LBB73_107:                             ;   in Loop: Header=BB73_74 Depth=1
	s_or_b32 exec_lo, exec_lo, s2
	s_mov_b32 s2, 0
.LBB73_108:                             ;   in Loop: Header=BB73_74 Depth=1
	s_and_b32 vcc_lo, exec_lo, s2
	s_cbranch_vccz .LBB73_110
; %bb.109:                              ;   in Loop: Header=BB73_74 Depth=1
	v_add_co_u32 v12, vcc_lo, v72, v33
	v_add_co_ci_u32_e64 v13, null, 0, v73, vcc_lo
	v_add_co_u32 v15, vcc_lo, v74, v33
	v_add_co_ci_u32_e64 v16, null, 0, v75, vcc_lo
	;; [unrolled: 2-line block ×3, first 2 shown]
	global_load_dword v100, v[10:11], off
	global_load_dword v99, v[12:13], off
	;; [unrolled: 1-line block ×4, first 2 shown]
.LBB73_110:                             ;   in Loop: Header=BB73_74 Depth=1
	ds_read_b32 v15, v38
	ds_read_b128 v[10:13], v37 offset:128
	v_cmp_ne_u32_e32 vcc_lo, 1, v14
	v_add_co_u32 v14, s2, v78, v33
                                        ; implicit-def: $vgpr105
                                        ; implicit-def: $vgpr106
                                        ; implicit-def: $vgpr103
                                        ; implicit-def: $vgpr104
	s_and_b32 vcc_lo, exec_lo, vcc_lo
	s_waitcnt vmcnt(0) lgkmcnt(1)
	v_mul_f32_e32 v16, v100, v15
	v_mul_f32_e32 v17, v99, v15
	;; [unrolled: 1-line block ×4, first 2 shown]
	ds_write2_b32 v39, v16, v17 offset1:67
	ds_write2_b32 v39, v28, v15 offset0:134 offset1:201
	s_waitcnt lgkmcnt(0)
	s_barrier
	buffer_gl0_inv
	ds_read2_b32 v[30:31], v88 offset1:1
	ds_read2_b32 v[28:29], v88 offset0:2 offset1:3
	v_add_co_ci_u32_e64 v15, null, 0, v79, s2
	s_mov_b32 s2, -1
	s_waitcnt lgkmcnt(0)
	s_barrier
	buffer_gl0_inv
	s_cbranch_vccnz .LBB73_120
; %bb.111:                              ;   in Loop: Header=BB73_74 Depth=1
	v_mov_b32_e32 v103, 0
	v_mov_b32_e32 v104, 0
	s_mov_b32 s2, exec_lo
	v_cmpx_gt_i32_e64 s10, v86
	s_cbranch_execz .LBB73_113
; %bb.112:                              ;   in Loop: Header=BB73_74 Depth=1
	global_load_dword v104, v[14:15], off
.LBB73_113:                             ;   in Loop: Header=BB73_74 Depth=1
	s_or_b32 exec_lo, exec_lo, s2
	s_mov_b32 s2, exec_lo
	v_cmpx_gt_i32_e64 s10, v87
	s_cbranch_execz .LBB73_115
; %bb.114:                              ;   in Loop: Header=BB73_74 Depth=1
	v_add_co_u32 v16, vcc_lo, v80, v33
	v_add_co_ci_u32_e64 v17, null, 0, v81, vcc_lo
	global_load_dword v103, v[16:17], off
.LBB73_115:                             ;   in Loop: Header=BB73_74 Depth=1
	s_or_b32 exec_lo, exec_lo, s2
	v_mov_b32_e32 v105, 0
	v_mov_b32_e32 v106, 0
	s_mov_b32 s2, exec_lo
	v_cmpx_gt_i32_e64 s10, v89
	s_cbranch_execz .LBB73_117
; %bb.116:                              ;   in Loop: Header=BB73_74 Depth=1
	v_add_co_u32 v16, vcc_lo, v82, v33
	v_add_co_ci_u32_e64 v17, null, 0, v83, vcc_lo
	global_load_dword v106, v[16:17], off
.LBB73_117:                             ;   in Loop: Header=BB73_74 Depth=1
	s_or_b32 exec_lo, exec_lo, s2
	s_mov_b32 s2, exec_lo
	v_cmpx_gt_i32_e64 s10, v90
	s_cbranch_execz .LBB73_119
; %bb.118:                              ;   in Loop: Header=BB73_74 Depth=1
	v_add_co_u32 v16, vcc_lo, v84, v33
	v_add_co_ci_u32_e64 v17, null, 0, v85, vcc_lo
	global_load_dword v105, v[16:17], off
.LBB73_119:                             ;   in Loop: Header=BB73_74 Depth=1
	s_or_b32 exec_lo, exec_lo, s2
	s_mov_b32 s2, 0
.LBB73_120:                             ;   in Loop: Header=BB73_74 Depth=1
	s_and_b32 vcc_lo, exec_lo, s2
	s_cbranch_vccz .LBB73_122
; %bb.121:                              ;   in Loop: Header=BB73_74 Depth=1
	v_add_co_u32 v16, vcc_lo, v80, v33
	v_add_co_ci_u32_e64 v17, null, 0, v81, vcc_lo
	s_waitcnt vmcnt(0)
	v_add_co_u32 v105, vcc_lo, v82, v33
	v_add_co_ci_u32_e64 v106, null, 0, v83, vcc_lo
	v_add_co_u32 v107, vcc_lo, v84, v33
	v_add_co_ci_u32_e64 v108, null, 0, v85, vcc_lo
	global_load_dword v104, v[14:15], off
	global_load_dword v103, v[16:17], off
	;; [unrolled: 1-line block ×4, first 2 shown]
.LBB73_122:                             ;   in Loop: Header=BB73_74 Depth=1
	ds_read_b32 v107, v38
	ds_read_b128 v[14:17], v37 offset:192
	v_add_f32_e32 v26, 0, v26
	v_add_f32_e32 v22, 0, v22
	;; [unrolled: 1-line block ×3, first 2 shown]
	v_cmp_gt_i32_e32 vcc_lo, s10, v0
	v_add_f32_e32 v26, v26, v27
	v_add_f32_e32 v22, v22, v23
	;; [unrolled: 1-line block ×3, first 2 shown]
	s_or_b32 s2, s12, vcc_lo
	v_add_f32_e32 v24, v26, v24
	v_add_f32_e32 v20, v22, v20
	;; [unrolled: 1-line block ×3, first 2 shown]
	s_and_b32 s10, s1, s2
	v_add_f32_e32 v24, v24, v25
	v_add_f32_e32 v20, v20, v21
	s_waitcnt vmcnt(0) lgkmcnt(1)
	v_mul_f32_e32 v108, v104, v107
	v_mul_f32_e32 v109, v103, v107
	;; [unrolled: 1-line block ×4, first 2 shown]
	ds_write2_b32 v39, v108, v109 offset1:67
	ds_write2_b32 v39, v110, v107 offset0:134 offset1:201
	s_waitcnt lgkmcnt(0)
	s_barrier
	buffer_gl0_inv
	ds_read2_b32 v[107:108], v88 offset1:1
	ds_read2_b32 v[109:110], v88 offset0:2 offset1:3
	s_waitcnt lgkmcnt(0)
	s_barrier
	buffer_gl0_inv
	v_add_f32_e32 v107, 0, v107
	v_add_f32_e32 v23, v107, v108
	;; [unrolled: 1-line block ×5, first 2 shown]
	ds_write2_b32 v40, v20, v24 offset1:16
	ds_write2_b32 v40, v23, v21 offset0:32 offset1:48
	s_waitcnt lgkmcnt(0)
	s_barrier
	buffer_gl0_inv
	s_and_saveexec_b32 s2, s10
	s_cbranch_execz .LBB73_124
; %bb.123:                              ;   in Loop: Header=BB73_74 Depth=1
	ds_read2_b32 v[20:21], v41 offset1:1
	ds_read2_b32 v[22:23], v41 offset0:2 offset1:3
	ds_read2_b32 v[24:25], v41 offset0:4 offset1:5
	;; [unrolled: 1-line block ×3, first 2 shown]
	s_waitcnt lgkmcnt(3)
	v_add_f32_e32 v20, v20, v21
	s_waitcnt lgkmcnt(2)
	v_add_f32_e32 v20, v20, v22
	v_add_f32_e32 v22, v20, v23
	ds_read2_b32 v[20:21], v41 offset0:8 offset1:9
	s_waitcnt lgkmcnt(2)
	v_add_f32_e32 v22, v22, v24
	v_add_f32_e32 v24, v22, v25
	ds_read2_b32 v[22:23], v41 offset0:10 offset1:11
	;; [unrolled: 4-line block ×3, first 2 shown]
	ds_read_b32 v27, v41 offset:56
	s_waitcnt lgkmcnt(3)
	v_add_f32_e32 v20, v26, v20
	v_add_f32_e32 v20, v20, v21
	s_waitcnt lgkmcnt(2)
	v_add_f32_e32 v20, v20, v22
	ds_read_b32 v22, v42
	v_add_f32_e32 v20, v20, v23
	s_waitcnt lgkmcnt(2)
	v_add_f32_e32 v21, v20, v24
	v_add_nc_u32_e32 v20, s9, v0
	v_add_f32_e32 v23, v21, v25
	v_ashrrev_i32_e32 v21, 31, v20
	s_waitcnt lgkmcnt(1)
	v_add_f32_e32 v23, v23, v27
	v_lshlrev_b64 v[20:21], 2, v[20:21]
	s_waitcnt lgkmcnt(0)
	v_add_f32_e32 v22, v23, v22
	v_add_co_u32 v20, vcc_lo, s3, v20
	v_add_co_ci_u32_e64 v21, null, s7, v21, vcc_lo
	global_store_dword v[20:21], v22, off
.LBB73_124:                             ;   in Loop: Header=BB73_74 Depth=1
	s_or_b32 exec_lo, exec_lo, s2
	v_fmac_f32_e32 v32, v94, v2
	v_add_co_u32 v54, vcc_lo, v54, s4
	v_add_co_ci_u32_e64 v55, null, s5, v55, vcc_lo
	v_fmac_f32_e32 v32, v91, v3
	v_add_co_u32 v56, vcc_lo, v56, s4
	v_add_co_ci_u32_e64 v57, null, s5, v57, vcc_lo
	;; [unrolled: 3-line block ×15, first 2 shown]
	v_add_co_u32 v84, vcc_lo, v84, s4
	v_fmac_f32_e32 v32, v105, v17
	v_add_co_ci_u32_e64 v85, null, s5, v85, vcc_lo
	s_add_i32 s2, s6, 1
	s_add_i32 s6, s6, 2
	;; [unrolled: 1-line block ×3, first 2 shown]
	s_cmp_ge_u32 s6, s25
	s_waitcnt_vscnt null, 0x0
	s_barrier
	buffer_gl0_inv
	s_cbranch_scc1 .LBB73_126
; %bb.125:                              ;   in Loop: Header=BB73_74 Depth=1
	s_mov_b32 s6, s2
	s_cmp_eq_u32 s8, s6
	s_cselect_b32 s10, s26, 0
	s_and_saveexec_b32 s2, s0
	s_cbranch_execnz .LBB73_71
	s_branch .LBB73_74
.LBB73_126:
	v_cmp_gt_i32_e32 vcc_lo, s16, v0
	v_mad_u32_u24 v1, 0x10c, v1, v33
	s_or_b32 s1, s11, vcc_lo
	ds_write_b32 v1, v32
	s_and_b32 s0, s0, s1
	s_waitcnt lgkmcnt(0)
	s_barrier
	buffer_gl0_inv
	s_and_saveexec_b32 s1, s0
	s_cbranch_execz .LBB73_128
; %bb.127:
	ds_read2_b32 v[0:1], v33 offset1:67
	ds_read2_b32 v[2:3], v33 offset0:134 offset1:201
	s_waitcnt lgkmcnt(1)
	v_add_f32_e32 v0, v0, v1
	s_waitcnt lgkmcnt(0)
	v_add_f32_e32 v2, v0, v2
	v_lshlrev_b64 v[0:1], 2, v[18:19]
	v_add_f32_e32 v2, v2, v3
	v_add_co_u32 v0, vcc_lo, s3, v0
	v_add_co_ci_u32_e64 v1, null, s7, v1, vcc_lo
	global_store_dword v[0:1], v2, off
.LBB73_128:
	s_endpgm
	.section	.rodata,"a",@progbits
	.p2align	6, 0x0
	.amdhsa_kernel _ZL26rocblas_hemvn_kernel_upperILb0ELi64ELi4ELi33ELi32ELi16ElfPKfPfEviT6_lT7_lT5_lS4_lS5_lS3_lT8_i
		.amdhsa_group_segment_fixed_size 4800
		.amdhsa_private_segment_fixed_size 0
		.amdhsa_kernarg_size 368
		.amdhsa_user_sgpr_count 6
		.amdhsa_user_sgpr_private_segment_buffer 1
		.amdhsa_user_sgpr_dispatch_ptr 0
		.amdhsa_user_sgpr_queue_ptr 0
		.amdhsa_user_sgpr_kernarg_segment_ptr 1
		.amdhsa_user_sgpr_dispatch_id 0
		.amdhsa_user_sgpr_flat_scratch_init 0
		.amdhsa_user_sgpr_private_segment_size 0
		.amdhsa_wavefront_size32 1
		.amdhsa_uses_dynamic_stack 0
		.amdhsa_system_sgpr_private_segment_wavefront_offset 0
		.amdhsa_system_sgpr_workgroup_id_x 1
		.amdhsa_system_sgpr_workgroup_id_y 0
		.amdhsa_system_sgpr_workgroup_id_z 1
		.amdhsa_system_sgpr_workgroup_info 0
		.amdhsa_system_vgpr_workitem_id 1
		.amdhsa_next_free_vgpr 111
		.amdhsa_next_free_sgpr 32
		.amdhsa_reserve_vcc 1
		.amdhsa_reserve_flat_scratch 0
		.amdhsa_float_round_mode_32 0
		.amdhsa_float_round_mode_16_64 0
		.amdhsa_float_denorm_mode_32 3
		.amdhsa_float_denorm_mode_16_64 3
		.amdhsa_dx10_clamp 1
		.amdhsa_ieee_mode 1
		.amdhsa_fp16_overflow 0
		.amdhsa_workgroup_processor_mode 1
		.amdhsa_memory_ordered 1
		.amdhsa_forward_progress 1
		.amdhsa_shared_vgpr_count 0
		.amdhsa_exception_fp_ieee_invalid_op 0
		.amdhsa_exception_fp_denorm_src 0
		.amdhsa_exception_fp_ieee_div_zero 0
		.amdhsa_exception_fp_ieee_overflow 0
		.amdhsa_exception_fp_ieee_underflow 0
		.amdhsa_exception_fp_ieee_inexact 0
		.amdhsa_exception_int_div_zero 0
	.end_amdhsa_kernel
	.section	.text._ZL26rocblas_hemvn_kernel_upperILb0ELi64ELi4ELi33ELi32ELi16ElfPKfPfEviT6_lT7_lT5_lS4_lS5_lS3_lT8_i,"axG",@progbits,_ZL26rocblas_hemvn_kernel_upperILb0ELi64ELi4ELi33ELi32ELi16ElfPKfPfEviT6_lT7_lT5_lS4_lS5_lS3_lT8_i,comdat
.Lfunc_end73:
	.size	_ZL26rocblas_hemvn_kernel_upperILb0ELi64ELi4ELi33ELi32ELi16ElfPKfPfEviT6_lT7_lT5_lS4_lS5_lS3_lT8_i, .Lfunc_end73-_ZL26rocblas_hemvn_kernel_upperILb0ELi64ELi4ELi33ELi32ELi16ElfPKfPfEviT6_lT7_lT5_lS4_lS5_lS3_lT8_i
                                        ; -- End function
	.set _ZL26rocblas_hemvn_kernel_upperILb0ELi64ELi4ELi33ELi32ELi16ElfPKfPfEviT6_lT7_lT5_lS4_lS5_lS3_lT8_i.num_vgpr, 111
	.set _ZL26rocblas_hemvn_kernel_upperILb0ELi64ELi4ELi33ELi32ELi16ElfPKfPfEviT6_lT7_lT5_lS4_lS5_lS3_lT8_i.num_agpr, 0
	.set _ZL26rocblas_hemvn_kernel_upperILb0ELi64ELi4ELi33ELi32ELi16ElfPKfPfEviT6_lT7_lT5_lS4_lS5_lS3_lT8_i.numbered_sgpr, 32
	.set _ZL26rocblas_hemvn_kernel_upperILb0ELi64ELi4ELi33ELi32ELi16ElfPKfPfEviT6_lT7_lT5_lS4_lS5_lS3_lT8_i.num_named_barrier, 0
	.set _ZL26rocblas_hemvn_kernel_upperILb0ELi64ELi4ELi33ELi32ELi16ElfPKfPfEviT6_lT7_lT5_lS4_lS5_lS3_lT8_i.private_seg_size, 0
	.set _ZL26rocblas_hemvn_kernel_upperILb0ELi64ELi4ELi33ELi32ELi16ElfPKfPfEviT6_lT7_lT5_lS4_lS5_lS3_lT8_i.uses_vcc, 1
	.set _ZL26rocblas_hemvn_kernel_upperILb0ELi64ELi4ELi33ELi32ELi16ElfPKfPfEviT6_lT7_lT5_lS4_lS5_lS3_lT8_i.uses_flat_scratch, 0
	.set _ZL26rocblas_hemvn_kernel_upperILb0ELi64ELi4ELi33ELi32ELi16ElfPKfPfEviT6_lT7_lT5_lS4_lS5_lS3_lT8_i.has_dyn_sized_stack, 0
	.set _ZL26rocblas_hemvn_kernel_upperILb0ELi64ELi4ELi33ELi32ELi16ElfPKfPfEviT6_lT7_lT5_lS4_lS5_lS3_lT8_i.has_recursion, 0
	.set _ZL26rocblas_hemvn_kernel_upperILb0ELi64ELi4ELi33ELi32ELi16ElfPKfPfEviT6_lT7_lT5_lS4_lS5_lS3_lT8_i.has_indirect_call, 0
	.section	.AMDGPU.csdata,"",@progbits
; Kernel info:
; codeLenInByte = 7680
; TotalNumSgprs: 34
; NumVgprs: 111
; ScratchSize: 0
; MemoryBound: 0
; FloatMode: 240
; IeeeMode: 1
; LDSByteSize: 4800 bytes/workgroup (compile time only)
; SGPRBlocks: 0
; VGPRBlocks: 13
; NumSGPRsForWavesPerEU: 34
; NumVGPRsForWavesPerEU: 111
; Occupancy: 9
; WaveLimiterHint : 1
; COMPUTE_PGM_RSRC2:SCRATCH_EN: 0
; COMPUTE_PGM_RSRC2:USER_SGPR: 6
; COMPUTE_PGM_RSRC2:TRAP_HANDLER: 0
; COMPUTE_PGM_RSRC2:TGID_X_EN: 1
; COMPUTE_PGM_RSRC2:TGID_Y_EN: 0
; COMPUTE_PGM_RSRC2:TGID_Z_EN: 1
; COMPUTE_PGM_RSRC2:TIDIG_COMP_CNT: 1
	.section	.text._ZL36rocblas_hemvn_kernel_upper_block_sumILi64ElfPffEviT1_lS1_lT2_lT0_lPT3_i,"axG",@progbits,_ZL36rocblas_hemvn_kernel_upper_block_sumILi64ElfPffEviT1_lS1_lT2_lT0_lPT3_i,comdat
	.globl	_ZL36rocblas_hemvn_kernel_upper_block_sumILi64ElfPffEviT1_lS1_lT2_lT0_lPT3_i ; -- Begin function _ZL36rocblas_hemvn_kernel_upper_block_sumILi64ElfPffEviT1_lS1_lT2_lT0_lPT3_i
	.p2align	8
	.type	_ZL36rocblas_hemvn_kernel_upper_block_sumILi64ElfPffEviT1_lS1_lT2_lT0_lPT3_i,@function
_ZL36rocblas_hemvn_kernel_upper_block_sumILi64ElfPffEviT1_lS1_lT2_lT0_lPT3_i: ; @_ZL36rocblas_hemvn_kernel_upper_block_sumILi64ElfPffEviT1_lS1_lT2_lT0_lPT3_i
; %bb.0:
	s_clause 0x1
	s_load_dwordx2 s[2:3], s[4:5], 0x0
	s_load_dword s16, s[4:5], 0x10
	s_mov_b32 s17, 0
	s_waitcnt lgkmcnt(0)
	v_cmp_eq_f32_e64 s0, s3, 0
	v_cmp_eq_f32_e64 s1, s16, 1.0
	s_and_b32 s0, s0, s1
	s_and_b32 vcc_lo, exec_lo, s0
	s_cbranch_vccnz .LBB74_19
; %bb.1:
	s_clause 0x1
	s_load_dwordx8 s[8:15], s[4:5], 0x28
	s_load_dwordx2 s[0:1], s[4:5], 0x20
	v_lshl_or_b32 v0, s6, 6, v0
	s_waitcnt lgkmcnt(0)
	s_mul_i32 s13, s13, s7
	s_mul_hi_u32 s18, s12, s7
	s_mul_i32 s12, s12, s7
	s_add_i32 s13, s18, s13
	v_cmp_neq_f32_e64 s18, s3, 0
	s_lshl_b64 s[12:13], s[12:13], 2
	s_add_u32 s12, s0, s12
	s_addc_u32 s13, s1, s13
	s_lshl_b64 s[0:1], s[8:9], 2
	s_add_u32 s8, s12, s0
	v_cmp_gt_i32_e64 s0, s2, v0
	s_addc_u32 s9, s13, s1
	s_and_b32 vcc_lo, exec_lo, s18
	s_cbranch_vccnz .LBB74_6
; %bb.2:
	s_mov_b32 s1, 0
                                        ; implicit-def: $vgpr3
                                        ; implicit-def: $vgpr1_vgpr2
	s_and_saveexec_b32 s12, s0
	s_cbranch_execz .LBB74_7
; %bb.3:
	v_ashrrev_i32_e32 v3, 31, v0
	v_mul_lo_u32 v4, s11, v0
	v_mad_u64_u32 v[1:2], null, s10, v0, 0
	v_cmp_eq_f32_e64 s0, s16, 0
	v_mul_lo_u32 v5, s10, v3
	v_mov_b32_e32 v3, 0
	s_and_b32 vcc_lo, exec_lo, s0
	v_add3_u32 v2, v2, v5, v4
	s_cbranch_vccnz .LBB74_5
; %bb.4:
	v_lshlrev_b64 v[3:4], 2, v[1:2]
	v_add_co_u32 v3, vcc_lo, s8, v3
	v_add_co_ci_u32_e64 v4, null, s9, v4, vcc_lo
	global_load_dword v3, v[3:4], off
	s_waitcnt vmcnt(0)
	v_mul_f32_e32 v3, s16, v3
.LBB74_5:
	s_mov_b32 s17, exec_lo
	s_or_b32 exec_lo, exec_lo, s12
	s_and_b32 vcc_lo, exec_lo, s1
	s_cbranch_vccnz .LBB74_8
	s_branch .LBB74_17
.LBB74_6:
                                        ; implicit-def: $vgpr3
                                        ; implicit-def: $vgpr1_vgpr2
	s_cbranch_execnz .LBB74_8
	s_branch .LBB74_17
.LBB74_7:
	s_or_b32 exec_lo, exec_lo, s12
	s_and_b32 vcc_lo, exec_lo, s1
	s_cbranch_vccz .LBB74_17
.LBB74_8:
	s_mov_b32 s12, exec_lo
                                        ; implicit-def: $vgpr3
                                        ; implicit-def: $vgpr1_vgpr2
	v_cmpx_gt_i32_e64 s2, v0
	s_cbranch_execz .LBB74_16
; %bb.9:
	v_ashrrev_i32_e32 v1, 31, v0
	v_mov_b32_e32 v4, 0
	s_cmp_lt_i32 s6, 0
	s_cbranch_scc1 .LBB74_12
; %bb.10:
	s_load_dword s0, s[4:5], 0x50
	s_ashr_i32 s1, s2, 31
	s_mul_hi_u32 s4, s2, s7
	s_mul_i32 s5, s1, s7
	v_lshlrev_b64 v[2:3], 2, v[0:1]
	s_add_i32 s4, s4, s5
	s_mul_i32 s5, s2, s7
	v_mov_b32_e32 v4, 0
	s_waitcnt lgkmcnt(0)
	s_mul_i32 s7, s4, s0
	s_mul_hi_u32 s13, s5, s0
	s_mul_i32 s4, s5, s0
	s_add_i32 s5, s13, s7
	s_lshl_b64 s[4:5], s[4:5], 2
	s_add_u32 s0, s14, s4
	s_addc_u32 s4, s15, s5
	v_add_co_u32 v2, vcc_lo, s0, v2
	v_add_co_ci_u32_e64 v3, null, s4, v3, vcc_lo
	s_mov_b32 s0, s2
	s_add_i32 s2, s6, 1
	s_lshl_b64 s[0:1], s[0:1], 2
.LBB74_11:                              ; =>This Inner Loop Header: Depth=1
	global_load_dword v5, v[2:3], off
	v_add_co_u32 v2, vcc_lo, v2, s0
	v_add_co_ci_u32_e64 v3, null, s1, v3, vcc_lo
	s_add_i32 s2, s2, -1
	s_cmp_eq_u32 s2, 0
	s_waitcnt vmcnt(0)
	v_add_f32_e32 v4, v4, v5
	s_cbranch_scc0 .LBB74_11
.LBB74_12:
	v_mul_lo_u32 v5, s11, v0
	v_mul_lo_u32 v6, s10, v1
	v_cmp_eq_f32_e64 s0, s16, 0
	s_and_b32 vcc_lo, exec_lo, s0
	s_mov_b32 s0, 0
	s_cbranch_vccz .LBB74_20
; %bb.13:
	v_mad_u64_u32 v[1:2], null, s10, v0, 0
	v_mul_f32_e32 v3, s3, v4
	v_add3_u32 v2, v2, v6, v5
	s_andn2_b32 vcc_lo, exec_lo, s0
	s_cbranch_vccnz .LBB74_15
.LBB74_14:
	v_mad_u64_u32 v[1:2], null, s10, v0, 0
	v_add3_u32 v2, v2, v6, v5
	v_lshlrev_b64 v[5:6], 2, v[1:2]
	v_add_co_u32 v5, vcc_lo, s8, v5
	v_add_co_ci_u32_e64 v6, null, s9, v6, vcc_lo
	global_load_dword v0, v[5:6], off
	s_waitcnt vmcnt(0)
	v_mul_f32_e32 v3, s16, v0
	v_fmac_f32_e32 v3, s3, v4
.LBB74_15:
	s_or_b32 s17, s17, exec_lo
.LBB74_16:
	s_or_b32 exec_lo, exec_lo, s12
.LBB74_17:
	s_and_saveexec_b32 s0, s17
	s_cbranch_execz .LBB74_19
; %bb.18:
	v_lshlrev_b64 v[0:1], 2, v[1:2]
	v_add_co_u32 v0, vcc_lo, s8, v0
	v_add_co_ci_u32_e64 v1, null, s9, v1, vcc_lo
	global_store_dword v[0:1], v3, off
.LBB74_19:
	s_endpgm
.LBB74_20:
                                        ; implicit-def: $vgpr3
                                        ; implicit-def: $vgpr1_vgpr2
	s_branch .LBB74_14
	.section	.rodata,"a",@progbits
	.p2align	6, 0x0
	.amdhsa_kernel _ZL36rocblas_hemvn_kernel_upper_block_sumILi64ElfPffEviT1_lS1_lT2_lT0_lPT3_i
		.amdhsa_group_segment_fixed_size 0
		.amdhsa_private_segment_fixed_size 0
		.amdhsa_kernarg_size 336
		.amdhsa_user_sgpr_count 6
		.amdhsa_user_sgpr_private_segment_buffer 1
		.amdhsa_user_sgpr_dispatch_ptr 0
		.amdhsa_user_sgpr_queue_ptr 0
		.amdhsa_user_sgpr_kernarg_segment_ptr 1
		.amdhsa_user_sgpr_dispatch_id 0
		.amdhsa_user_sgpr_flat_scratch_init 0
		.amdhsa_user_sgpr_private_segment_size 0
		.amdhsa_wavefront_size32 1
		.amdhsa_uses_dynamic_stack 0
		.amdhsa_system_sgpr_private_segment_wavefront_offset 0
		.amdhsa_system_sgpr_workgroup_id_x 1
		.amdhsa_system_sgpr_workgroup_id_y 0
		.amdhsa_system_sgpr_workgroup_id_z 1
		.amdhsa_system_sgpr_workgroup_info 0
		.amdhsa_system_vgpr_workitem_id 0
		.amdhsa_next_free_vgpr 7
		.amdhsa_next_free_sgpr 19
		.amdhsa_reserve_vcc 1
		.amdhsa_reserve_flat_scratch 0
		.amdhsa_float_round_mode_32 0
		.amdhsa_float_round_mode_16_64 0
		.amdhsa_float_denorm_mode_32 3
		.amdhsa_float_denorm_mode_16_64 3
		.amdhsa_dx10_clamp 1
		.amdhsa_ieee_mode 1
		.amdhsa_fp16_overflow 0
		.amdhsa_workgroup_processor_mode 1
		.amdhsa_memory_ordered 1
		.amdhsa_forward_progress 1
		.amdhsa_shared_vgpr_count 0
		.amdhsa_exception_fp_ieee_invalid_op 0
		.amdhsa_exception_fp_denorm_src 0
		.amdhsa_exception_fp_ieee_div_zero 0
		.amdhsa_exception_fp_ieee_overflow 0
		.amdhsa_exception_fp_ieee_underflow 0
		.amdhsa_exception_fp_ieee_inexact 0
		.amdhsa_exception_int_div_zero 0
	.end_amdhsa_kernel
	.section	.text._ZL36rocblas_hemvn_kernel_upper_block_sumILi64ElfPffEviT1_lS1_lT2_lT0_lPT3_i,"axG",@progbits,_ZL36rocblas_hemvn_kernel_upper_block_sumILi64ElfPffEviT1_lS1_lT2_lT0_lPT3_i,comdat
.Lfunc_end74:
	.size	_ZL36rocblas_hemvn_kernel_upper_block_sumILi64ElfPffEviT1_lS1_lT2_lT0_lPT3_i, .Lfunc_end74-_ZL36rocblas_hemvn_kernel_upper_block_sumILi64ElfPffEviT1_lS1_lT2_lT0_lPT3_i
                                        ; -- End function
	.set _ZL36rocblas_hemvn_kernel_upper_block_sumILi64ElfPffEviT1_lS1_lT2_lT0_lPT3_i.num_vgpr, 7
	.set _ZL36rocblas_hemvn_kernel_upper_block_sumILi64ElfPffEviT1_lS1_lT2_lT0_lPT3_i.num_agpr, 0
	.set _ZL36rocblas_hemvn_kernel_upper_block_sumILi64ElfPffEviT1_lS1_lT2_lT0_lPT3_i.numbered_sgpr, 19
	.set _ZL36rocblas_hemvn_kernel_upper_block_sumILi64ElfPffEviT1_lS1_lT2_lT0_lPT3_i.num_named_barrier, 0
	.set _ZL36rocblas_hemvn_kernel_upper_block_sumILi64ElfPffEviT1_lS1_lT2_lT0_lPT3_i.private_seg_size, 0
	.set _ZL36rocblas_hemvn_kernel_upper_block_sumILi64ElfPffEviT1_lS1_lT2_lT0_lPT3_i.uses_vcc, 1
	.set _ZL36rocblas_hemvn_kernel_upper_block_sumILi64ElfPffEviT1_lS1_lT2_lT0_lPT3_i.uses_flat_scratch, 0
	.set _ZL36rocblas_hemvn_kernel_upper_block_sumILi64ElfPffEviT1_lS1_lT2_lT0_lPT3_i.has_dyn_sized_stack, 0
	.set _ZL36rocblas_hemvn_kernel_upper_block_sumILi64ElfPffEviT1_lS1_lT2_lT0_lPT3_i.has_recursion, 0
	.set _ZL36rocblas_hemvn_kernel_upper_block_sumILi64ElfPffEviT1_lS1_lT2_lT0_lPT3_i.has_indirect_call, 0
	.section	.AMDGPU.csdata,"",@progbits
; Kernel info:
; codeLenInByte = 656
; TotalNumSgprs: 21
; NumVgprs: 7
; ScratchSize: 0
; MemoryBound: 0
; FloatMode: 240
; IeeeMode: 1
; LDSByteSize: 0 bytes/workgroup (compile time only)
; SGPRBlocks: 0
; VGPRBlocks: 0
; NumSGPRsForWavesPerEU: 21
; NumVGPRsForWavesPerEU: 7
; Occupancy: 16
; WaveLimiterHint : 0
; COMPUTE_PGM_RSRC2:SCRATCH_EN: 0
; COMPUTE_PGM_RSRC2:USER_SGPR: 6
; COMPUTE_PGM_RSRC2:TRAP_HANDLER: 0
; COMPUTE_PGM_RSRC2:TGID_X_EN: 1
; COMPUTE_PGM_RSRC2:TGID_Y_EN: 0
; COMPUTE_PGM_RSRC2:TGID_Z_EN: 1
; COMPUTE_PGM_RSRC2:TIDIG_COMP_CNT: 0
	.section	.text._ZL26rocblas_hemvn_kernel_upperILb0ELi64ELi4ELi33ELi32ELi16EifPKfPfEviT6_lT7_lT5_lS4_lS5_lS3_lT8_i,"axG",@progbits,_ZL26rocblas_hemvn_kernel_upperILb0ELi64ELi4ELi33ELi32ELi16EifPKfPfEviT6_lT7_lT5_lS4_lS5_lS3_lT8_i,comdat
	.globl	_ZL26rocblas_hemvn_kernel_upperILb0ELi64ELi4ELi33ELi32ELi16EifPKfPfEviT6_lT7_lT5_lS4_lS5_lS3_lT8_i ; -- Begin function _ZL26rocblas_hemvn_kernel_upperILb0ELi64ELi4ELi33ELi32ELi16EifPKfPfEviT6_lT7_lT5_lS4_lS5_lS3_lT8_i
	.p2align	8
	.type	_ZL26rocblas_hemvn_kernel_upperILb0ELi64ELi4ELi33ELi32ELi16EifPKfPfEviT6_lT7_lT5_lS4_lS5_lS3_lT8_i,@function
_ZL26rocblas_hemvn_kernel_upperILb0ELi64ELi4ELi33ELi32ELi16EifPKfPfEviT6_lT7_lT5_lS4_lS5_lS3_lT8_i: ; @_ZL26rocblas_hemvn_kernel_upperILb0ELi64ELi4ELi33ELi32ELi16EifPKfPfEviT6_lT7_lT5_lS4_lS5_lS3_lT8_i
; %bb.0:
	s_load_dwordx2 s[2:3], s[4:5], 0x7c
	s_add_u32 s0, s4, 0x70
	s_addc_u32 s1, s5, 0
	s_waitcnt lgkmcnt(0)
	s_lshr_b32 s8, s2, 16
	s_and_b32 s2, s2, 0xffff
	s_and_b32 s3, s3, 0xffff
	s_mul_i32 s2, s8, s2
	s_mul_i32 s2, s2, s3
	s_cmpk_lg_i32 s2, 0x100
	s_cbranch_scc1 .LBB75_128
; %bb.1:
	s_clause 0x1
	s_load_dwordx2 s[16:17], s[4:5], 0x0
	s_load_dword s3, s[4:5], 0x50
	s_waitcnt lgkmcnt(0)
	v_cmp_eq_f32_e64 s2, s17, 0
	v_cmp_eq_f32_e64 s3, s3, 1.0
	s_and_b32 s3, s2, s3
	s_and_b32 vcc_lo, exec_lo, s3
	s_cbranch_vccnz .LBB75_128
; %bb.2:
	s_and_b32 vcc_lo, exec_lo, s2
	s_cbranch_vccnz .LBB75_128
; %bb.3:
	s_clause 0x3
	s_load_dwordx2 s[2:3], s[4:5], 0x48
	s_load_dwordx4 s[8:11], s[4:5], 0x28
	s_load_dwordx2 s[12:13], s[4:5], 0x38
	s_load_dword s17, s[4:5], 0x40
	s_load_dword s26, s[0:1], 0x0
	s_waitcnt lgkmcnt(0)
	s_mul_i32 s3, s3, s7
	s_mul_hi_u32 s14, s2, s7
	s_mul_i32 s2, s2, s7
	s_add_i32 s3, s14, s3
	s_lshl_b64 s[2:3], s[2:3], 2
	s_add_u32 s10, s10, s2
	s_addc_u32 s11, s11, s3
	s_lshl_b64 s[2:3], s[12:13], 2
	s_add_u32 s2, s10, s2
	s_addc_u32 s3, s11, s3
	s_lshl_b32 s18, s6, 6
	s_ashr_i32 s11, s16, 31
	v_add_nc_u32_e32 v18, s18, v0
	s_lshr_b32 s0, s11, 26
	s_add_i32 s1, s26, -1
	s_add_i32 s0, s16, s0
	v_mul_lo_u32 v2, s17, v18
	s_andn2_b32 s0, s0, 63
	s_sub_i32 s27, s16, s0
	v_cmp_eq_u32_e64 s0, 0, v1
	s_cmp_eq_u32 s6, s1
	s_cselect_b32 s12, s27, 0
	v_ashrrev_i32_e32 v3, 31, v2
	v_lshlrev_b64 v[2:3], 2, v[2:3]
	v_add_co_u32 v6, vcc_lo, s2, v2
	v_add_co_ci_u32_e64 v7, null, s3, v3, vcc_lo
	s_and_saveexec_b32 s1, s0
	s_cbranch_execz .LBB75_7
; %bb.4:
	v_cmp_gt_i32_e32 vcc_lo, s12, v0
	s_cmp_eq_u32 s12, 0
	v_mov_b32_e32 v2, 0
	s_cselect_b32 s2, -1, 0
	s_or_b32 s3, s2, vcc_lo
	s_and_saveexec_b32 s2, s3
	s_cbranch_execz .LBB75_6
; %bb.5:
	global_load_dword v2, v[6:7], off
.LBB75_6:
	s_or_b32 exec_lo, exec_lo, s2
	v_lshlrev_b32_e32 v3, 2, v0
	s_waitcnt vmcnt(0)
	ds_write_b32 v3, v2 offset:4544
.LBB75_7:
	s_or_b32 exec_lo, exec_lo, s1
	s_clause 0x1
	s_load_dwordx4 s[20:23], s[4:5], 0x10
	s_load_dword s14, s[4:5], 0x20
	v_lshl_add_u32 v14, v1, 6, v0
	v_and_b32_e32 v2, 31, v0
	s_mul_i32 s1, s9, s7
	s_mul_hi_u32 s3, s8, s7
	s_mul_i32 s2, s8, s7
	v_lshrrev_b32_e32 v5, 5, v14
	s_add_i32 s3, s3, s1
	v_lshlrev_b32_e32 v15, 2, v2
	s_lshl_b64 s[2:3], s[2:3], 2
	s_waitcnt lgkmcnt(0)
	s_add_u32 s1, s20, s2
	v_mad_u64_u32 v[3:4], null, s14, v5, v[2:3]
	s_addc_u32 s8, s21, s3
	s_lshl_b64 s[2:3], s[22:23], 2
	s_add_u32 s1, s1, s2
	s_addc_u32 s9, s8, s3
	s_ashr_i32 s19, s18, 31
	v_ashrrev_i32_e32 v4, 31, v3
	s_lshl_b64 s[2:3], s[18:19], 2
	s_mul_i32 s8, s14, s18
	s_add_u32 s10, s1, s2
	s_addc_u32 s13, s9, s3
	v_lshlrev_b64 v[8:9], 2, v[3:4]
	s_ashr_i32 s9, s8, 31
	v_cmp_gt_i32_e64 s1, s12, v2
	s_lshl_b64 s[2:3], s[8:9], 2
	s_cmp_eq_u32 s12, 0
	s_cselect_b32 s28, -1, 0
	v_add_co_u32 v3, vcc_lo, s10, v8
	v_add_co_ci_u32_e64 v4, null, s13, v9, vcc_lo
	s_cmp_lg_u32 s12, 0
	v_add_co_u32 v10, s2, v3, s2
	v_add_co_ci_u32_e64 v11, null, s3, v4, s2
	s_cselect_b32 s19, -1, 0
	s_and_b32 vcc_lo, exec_lo, s19
	s_cbranch_vccz .LBB75_17
; %bb.8:
	v_sub_co_u32 v3, vcc_lo, v10, v15
	s_ashr_i32 s13, s12, 31
	v_subrev_co_ci_u32_e64 v4, null, 0, v11, vcc_lo
	s_lshl_b64 s[2:3], s[12:13], 2
	v_mov_b32_e32 v16, 0
	v_add_co_u32 v3, vcc_lo, v3, s2
	v_add_co_ci_u32_e64 v4, null, s3, v4, vcc_lo
	v_mov_b32_e32 v13, 0
	v_add_co_u32 v3, vcc_lo, v3, -4
	v_add_co_ci_u32_e64 v4, null, -1, v4, vcc_lo
	s_mov_b32 s8, exec_lo
	v_cndmask_b32_e64 v3, v3, v10, s1
	v_cndmask_b32_e64 v4, v4, v11, s1
	v_cmpx_gt_i32_e64 s12, v5
	s_cbranch_execz .LBB75_10
; %bb.9:
	global_load_dword v13, v[3:4], off
.LBB75_10:
	s_or_b32 exec_lo, exec_lo, s8
	v_add_nc_u32_e32 v17, 8, v5
	v_mul_u32_u24_e32 v12, 0x84, v5
	v_mad_u32_u24 v19, 0x84, v5, v15
	s_mov_b32 s8, exec_lo
	s_waitcnt vmcnt(0)
	ds_write_b32 v19, v13
	v_cmpx_gt_i32_e64 s12, v17
	s_cbranch_execz .LBB75_12
; %bb.11:
	s_lshl_b32 s20, s14, 3
	s_ashr_i32 s21, s20, 31
	s_lshl_b64 s[20:21], s[20:21], 2
	v_add_co_u32 v16, vcc_lo, v3, s20
	v_add_co_ci_u32_e64 v17, null, s21, v4, vcc_lo
	global_load_dword v16, v[16:17], off
.LBB75_12:
	s_or_b32 exec_lo, exec_lo, s8
	v_add_nc_u32_e32 v17, 16, v5
	v_add_nc_u32_e32 v12, v12, v15
	v_mov_b32_e32 v13, 0
	v_cmp_gt_i32_e32 vcc_lo, s12, v17
	v_mov_b32_e32 v17, 0
	s_waitcnt vmcnt(0)
	ds_write_b32 v12, v16 offset:1056
	s_and_saveexec_b32 s8, vcc_lo
	s_cbranch_execz .LBB75_14
; %bb.13:
	s_lshl_b32 s20, s14, 4
	s_ashr_i32 s21, s20, 31
	s_lshl_b64 s[20:21], s[20:21], 2
	v_add_co_u32 v16, vcc_lo, v3, s20
	v_add_co_ci_u32_e64 v17, null, s21, v4, vcc_lo
	global_load_dword v17, v[16:17], off
.LBB75_14:
	s_or_b32 exec_lo, exec_lo, s8
	v_add_nc_u32_e32 v16, 24, v5
	s_mov_b32 s8, exec_lo
	s_waitcnt vmcnt(0)
	ds_write_b32 v12, v17 offset:2112
	v_cmpx_gt_i32_e64 s12, v16
	s_cbranch_execz .LBB75_16
; %bb.15:
	s_mul_i32 s20, s14, 24
	s_ashr_i32 s21, s20, 31
	s_lshl_b64 s[20:21], s[20:21], 2
	v_add_co_u32 v16, vcc_lo, v3, s20
	v_add_co_ci_u32_e64 v17, null, s21, v4, vcc_lo
	global_load_dword v13, v[16:17], off
.LBB75_16:
	s_or_b32 exec_lo, exec_lo, s8
	v_add_co_u32 v3, vcc_lo, v3, v15
	v_add_co_ci_u32_e64 v4, null, 0, v4, vcc_lo
	s_waitcnt vmcnt(0)
	ds_write_b32 v12, v13 offset:3168
	v_sub_co_u32 v3, vcc_lo, v3, s2
	v_subrev_co_ci_u32_e64 v4, null, s3, v4, vcc_lo
	v_add_co_u32 v3, vcc_lo, v3, 4
	v_add_co_ci_u32_e64 v4, null, 0, v4, vcc_lo
	v_cndmask_b32_e64 v3, v3, v10, s1
	v_cndmask_b32_e64 v4, v4, v11, s1
	v_mul_u32_u24_e32 v21, 0x84, v5
	s_branch .LBB75_19
.LBB75_17:
                                        ; implicit-def: $vgpr3_vgpr4
	v_mul_u32_u24_e32 v21, 0x84, v5
	s_cbranch_execz .LBB75_19
; %bb.18:
	s_lshl_b32 s2, s14, 3
	s_ashr_i32 s15, s14, 31
	s_ashr_i32 s3, s2, 31
	s_lshl_b64 s[2:3], s[2:3], 2
	v_add_co_u32 v3, vcc_lo, v10, s2
	v_add_co_ci_u32_e64 v4, null, s3, v11, vcc_lo
	s_lshl_b64 s[2:3], s[14:15], 5
	v_add_co_u32 v12, vcc_lo, v3, s2
	v_add_co_ci_u32_e64 v13, null, s3, v4, vcc_lo
	v_add_co_u32 v16, vcc_lo, v12, s2
	v_add_co_ci_u32_e64 v17, null, s3, v13, vcc_lo
	s_clause 0x3
	global_load_dword v19, v[10:11], off
	global_load_dword v20, v[3:4], off
	;; [unrolled: 1-line block ×4, first 2 shown]
	v_mov_b32_e32 v3, v10
	v_lshl_add_u32 v16, v2, 2, v21
	v_mov_b32_e32 v4, v11
	s_waitcnt vmcnt(3)
	ds_write_b32 v16, v19
	s_waitcnt vmcnt(2)
	ds_write_b32 v16, v20 offset:1056
	s_waitcnt vmcnt(1)
	ds_write_b32 v16, v12 offset:2112
	;; [unrolled: 2-line block ×3, first 2 shown]
.LBB75_19:
	v_lshlrev_b32_e32 v16, 2, v5
	v_lshl_or_b32 v10, v2, 7, v15
	s_waitcnt lgkmcnt(0)
	s_barrier
	buffer_gl0_inv
	v_cmp_gt_u32_e64 s2, v16, v2
	v_lshl_add_u32 v12, v16, 2, v10
	v_mad_u32_u24 v10, 0x210, v5, v15
	s_and_saveexec_b32 s1, s2
	s_cbranch_execz .LBB75_21
; %bb.20:
	ds_read_b32 v11, v10
	s_waitcnt lgkmcnt(0)
	ds_write_b32 v12, v11
.LBB75_21:
	s_or_b32 exec_lo, exec_lo, s1
	v_or_b32_e32 v23, 1, v16
	v_cmp_ge_u32_e64 s3, v16, v2
	v_mad_u32_u24 v11, 0x84, v23, v15
	s_and_saveexec_b32 s1, s3
	s_cbranch_execz .LBB75_23
; %bb.22:
	ds_read_b32 v13, v11
	s_waitcnt lgkmcnt(0)
	ds_write_b32 v12, v13 offset:4
.LBB75_23:
	s_or_b32 exec_lo, exec_lo, s1
	v_or_b32_e32 v13, 2, v16
	v_cmp_gt_u32_e64 s8, v13, v2
	s_and_saveexec_b32 s1, s8
	s_cbranch_execz .LBB75_25
; %bb.24:
	v_mad_u32_u24 v13, 0x84, v13, v15
	ds_read_b32 v13, v13
	s_waitcnt lgkmcnt(0)
	ds_write_b32 v12, v13 offset:8
.LBB75_25:
	s_or_b32 exec_lo, exec_lo, s1
	v_or_b32_e32 v17, 3, v16
	s_mov_b32 s1, exec_lo
	v_cmp_gt_u32_e64 s9, v17, v2
	v_mul_u32_u24_e32 v13, 0x84, v17
	v_cmpx_le_u32_e64 v17, v2
	s_xor_b32 s1, exec_lo, s1
; %bb.26:
	v_mul_u32_u24_e32 v13, 0x84, v17
                                        ; implicit-def: $vgpr17
                                        ; implicit-def: $vgpr12
; %bb.27:
	s_andn2_saveexec_b32 s1, s1
	s_cbranch_execz .LBB75_29
; %bb.28:
	v_mad_u32_u24 v17, 0x84, v17, v15
	ds_read_b32 v17, v17
	s_waitcnt lgkmcnt(0)
	ds_write_b32 v12, v17 offset:12
.LBB75_29:
	s_or_b32 exec_lo, exec_lo, s1
	v_lshlrev_b32_e32 v25, 2, v16
	s_waitcnt lgkmcnt(0)
	s_barrier
	buffer_gl0_inv
	ds_read_b32 v12, v10
	ds_read_b128 v[26:29], v25 offset:4544
	ds_read2_b32 v[10:11], v11 offset1:33
	v_add_nc_u32_e32 v20, v15, v13
	v_mul_u32_u24_e32 v17, 33, v2
	v_mov_b32_e32 v32, 0
	v_cmp_gt_u32_e64 s1, 32, v14
	ds_read_b32 v13, v20
	v_lshlrev_b32_e32 v17, 2, v17
	s_waitcnt lgkmcnt(0)
	s_barrier
	buffer_gl0_inv
	v_lshl_add_u32 v19, v5, 2, v17
	v_fma_f32 v12, v12, v26, 0
	v_fmac_f32_e32 v12, v10, v27
	v_fmac_f32_e32 v12, v11, v28
	v_fmac_f32_e32 v12, v13, v29
	ds_write_b32 v19, v12
	s_waitcnt lgkmcnt(0)
	s_barrier
	buffer_gl0_inv
	s_and_saveexec_b32 s10, s1
	s_cbranch_execz .LBB75_31
; %bb.30:
	ds_read2_b32 v[10:11], v17 offset1:1
	ds_read2_b32 v[12:13], v17 offset0:2 offset1:3
	ds_read2_b32 v[26:27], v17 offset0:4 offset1:5
	;; [unrolled: 1-line block ×3, first 2 shown]
	s_waitcnt lgkmcnt(3)
	v_add_f32_e32 v10, v10, v11
	s_waitcnt lgkmcnt(2)
	v_add_f32_e32 v10, v10, v12
	v_add_f32_e32 v10, v10, v13
	s_waitcnt lgkmcnt(1)
	v_add_f32_e32 v10, v10, v26
	;; [unrolled: 3-line block ×3, first 2 shown]
	v_add_f32_e32 v32, v10, v29
.LBB75_31:
	s_or_b32 exec_lo, exec_lo, s10
	s_lshl_b32 s22, s14, 5
	s_ashr_i32 s23, s22, 31
	s_barrier
	s_lshl_b64 s[20:21], s[22:23], 2
	buffer_gl0_inv
	v_add_co_u32 v12, vcc_lo, v3, s20
	v_add_co_ci_u32_e64 v13, null, s21, v4, vcc_lo
	v_add_co_u32 v10, vcc_lo, 0x80, v12
	v_add_co_ci_u32_e64 v11, null, 0, v13, vcc_lo
	s_and_b32 vcc_lo, exec_lo, s19
	s_cbranch_vccz .LBB75_41
; %bb.32:
	v_sub_co_u32 v3, vcc_lo, v12, v15
	s_ashr_i32 s13, s12, 31
	v_subrev_co_ci_u32_e64 v4, null, 0, v13, vcc_lo
	s_lshl_b64 s[24:25], s[12:13], 2
	v_or_b32_e32 v22, 32, v2
	v_add_co_u32 v3, vcc_lo, v3, s24
	v_add_co_ci_u32_e64 v4, null, s25, v4, vcc_lo
	v_mov_b32_e32 v26, 0
	v_add_co_u32 v3, vcc_lo, v3, -4
	v_add_co_ci_u32_e64 v4, null, -1, v4, vcc_lo
	v_cmp_gt_i32_e32 vcc_lo, s12, v22
	v_mov_b32_e32 v22, 0
	s_sub_i32 s13, s12, 32
	s_mov_b32 s15, exec_lo
	v_cndmask_b32_e32 v4, v4, v11, vcc_lo
	v_cndmask_b32_e32 v3, v3, v10, vcc_lo
	v_cmpx_gt_i32_e64 s13, v5
	s_cbranch_execz .LBB75_34
; %bb.33:
	global_load_dword v22, v[3:4], off
.LBB75_34:
	s_or_b32 exec_lo, exec_lo, s15
	v_add_nc_u32_e32 v24, 8, v5
	v_mad_u32_u24 v27, 0x84, v5, v15
	s_mov_b32 s15, exec_lo
	s_waitcnt vmcnt(0)
	ds_write_b32 v27, v22
	v_cmpx_gt_i32_e64 s13, v24
	s_cbranch_execz .LBB75_36
; %bb.35:
	s_lshl_b32 s30, s14, 3
	s_ashr_i32 s31, s30, 31
	s_lshl_b64 s[30:31], s[30:31], 2
	v_add_co_u32 v26, s10, v3, s30
	v_add_co_ci_u32_e64 v27, null, s31, v4, s10
	global_load_dword v26, v[26:27], off
.LBB75_36:
	s_or_b32 exec_lo, exec_lo, s15
	v_add_nc_u32_e32 v27, 16, v5
	v_add_nc_u32_e32 v22, v21, v15
	v_mov_b32_e32 v24, 0
	v_cmp_gt_i32_e64 s10, s13, v27
	v_mov_b32_e32 v27, 0
	s_waitcnt vmcnt(0)
	ds_write_b32 v22, v26 offset:1056
	s_and_saveexec_b32 s15, s10
	s_cbranch_execz .LBB75_38
; %bb.37:
	s_lshl_b32 s30, s14, 4
	s_ashr_i32 s31, s30, 31
	s_lshl_b64 s[30:31], s[30:31], 2
	v_add_co_u32 v26, s10, v3, s30
	v_add_co_ci_u32_e64 v27, null, s31, v4, s10
	global_load_dword v27, v[26:27], off
.LBB75_38:
	s_or_b32 exec_lo, exec_lo, s15
	v_add_nc_u32_e32 v26, 24, v5
	s_waitcnt vmcnt(0)
	ds_write_b32 v22, v27 offset:2112
	v_cmp_gt_i32_e64 s10, s13, v26
	s_and_saveexec_b32 s13, s10
	s_cbranch_execz .LBB75_40
; %bb.39:
	s_mul_i32 s30, s14, 24
	s_ashr_i32 s31, s30, 31
	s_lshl_b64 s[30:31], s[30:31], 2
	v_add_co_u32 v26, s10, v3, s30
	v_add_co_ci_u32_e64 v27, null, s31, v4, s10
	global_load_dword v24, v[26:27], off
.LBB75_40:
	s_or_b32 exec_lo, exec_lo, s13
	v_add_co_u32 v3, s10, v3, v15
	v_add_co_ci_u32_e64 v4, null, 0, v4, s10
	s_waitcnt vmcnt(0)
	ds_write_b32 v22, v24 offset:3168
	v_sub_co_u32 v3, s10, v3, s24
	v_subrev_co_ci_u32_e64 v4, null, s25, v4, s10
	v_add_co_u32 v3, s10, 0x84, v3
	v_add_co_ci_u32_e64 v4, null, 0, v4, s10
	v_cndmask_b32_e32 v3, v3, v10, vcc_lo
	v_cndmask_b32_e32 v4, v4, v11, vcc_lo
	v_mul_u32_u24_e32 v24, 0x210, v5
	v_mad_u32_u24 v22, 0x84, v5, v15
	s_branch .LBB75_43
.LBB75_41:
                                        ; implicit-def: $vgpr3_vgpr4
	v_mul_u32_u24_e32 v24, 0x210, v5
	v_mad_u32_u24 v22, 0x84, v5, v15
	s_cbranch_execz .LBB75_43
; %bb.42:
	s_lshl_b32 s24, s14, 3
	s_ashr_i32 s15, s14, 31
	s_ashr_i32 s25, s24, 31
	s_lshl_b64 s[24:25], s[24:25], 2
	v_add_co_u32 v3, vcc_lo, v12, s24
	v_add_co_ci_u32_e64 v4, null, s25, v13, vcc_lo
	s_lshl_b64 s[24:25], s[14:15], 5
	v_add_co_u32 v26, vcc_lo, v3, s24
	v_add_co_ci_u32_e64 v27, null, s25, v4, vcc_lo
	v_add_co_u32 v28, vcc_lo, v26, s24
	v_add_co_ci_u32_e64 v29, null, s25, v27, vcc_lo
	s_clause 0x3
	global_load_dword v12, v[12:13], off offset:128
	global_load_dword v13, v[3:4], off offset:128
	;; [unrolled: 1-line block ×4, first 2 shown]
	v_mov_b32_e32 v3, v10
	v_mov_b32_e32 v4, v11
	s_waitcnt vmcnt(3)
	ds_write_b32 v22, v12
	s_waitcnt vmcnt(2)
	ds_write_b32 v22, v13 offset:1056
	s_waitcnt vmcnt(1)
	ds_write_b32 v22, v26 offset:2112
	s_waitcnt vmcnt(0)
	ds_write_b32 v22, v27 offset:3168
.LBB75_43:
	v_mul_u32_u24_e32 v11, 0x84, v23
	v_add_nc_u32_e32 v23, v15, v24
	v_lshl_add_u32 v10, v16, 2, v17
	s_waitcnt lgkmcnt(0)
	s_barrier
	buffer_gl0_inv
	s_and_saveexec_b32 s10, s2
	s_cbranch_execnz .LBB75_60
; %bb.44:
	s_or_b32 exec_lo, exec_lo, s10
	v_add_nc_u32_e32 v24, v15, v11
	s_and_saveexec_b32 s2, s3
	s_cbranch_execnz .LBB75_61
.LBB75_45:
	s_or_b32 exec_lo, exec_lo, s2
	s_and_saveexec_b32 s2, s8
	s_cbranch_execnz .LBB75_62
.LBB75_46:
	s_or_b32 exec_lo, exec_lo, s2
	v_add_nc_u32_e32 v25, 0x11c0, v25
	s_and_saveexec_b32 s2, s9
	s_cbranch_execz .LBB75_48
.LBB75_47:
	ds_read_b32 v11, v20
	s_waitcnt lgkmcnt(0)
	ds_write_b32 v10, v11 offset:12
.LBB75_48:
	s_or_b32 exec_lo, exec_lo, s2
	s_waitcnt lgkmcnt(0)
	s_barrier
	buffer_gl0_inv
	ds_read_b32 v28, v23
	ds_read_b128 v[10:13], v25 offset:128
	ds_read2_b32 v[26:27], v24 offset1:33
	ds_read_b32 v29, v20
	v_cmp_eq_u32_e64 s2, 1, v5
	s_waitcnt lgkmcnt(0)
	s_barrier
	buffer_gl0_inv
	v_fma_f32 v10, v28, v10, 0
	v_fmac_f32_e32 v10, v26, v11
	v_fmac_f32_e32 v10, v27, v12
	;; [unrolled: 1-line block ×3, first 2 shown]
	ds_write_b32 v19, v10
	s_waitcnt lgkmcnt(0)
	s_barrier
	buffer_gl0_inv
	s_and_saveexec_b32 s3, s2
	s_cbranch_execz .LBB75_50
; %bb.49:
	ds_read2_b32 v[10:11], v17 offset1:1
	ds_read2_b32 v[12:13], v17 offset0:2 offset1:3
	ds_read2_b32 v[26:27], v17 offset0:4 offset1:5
	;; [unrolled: 1-line block ×3, first 2 shown]
	s_waitcnt lgkmcnt(3)
	v_add_f32_e32 v10, v10, v11
	s_waitcnt lgkmcnt(2)
	v_add_f32_e32 v10, v10, v12
	v_add_f32_e32 v10, v10, v13
	s_waitcnt lgkmcnt(1)
	v_add_f32_e32 v10, v10, v26
	v_add_f32_e32 v10, v10, v27
	s_waitcnt lgkmcnt(0)
	v_add_f32_e32 v10, v10, v28
	v_add_f32_e32 v32, v10, v29
.LBB75_50:
	s_or_b32 exec_lo, exec_lo, s3
	v_add_co_u32 v12, vcc_lo, 0xffffff80, v3
	v_add_co_ci_u32_e64 v13, null, -1, v4, vcc_lo
	s_and_b32 vcc_lo, exec_lo, s19
	s_barrier
	buffer_gl0_inv
	s_cbranch_vccz .LBB75_63
; %bb.51:
	v_sub_co_u32 v10, vcc_lo, v3, v15
	s_ashr_i32 s13, s12, 31
	v_subrev_co_ci_u32_e64 v11, null, 0, v4, vcc_lo
	s_lshl_b64 s[8:9], s[12:13], 2
	v_mov_b32_e32 v29, 0
	v_add_co_u32 v10, vcc_lo, v10, s8
	v_add_co_ci_u32_e64 v11, null, s9, v11, vcc_lo
	v_mov_b32_e32 v26, 0
	v_add_co_u32 v10, vcc_lo, 0xffffff7c, v10
	v_add_co_ci_u32_e64 v11, null, -1, v11, vcc_lo
	v_cmp_gt_i32_e32 vcc_lo, s12, v2
	s_sub_i32 s10, s12, 32
	s_mov_b32 s13, exec_lo
	v_cndmask_b32_e32 v11, v11, v13, vcc_lo
	v_cndmask_b32_e32 v10, v10, v12, vcc_lo
	v_cmpx_gt_i32_e64 s10, v5
	s_cbranch_execz .LBB75_53
; %bb.52:
	global_load_dword v26, v[10:11], off
.LBB75_53:
	s_or_b32 exec_lo, exec_lo, s13
	v_add_nc_u32_e32 v2, 8, v5
	s_mov_b32 s13, exec_lo
	s_waitcnt vmcnt(0)
	ds_write_b32 v22, v26
	v_cmpx_gt_i32_e64 s10, v2
	s_cbranch_execz .LBB75_55
; %bb.54:
	s_lshl_b32 s24, s14, 3
	s_ashr_i32 s25, s24, 31
	s_lshl_b64 s[24:25], s[24:25], 2
	v_add_co_u32 v26, s3, v10, s24
	v_add_co_ci_u32_e64 v27, null, s25, v11, s3
	global_load_dword v29, v[26:27], off
.LBB75_55:
	s_or_b32 exec_lo, exec_lo, s13
	v_add_nc_u32_e32 v26, 16, v5
	v_add_nc_u32_e32 v27, v21, v15
	v_mov_b32_e32 v28, 0
	v_mov_b32_e32 v30, 0
	s_mov_b32 s13, exec_lo
	s_waitcnt vmcnt(0)
	ds_write_b32 v27, v29 offset:1056
	v_cmpx_gt_i32_e64 s10, v26
	s_cbranch_execz .LBB75_57
; %bb.56:
	s_lshl_b32 s24, s14, 4
	s_ashr_i32 s25, s24, 31
	s_lshl_b64 s[24:25], s[24:25], 2
	v_add_co_u32 v29, s3, v10, s24
	v_add_co_ci_u32_e64 v30, null, s25, v11, s3
	global_load_dword v30, v[29:30], off
.LBB75_57:
	s_or_b32 exec_lo, exec_lo, s13
	v_add_nc_u32_e32 v21, 24, v5
	s_waitcnt vmcnt(0)
	ds_write_b32 v27, v30 offset:2112
	v_cmp_gt_i32_e64 s3, s10, v21
	s_and_saveexec_b32 s10, s3
	s_cbranch_execz .LBB75_59
; %bb.58:
	s_mul_i32 s24, s14, 24
	s_ashr_i32 s25, s24, 31
	s_lshl_b64 s[24:25], s[24:25], 2
	v_add_co_u32 v28, s3, v10, s24
	v_add_co_ci_u32_e64 v29, null, s25, v11, s3
	global_load_dword v28, v[28:29], off
.LBB75_59:
	s_or_b32 exec_lo, exec_lo, s10
	v_add_co_u32 v10, s3, v10, v15
	v_add_co_ci_u32_e64 v11, null, 0, v11, s3
	s_waitcnt vmcnt(0)
	ds_write_b32 v27, v28 offset:3168
	v_sub_co_u32 v10, s3, v10, s8
	v_subrev_co_ci_u32_e64 v11, null, s9, v11, s3
	v_add_co_u32 v10, s3, v10, 4
	v_add_co_ci_u32_e64 v11, null, 0, v11, s3
	v_cndmask_b32_e32 v10, v10, v12, vcc_lo
	v_cndmask_b32_e32 v11, v11, v13, vcc_lo
	s_branch .LBB75_65
.LBB75_60:
	ds_read_b32 v12, v23
	s_waitcnt lgkmcnt(0)
	ds_write_b32 v10, v12
	s_or_b32 exec_lo, exec_lo, s10
	v_add_nc_u32_e32 v24, v15, v11
	s_and_saveexec_b32 s2, s3
	s_cbranch_execz .LBB75_45
.LBB75_61:
	ds_read_b32 v11, v24
	s_waitcnt lgkmcnt(0)
	ds_write_b32 v10, v11 offset:4
	s_or_b32 exec_lo, exec_lo, s2
	s_and_saveexec_b32 s2, s8
	s_cbranch_execz .LBB75_46
.LBB75_62:
	ds_read_b32 v11, v24 offset:132
	s_waitcnt lgkmcnt(0)
	ds_write_b32 v10, v11 offset:8
	s_or_b32 exec_lo, exec_lo, s2
	v_add_nc_u32_e32 v25, 0x11c0, v25
	s_and_saveexec_b32 s2, s9
	s_cbranch_execnz .LBB75_47
	s_branch .LBB75_48
.LBB75_63:
                                        ; implicit-def: $vgpr10_vgpr11
                                        ; implicit-def: $vgpr2
                                        ; implicit-def: $vgpr26
                                        ; implicit-def: $vgpr21
	s_cbranch_execz .LBB75_65
; %bb.64:
	s_lshl_b32 s8, s14, 3
	s_ashr_i32 s15, s14, 31
	s_ashr_i32 s9, s8, 31
	v_add_nc_u32_e32 v2, 8, v5
	s_lshl_b64 s[8:9], s[8:9], 2
	v_add_nc_u32_e32 v21, 24, v5
	v_add_co_u32 v10, vcc_lo, v3, s8
	v_add_co_ci_u32_e64 v11, null, s9, v4, vcc_lo
	s_lshl_b64 s[8:9], s[14:15], 5
	v_add_co_u32 v26, vcc_lo, v10, s8
	v_add_co_ci_u32_e64 v27, null, s9, v11, vcc_lo
	v_add_co_u32 v28, vcc_lo, v26, s8
	v_add_co_ci_u32_e64 v29, null, s9, v27, vcc_lo
	s_clause 0x3
	global_load_dword v3, v[3:4], off offset:-128
	global_load_dword v4, v[10:11], off offset:-128
	;; [unrolled: 1-line block ×4, first 2 shown]
	v_mov_b32_e32 v10, v12
	v_add_nc_u32_e32 v26, 16, v5
	v_mov_b32_e32 v11, v13
	s_waitcnt vmcnt(3)
	ds_write_b32 v22, v3
	s_waitcnt vmcnt(2)
	ds_write_b32 v22, v4 offset:1056
	s_waitcnt vmcnt(1)
	ds_write_b32 v22, v15 offset:2112
	;; [unrolled: 2-line block ×3, first 2 shown]
.LBB75_65:
	v_lshlrev_b32_e32 v2, 2, v2
	v_add_nc_u32_e32 v3, v17, v16
	v_lshlrev_b32_e32 v5, 2, v26
	v_lshlrev_b32_e32 v12, 2, v21
	s_waitcnt lgkmcnt(0)
	v_add_nc_u32_e32 v4, v17, v2
	s_barrier
	buffer_gl0_inv
	ds_read_b32 v13, v16 offset:4544
	ds_read_b32 v21, v3
	ds_read_b32 v22, v4
	ds_read_b32 v15, v23
	ds_read_b32 v23, v12 offset:4544
	ds_read_b32 v26, v5 offset:4544
	;; [unrolled: 1-line block ×3, first 2 shown]
	v_add_nc_u32_e32 v2, v17, v5
	v_add_nc_u32_e32 v3, v17, v12
	ds_read_b32 v28, v2
	ds_read_b32 v29, v3
	ds_read_b128 v[2:5], v25 offset:128
	ds_read_b32 v16, v20
	s_waitcnt lgkmcnt(9)
	v_fma_f32 v20, v21, v13, 0
	ds_read2_b32 v[12:13], v24 offset1:33
	s_waitcnt lgkmcnt(0)
	s_barrier
	buffer_gl0_inv
	v_fmac_f32_e32 v20, v22, v27
	v_fmac_f32_e32 v20, v28, v26
	;; [unrolled: 1-line block ×3, first 2 shown]
	ds_write_b32 v19, v20
	s_waitcnt lgkmcnt(0)
	s_barrier
	buffer_gl0_inv
	s_and_saveexec_b32 s3, s2
	s_cbranch_execz .LBB75_67
; %bb.66:
	ds_read2_b32 v[20:21], v17 offset1:1
	ds_read2_b32 v[22:23], v17 offset0:2 offset1:3
	ds_read2_b32 v[24:25], v17 offset0:4 offset1:5
	;; [unrolled: 1-line block ×3, first 2 shown]
	s_waitcnt lgkmcnt(3)
	v_add_f32_e32 v20, v32, v20
	v_add_f32_e32 v20, v20, v21
	s_waitcnt lgkmcnt(2)
	v_add_f32_e32 v20, v20, v22
	v_add_f32_e32 v20, v20, v23
	;; [unrolled: 3-line block ×4, first 2 shown]
.LBB75_67:
	s_or_b32 exec_lo, exec_lo, s3
	v_fma_f32 v2, v15, v2, 0
	s_barrier
	buffer_gl0_inv
	v_fmac_f32_e32 v2, v12, v3
	v_fmac_f32_e32 v2, v13, v4
	;; [unrolled: 1-line block ×3, first 2 shown]
	ds_write_b32 v19, v2
	s_waitcnt lgkmcnt(0)
	s_barrier
	buffer_gl0_inv
	s_and_saveexec_b32 s2, s1
	s_cbranch_execz .LBB75_69
; %bb.68:
	ds_read2_b32 v[2:3], v17 offset1:1
	ds_read2_b32 v[4:5], v17 offset0:2 offset1:3
	ds_read2_b32 v[12:13], v17 offset0:4 offset1:5
	;; [unrolled: 1-line block ×3, first 2 shown]
	s_waitcnt lgkmcnt(3)
	v_add_f32_e32 v2, v32, v2
	v_add_f32_e32 v2, v2, v3
	s_waitcnt lgkmcnt(2)
	v_add_f32_e32 v2, v2, v4
	v_add_f32_e32 v2, v2, v5
	;; [unrolled: 3-line block ×4, first 2 shown]
.LBB75_69:
	s_or_b32 exec_lo, exec_lo, s2
	s_load_dwordx2 s[2:3], s[4:5], 0x60
	s_mul_hi_u32 s1, s16, s7
	s_mul_i32 s11, s11, s7
	s_mul_i32 s4, s16, s7
	s_add_i32 s1, s1, s11
	s_mul_hi_u32 s5, s4, s26
	s_mul_i32 s1, s1, s26
	s_mul_i32 s4, s4, s26
	s_add_i32 s5, s5, s1
	s_mul_hi_i32 s9, s16, s6
	s_lshl_b64 s[4:5], s[4:5], 2
	s_mul_i32 s8, s16, s6
	v_lshlrev_b32_e32 v33, 2, v0
	s_waitcnt lgkmcnt(0)
	s_barrier
	buffer_gl0_inv
	s_add_u32 s1, s2, s4
	s_addc_u32 s4, s3, s5
	s_lshl_b64 s[2:3], s[8:9], 2
	s_add_u32 s7, s1, s2
	s_addc_u32 s13, s4, s3
	s_add_i32 s1, s6, 1
	s_cmp_ge_u32 s1, s26
	s_cbranch_scc1 .LBB75_126
; %bb.70:
	v_lshlrev_b32_e32 v34, 2, v1
	s_mul_i32 s2, s17, s18
	s_lshl_b32 s30, s17, 6
	s_ashr_i32 s3, s2, 31
	s_ashr_i32 s15, s14, 31
	v_mad_u64_u32 v[2:3], null, s14, v34, v[0:1]
	s_lshl_b64 s[2:3], s[2:3], 2
	s_mul_i32 s17, s17, s1
	v_sub_co_u32 v35, vcc_lo, v6, s2
	v_subrev_co_ci_u32_e64 v36, null, s3, v7, vcc_lo
	v_ashrrev_i32_e32 v3, 31, v2
	v_add_co_u32 v37, vcc_lo, v10, s20
	v_add_co_ci_u32_e64 v38, null, s21, v11, vcc_lo
	v_sub_co_u32 v39, vcc_lo, 0, v8
	v_lshlrev_b64 v[4:5], 2, v[2:3]
	v_sub_co_ci_u32_e64 v40, null, 0, v9, vcc_lo
	v_add_co_u32 v6, vcc_lo, s22, v2
	v_add_co_ci_u32_e64 v7, null, s23, v3, vcc_lo
	v_sub_co_u32 v41, vcc_lo, v4, v8
	v_sub_co_ci_u32_e64 v42, null, v5, v9, vcc_lo
	v_lshlrev_b64 v[4:5], 2, v[6:7]
	s_lshl_b32 s2, s14, 4
	s_lshl_b32 s18, s14, 1
	s_ashr_i32 s3, s2, 31
	s_mul_i32 s24, s14, 3
	s_mul_i32 s33, s14, 12
	s_lshl_b32 s4, s17, 6
	s_lshl_b64 s[16:17], s[14:15], 3
	s_add_i32 s29, s26, -2
	s_ashr_i32 s19, s18, 31
	s_ashr_i32 s25, s24, 31
	s_lshl_b64 s[10:11], s[14:15], 2
	s_lshl_b64 s[8:9], s[2:3], 4
	s_mul_hi_i32 s31, s14, 12
	v_add_co_u32 v6, vcc_lo, s33, v4
	s_add_u32 s1, s16, s20
	v_add_co_ci_u32_e64 v7, null, s31, v5, vcc_lo
	s_addc_u32 s5, s17, s21
	v_add_co_u32 v43, vcc_lo, v10, s1
	s_add_u32 s36, s10, s20
	v_add_co_ci_u32_e64 v44, null, s5, v11, vcc_lo
	v_add_co_u32 v45, vcc_lo, v10, v6
	s_addc_u32 s37, s11, s21
	s_lshl_b64 s[18:19], s[18:19], 2
	v_add_co_ci_u32_e64 v46, null, v11, v7, vcc_lo
	v_add_co_u32 v47, vcc_lo, v10, s36
	s_add_u32 s34, s20, s18
	s_addc_u32 s35, s21, s19
	s_lshl_b64 s[24:25], s[24:25], 2
	v_add_co_ci_u32_e64 v48, null, s37, v11, vcc_lo
	v_add_co_u32 v49, vcc_lo, v10, s34
	s_add_u32 s38, s20, s24
	v_add_co_ci_u32_e64 v50, null, s35, v11, vcc_lo
	s_addc_u32 s39, s21, s25
	s_lshl_b64 s[34:35], s[2:3], 2
	v_add_co_u32 v51, vcc_lo, v10, s38
	s_add_u32 s38, s20, s34
	v_add_co_ci_u32_e64 v52, null, s39, v11, vcc_lo
	s_addc_u32 s39, s21, s35
	v_add_co_u32 v53, vcc_lo, v10, s38
	s_add_u32 s36, s36, s34
	s_addc_u32 s37, s37, s35
	v_add_co_ci_u32_e64 v54, null, s39, v11, vcc_lo
	v_add_co_u32 v55, vcc_lo, v10, s36
	s_add_u32 s36, s38, s18
	v_add_co_ci_u32_e64 v56, null, s37, v11, vcc_lo
	s_addc_u32 s37, s39, s19
	v_add_co_u32 v57, vcc_lo, v10, s36
	s_add_u32 s36, s38, s24
	v_add_co_ci_u32_e64 v58, null, s37, v11, vcc_lo
	s_addc_u32 s37, s39, s25
	s_add_u32 s34, s1, s34
	s_addc_u32 s35, s5, s35
	s_add_u32 s22, s22, s2
	s_addc_u32 s23, s23, s3
	v_add_co_u32 v2, vcc_lo, s22, v2
	v_add_co_ci_u32_e64 v3, null, s23, v3, vcc_lo
	v_add_co_u32 v59, vcc_lo, v10, s36
	v_add_co_ci_u32_e64 v60, null, s37, v11, vcc_lo
	v_lshlrev_b64 v[2:3], 2, v[2:3]
	v_add_co_u32 v61, vcc_lo, v10, s34
	v_add_co_ci_u32_e64 v62, null, s35, v11, vcc_lo
	s_lshl_b64 s[22:23], s[2:3], 3
	v_add_co_u32 v2, vcc_lo, s33, v2
	v_add_co_ci_u32_e64 v3, null, s31, v3, vcc_lo
	s_add_u32 s20, s22, s20
	s_addc_u32 s21, s23, s21
	s_add_u32 s34, s20, s10
	v_add_co_u32 v63, vcc_lo, v10, v2
	s_addc_u32 s35, s21, s11
	s_add_u32 s36, s20, s18
	v_add_co_ci_u32_e64 v64, null, v11, v3, vcc_lo
	v_add_co_u32 v65, vcc_lo, v10, s20
	s_addc_u32 s37, s21, s19
	s_add_u32 s20, s20, s24
	v_mad_i64_i32 v[2:3], null, s2, 12, v[4:5]
	v_add_co_ci_u32_e64 v66, null, s21, v11, vcc_lo
	s_addc_u32 s21, s21, s25
	s_add_u32 s1, s1, s22
	s_addc_u32 s5, s5, s23
	s_add_u32 s22, s33, s22
	s_addc_u32 s23, s31, s23
	v_add_co_u32 v8, vcc_lo, s22, v4
	v_add_co_ci_u32_e64 v9, null, s23, v5, vcc_lo
	v_add_co_u32 v67, vcc_lo, v10, v2
	s_mul_i32 s22, s14, 0xc0
	s_mul_hi_i32 s23, s2, 12
	v_add_co_ci_u32_e64 v68, null, v11, v3, vcc_lo
	v_add_co_u32 v12, vcc_lo, v2, s10
	s_add_u32 s10, s22, s16
	v_add_co_ci_u32_e64 v13, null, s11, v3, vcc_lo
	s_addc_u32 s11, s23, s17
	s_add_u32 s2, s14, s2
	v_add_co_u32 v15, vcc_lo, v2, s18
	v_mad_u64_u32 v[6:7], null, s2, 12, v[4:5]
	v_add_co_ci_u32_e64 v16, null, s19, v3, vcc_lo
	v_add_co_u32 v17, vcc_lo, v2, s24
	s_addc_u32 s2, s15, s3
	v_add_co_ci_u32_e64 v19, null, s25, v3, vcc_lo
	v_mov_b32_e32 v2, v7
	v_add_co_u32 v4, vcc_lo, s10, v4
	v_add_co_ci_u32_e64 v5, null, s11, v5, vcc_lo
	v_mad_u64_u32 v[2:3], null, s2, 12, v[2:3]
	v_add_co_u32 v69, vcc_lo, v10, s34
	v_add_co_ci_u32_e64 v70, null, s35, v11, vcc_lo
	v_add_co_u32 v71, vcc_lo, v10, v6
	v_add_co_ci_u32_e64 v72, null, v11, v2, vcc_lo
	;; [unrolled: 2-line block ×7, first 2 shown]
	v_add_co_u32 v83, vcc_lo, v10, v4
	v_lshrrev_b32_e32 v2, 2, v14
	v_and_b32_e32 v3, 48, v0
	v_and_b32_e32 v4, 15, v0
	v_add_co_ci_u32_e64 v84, null, v11, v5, vcc_lo
	v_and_b32_e32 v2, 0x1ffc, v2
	v_lshlrev_b32_e32 v3, 2, v3
	v_or_b32_e32 v5, 60, v33
	v_mul_u32_u24_e32 v6, 0x10c, v4
	v_and_b32_e32 v7, 0x7ff0, v14
	v_add_co_u32 v85, vcc_lo, v10, s20
	v_add_co_ci_u32_e64 v86, null, s21, v11, vcc_lo
	v_add_co_u32 v87, vcc_lo, v10, s1
	v_add_co_ci_u32_e64 v88, null, s5, v11, vcc_lo
	v_mad_u32_u24 v89, 0x10c, v4, v2
	v_mad_u32_u24 v90, 0x10c, v4, v3
	;; [unrolled: 1-line block ×3, first 2 shown]
	v_cmp_gt_u32_e64 s1, 64, v14
	v_add_nc_u32_e32 v92, v6, v7
	v_lshl_add_u32 v93, v1, 4, 0x10c0
	v_add_nc_u32_e32 v94, 0x11c0, v33
	v_mad_u32_u24 v95, 0x430, v1, v33
	v_add_nc_u32_e32 v96, 17, v34
	v_add_nc_u32_e32 v97, 18, v34
	;; [unrolled: 1-line block ×12, first 2 shown]
	s_cmp_eq_u32 s29, s6
	s_cselect_b32 s3, s27, 0
	s_and_saveexec_b32 s2, s0
	s_cbranch_execz .LBB75_74
.LBB75_71:
	v_cmp_gt_i32_e32 vcc_lo, s3, v0
	s_cmp_eq_u32 s3, 0
	v_mov_b32_e32 v2, 0
	s_cselect_b32 s5, -1, 0
	s_or_b32 s5, s5, vcc_lo
	s_and_saveexec_b32 s10, s5
	s_cbranch_execz .LBB75_73
; %bb.72:
	s_ashr_i32 s5, s4, 31
	s_lshl_b64 s[14:15], s[4:5], 2
	v_add_co_u32 v2, vcc_lo, v35, s14
	v_add_co_ci_u32_e64 v3, null, s15, v36, vcc_lo
	global_load_dword v2, v[2:3], off
.LBB75_73:
	s_or_b32 exec_lo, exec_lo, s10
	v_add_nc_u32_e32 v3, 0x10c0, v33
	s_waitcnt vmcnt(0)
	ds_write_b32 v3, v2
.LBB75_74:                              ; =>This Inner Loop Header: Depth=1
	s_or_b32 exec_lo, exec_lo, s2
	s_cmp_eq_u32 s3, 0
	v_add_co_u32 v2, vcc_lo, v37, v41
	s_cselect_b32 s5, -1, 0
	s_cmp_lg_u32 s3, 0
	v_add_co_ci_u32_e64 v3, null, v38, v42, vcc_lo
	s_cselect_b32 s2, -1, 0
	s_mov_b32 s10, -1
	s_and_b32 vcc_lo, exec_lo, s2
	s_waitcnt lgkmcnt(0)
	s_barrier
	buffer_gl0_inv
                                        ; implicit-def: $vgpr108
                                        ; implicit-def: $vgpr109
                                        ; implicit-def: $vgpr107
                                        ; implicit-def: $vgpr110
	s_cbranch_vccz .LBB75_84
; %bb.75:                               ;   in Loop: Header=BB75_74 Depth=1
	v_mov_b32_e32 v107, 0
	v_mov_b32_e32 v110, 0
	s_mov_b32 s10, exec_lo
	v_cmpx_gt_i32_e64 s3, v34
	s_cbranch_execz .LBB75_77
; %bb.76:                               ;   in Loop: Header=BB75_74 Depth=1
	global_load_dword v110, v[2:3], off
.LBB75_77:                              ;   in Loop: Header=BB75_74 Depth=1
	s_or_b32 exec_lo, exec_lo, s10
	v_or_b32_e32 v4, 1, v34
	s_mov_b32 s10, exec_lo
	v_cmpx_gt_i32_e64 s3, v4
	s_cbranch_execz .LBB75_79
; %bb.78:                               ;   in Loop: Header=BB75_74 Depth=1
	v_add_co_u32 v4, vcc_lo, v47, v41
	v_add_co_ci_u32_e64 v5, null, v48, v42, vcc_lo
	global_load_dword v107, v[4:5], off
.LBB75_79:                              ;   in Loop: Header=BB75_74 Depth=1
	s_or_b32 exec_lo, exec_lo, s10
	v_or_b32_e32 v4, 2, v34
	v_mov_b32_e32 v108, 0
	v_mov_b32_e32 v109, 0
	s_mov_b32 s10, exec_lo
	v_cmpx_gt_i32_e64 s3, v4
	s_cbranch_execz .LBB75_81
; %bb.80:                               ;   in Loop: Header=BB75_74 Depth=1
	v_add_co_u32 v4, vcc_lo, v49, v41
	v_add_co_ci_u32_e64 v5, null, v50, v42, vcc_lo
	global_load_dword v109, v[4:5], off
.LBB75_81:                              ;   in Loop: Header=BB75_74 Depth=1
	s_or_b32 exec_lo, exec_lo, s10
	v_or_b32_e32 v4, 3, v34
	s_mov_b32 s10, exec_lo
	v_cmpx_gt_i32_e64 s3, v4
	s_cbranch_execz .LBB75_83
; %bb.82:                               ;   in Loop: Header=BB75_74 Depth=1
	v_add_co_u32 v4, vcc_lo, v51, v41
	v_add_co_ci_u32_e64 v5, null, v52, v42, vcc_lo
	global_load_dword v108, v[4:5], off
.LBB75_83:                              ;   in Loop: Header=BB75_74 Depth=1
	s_or_b32 exec_lo, exec_lo, s10
	s_mov_b32 s10, 0
.LBB75_84:                              ;   in Loop: Header=BB75_74 Depth=1
	s_and_b32 vcc_lo, exec_lo, s10
	s_cbranch_vccz .LBB75_86
; %bb.85:                               ;   in Loop: Header=BB75_74 Depth=1
	v_add_co_u32 v4, vcc_lo, v47, v41
	v_add_co_ci_u32_e64 v5, null, v48, v42, vcc_lo
	v_add_co_u32 v6, vcc_lo, v43, v41
	v_add_co_ci_u32_e64 v7, null, v44, v42, vcc_lo
	;; [unrolled: 2-line block ×3, first 2 shown]
	global_load_dword v110, v[2:3], off
	global_load_dword v107, v[4:5], off
	;; [unrolled: 1-line block ×4, first 2 shown]
.LBB75_86:                              ;   in Loop: Header=BB75_74 Depth=1
	ds_read_b32 v6, v94
	ds_read_b128 v[2:5], v93
	v_cndmask_b32_e64 v14, 0, 1, s2
                                        ; implicit-def: $vgpr113
                                        ; implicit-def: $vgpr114
                                        ; implicit-def: $vgpr111
                                        ; implicit-def: $vgpr112
	s_waitcnt vmcnt(0) lgkmcnt(1)
	v_mul_f32_e32 v7, v110, v6
	v_mul_f32_e32 v8, v107, v6
	v_mul_f32_e32 v9, v109, v6
	v_mul_f32_e32 v6, v108, v6
	ds_write2_b32 v95, v7, v8 offset1:67
	ds_write2_b32 v95, v9, v6 offset0:134 offset1:201
	s_waitcnt lgkmcnt(0)
	s_barrier
	buffer_gl0_inv
	ds_read2_b32 v[22:23], v92 offset1:1
	ds_read2_b32 v[20:21], v92 offset0:2 offset1:3
	v_add_co_u32 v6, vcc_lo, v53, v41
	v_add_co_ci_u32_e64 v7, null, v54, v42, vcc_lo
	s_andn2_b32 vcc_lo, exec_lo, s2
	s_mov_b32 s2, -1
	s_waitcnt lgkmcnt(0)
	s_barrier
	buffer_gl0_inv
	s_cbranch_vccnz .LBB75_96
; %bb.87:                               ;   in Loop: Header=BB75_74 Depth=1
	v_add_nc_u32_e32 v8, 16, v34
	v_mov_b32_e32 v111, 0
	v_mov_b32_e32 v112, 0
	s_mov_b32 s2, exec_lo
	v_cmpx_gt_i32_e64 s3, v8
	s_cbranch_execz .LBB75_89
; %bb.88:                               ;   in Loop: Header=BB75_74 Depth=1
	global_load_dword v112, v[6:7], off
.LBB75_89:                              ;   in Loop: Header=BB75_74 Depth=1
	s_or_b32 exec_lo, exec_lo, s2
	s_mov_b32 s2, exec_lo
	v_cmpx_gt_i32_e64 s3, v96
	s_cbranch_execz .LBB75_91
; %bb.90:                               ;   in Loop: Header=BB75_74 Depth=1
	v_add_co_u32 v8, vcc_lo, v55, v41
	v_add_co_ci_u32_e64 v9, null, v56, v42, vcc_lo
	global_load_dword v111, v[8:9], off
.LBB75_91:                              ;   in Loop: Header=BB75_74 Depth=1
	s_or_b32 exec_lo, exec_lo, s2
	v_mov_b32_e32 v113, 0
	v_mov_b32_e32 v114, 0
	s_mov_b32 s2, exec_lo
	v_cmpx_gt_i32_e64 s3, v97
	s_cbranch_execz .LBB75_93
; %bb.92:                               ;   in Loop: Header=BB75_74 Depth=1
	v_add_co_u32 v8, vcc_lo, v57, v41
	v_add_co_ci_u32_e64 v9, null, v58, v42, vcc_lo
	global_load_dword v114, v[8:9], off
.LBB75_93:                              ;   in Loop: Header=BB75_74 Depth=1
	s_or_b32 exec_lo, exec_lo, s2
	s_mov_b32 s2, exec_lo
	v_cmpx_gt_i32_e64 s3, v98
	s_cbranch_execz .LBB75_95
; %bb.94:                               ;   in Loop: Header=BB75_74 Depth=1
	v_add_co_u32 v8, vcc_lo, v59, v41
	v_add_co_ci_u32_e64 v9, null, v60, v42, vcc_lo
	global_load_dword v113, v[8:9], off
.LBB75_95:                              ;   in Loop: Header=BB75_74 Depth=1
	s_or_b32 exec_lo, exec_lo, s2
	s_mov_b32 s2, 0
.LBB75_96:                              ;   in Loop: Header=BB75_74 Depth=1
	s_and_b32 vcc_lo, exec_lo, s2
	s_cbranch_vccz .LBB75_98
; %bb.97:                               ;   in Loop: Header=BB75_74 Depth=1
	v_add_co_u32 v8, vcc_lo, v55, v41
	v_add_co_ci_u32_e64 v9, null, v56, v42, vcc_lo
	v_add_co_u32 v10, vcc_lo, v61, v41
	v_add_co_ci_u32_e64 v11, null, v62, v42, vcc_lo
	;; [unrolled: 2-line block ×3, first 2 shown]
	global_load_dword v112, v[6:7], off
	global_load_dword v111, v[8:9], off
	;; [unrolled: 1-line block ×4, first 2 shown]
.LBB75_98:                              ;   in Loop: Header=BB75_74 Depth=1
	ds_read_b32 v10, v94
	ds_read_b128 v[6:9], v93 offset:64
	v_cmp_ne_u32_e32 vcc_lo, 1, v14
                                        ; implicit-def: $vgpr117
                                        ; implicit-def: $vgpr118
                                        ; implicit-def: $vgpr115
                                        ; implicit-def: $vgpr116
	s_and_b32 vcc_lo, exec_lo, vcc_lo
	s_waitcnt vmcnt(0) lgkmcnt(1)
	v_mul_f32_e32 v11, v112, v10
	v_mul_f32_e32 v12, v111, v10
	;; [unrolled: 1-line block ×4, first 2 shown]
	ds_write2_b32 v95, v11, v12 offset1:67
	ds_write2_b32 v95, v13, v10 offset0:134 offset1:201
	s_waitcnt lgkmcnt(0)
	s_barrier
	buffer_gl0_inv
	ds_read2_b32 v[26:27], v92 offset1:1
	ds_read2_b32 v[24:25], v92 offset0:2 offset1:3
	v_add_co_u32 v10, s2, v65, v41
	v_add_co_ci_u32_e64 v11, null, v66, v42, s2
	s_mov_b32 s2, -1
	s_waitcnt lgkmcnt(0)
	s_barrier
	buffer_gl0_inv
	s_cbranch_vccnz .LBB75_108
; %bb.99:                               ;   in Loop: Header=BB75_74 Depth=1
	v_mov_b32_e32 v115, 0
	v_mov_b32_e32 v116, 0
	s_mov_b32 s2, exec_lo
	v_cmpx_gt_i32_e64 s3, v99
	s_cbranch_execz .LBB75_101
; %bb.100:                              ;   in Loop: Header=BB75_74 Depth=1
	global_load_dword v116, v[10:11], off
.LBB75_101:                             ;   in Loop: Header=BB75_74 Depth=1
	s_or_b32 exec_lo, exec_lo, s2
	s_mov_b32 s2, exec_lo
	v_cmpx_gt_i32_e64 s3, v100
	s_cbranch_execz .LBB75_103
; %bb.102:                              ;   in Loop: Header=BB75_74 Depth=1
	v_add_co_u32 v12, vcc_lo, v69, v41
	v_add_co_ci_u32_e64 v13, null, v70, v42, vcc_lo
	global_load_dword v115, v[12:13], off
.LBB75_103:                             ;   in Loop: Header=BB75_74 Depth=1
	s_or_b32 exec_lo, exec_lo, s2
	v_mov_b32_e32 v117, 0
	v_mov_b32_e32 v118, 0
	s_mov_b32 s2, exec_lo
	v_cmpx_gt_i32_e64 s3, v101
	s_cbranch_execz .LBB75_105
; %bb.104:                              ;   in Loop: Header=BB75_74 Depth=1
	v_add_co_u32 v12, vcc_lo, v73, v41
	v_add_co_ci_u32_e64 v13, null, v74, v42, vcc_lo
	global_load_dword v118, v[12:13], off
.LBB75_105:                             ;   in Loop: Header=BB75_74 Depth=1
	s_or_b32 exec_lo, exec_lo, s2
	s_mov_b32 s2, exec_lo
	v_cmpx_gt_i32_e64 s3, v102
	s_cbranch_execz .LBB75_107
; %bb.106:                              ;   in Loop: Header=BB75_74 Depth=1
	v_add_co_u32 v12, vcc_lo, v85, v41
	v_add_co_ci_u32_e64 v13, null, v86, v42, vcc_lo
	global_load_dword v117, v[12:13], off
.LBB75_107:                             ;   in Loop: Header=BB75_74 Depth=1
	s_or_b32 exec_lo, exec_lo, s2
	s_mov_b32 s2, 0
.LBB75_108:                             ;   in Loop: Header=BB75_74 Depth=1
	s_and_b32 vcc_lo, exec_lo, s2
	s_cbranch_vccz .LBB75_110
; %bb.109:                              ;   in Loop: Header=BB75_74 Depth=1
	v_add_co_u32 v12, vcc_lo, v69, v41
	v_add_co_ci_u32_e64 v13, null, v70, v42, vcc_lo
	v_add_co_u32 v15, vcc_lo, v87, v41
	v_add_co_ci_u32_e64 v16, null, v88, v42, vcc_lo
	;; [unrolled: 2-line block ×3, first 2 shown]
	global_load_dword v116, v[10:11], off
	global_load_dword v115, v[12:13], off
	global_load_dword v118, v[15:16], off
	global_load_dword v117, v[28:29], off
.LBB75_110:                             ;   in Loop: Header=BB75_74 Depth=1
	ds_read_b32 v15, v94
	ds_read_b128 v[10:13], v93 offset:128
	v_cmp_ne_u32_e32 vcc_lo, 1, v14
	v_add_co_u32 v14, s2, v67, v39
                                        ; implicit-def: $vgpr121
                                        ; implicit-def: $vgpr122
                                        ; implicit-def: $vgpr119
                                        ; implicit-def: $vgpr120
	s_and_b32 vcc_lo, exec_lo, vcc_lo
	s_waitcnt vmcnt(0) lgkmcnt(1)
	v_mul_f32_e32 v16, v116, v15
	v_mul_f32_e32 v17, v115, v15
	;; [unrolled: 1-line block ×4, first 2 shown]
	ds_write2_b32 v95, v16, v17 offset1:67
	ds_write2_b32 v95, v28, v15 offset0:134 offset1:201
	s_waitcnt lgkmcnt(0)
	s_barrier
	buffer_gl0_inv
	ds_read2_b32 v[30:31], v92 offset1:1
	ds_read2_b32 v[28:29], v92 offset0:2 offset1:3
	v_add_co_ci_u32_e64 v15, null, v68, v40, s2
	s_mov_b32 s2, -1
	s_waitcnt lgkmcnt(0)
	s_barrier
	buffer_gl0_inv
	s_cbranch_vccnz .LBB75_120
; %bb.111:                              ;   in Loop: Header=BB75_74 Depth=1
	v_mov_b32_e32 v119, 0
	v_mov_b32_e32 v120, 0
	s_mov_b32 s2, exec_lo
	v_cmpx_gt_i32_e64 s3, v103
	s_cbranch_execz .LBB75_113
; %bb.112:                              ;   in Loop: Header=BB75_74 Depth=1
	global_load_dword v120, v[14:15], off
.LBB75_113:                             ;   in Loop: Header=BB75_74 Depth=1
	s_or_b32 exec_lo, exec_lo, s2
	s_mov_b32 s2, exec_lo
	v_cmpx_gt_i32_e64 s3, v104
	s_cbranch_execz .LBB75_115
; %bb.114:                              ;   in Loop: Header=BB75_74 Depth=1
	v_add_co_u32 v16, vcc_lo, v77, v39
	v_add_co_ci_u32_e64 v17, null, v78, v40, vcc_lo
	global_load_dword v119, v[16:17], off
.LBB75_115:                             ;   in Loop: Header=BB75_74 Depth=1
	s_or_b32 exec_lo, exec_lo, s2
	v_mov_b32_e32 v121, 0
	v_mov_b32_e32 v122, 0
	s_mov_b32 s2, exec_lo
	v_cmpx_gt_i32_e64 s3, v105
	s_cbranch_execz .LBB75_117
; %bb.116:                              ;   in Loop: Header=BB75_74 Depth=1
	v_add_co_u32 v16, vcc_lo, v79, v39
	v_add_co_ci_u32_e64 v17, null, v80, v40, vcc_lo
	global_load_dword v122, v[16:17], off
.LBB75_117:                             ;   in Loop: Header=BB75_74 Depth=1
	s_or_b32 exec_lo, exec_lo, s2
	s_mov_b32 s2, exec_lo
	v_cmpx_gt_i32_e64 s3, v106
	s_cbranch_execz .LBB75_119
; %bb.118:                              ;   in Loop: Header=BB75_74 Depth=1
	v_add_co_u32 v16, vcc_lo, v81, v39
	v_add_co_ci_u32_e64 v17, null, v82, v40, vcc_lo
	global_load_dword v121, v[16:17], off
.LBB75_119:                             ;   in Loop: Header=BB75_74 Depth=1
	s_or_b32 exec_lo, exec_lo, s2
	s_mov_b32 s2, 0
.LBB75_120:                             ;   in Loop: Header=BB75_74 Depth=1
	s_and_b32 vcc_lo, exec_lo, s2
	s_cbranch_vccz .LBB75_122
; %bb.121:                              ;   in Loop: Header=BB75_74 Depth=1
	v_add_co_u32 v16, vcc_lo, v77, v39
	v_add_co_ci_u32_e64 v17, null, v78, v40, vcc_lo
	s_waitcnt vmcnt(0)
	v_add_co_u32 v121, vcc_lo, v83, v39
	v_add_co_ci_u32_e64 v122, null, v84, v40, vcc_lo
	v_add_co_u32 v123, vcc_lo, v71, v39
	v_add_co_ci_u32_e64 v124, null, v72, v40, vcc_lo
	global_load_dword v120, v[14:15], off
	global_load_dword v119, v[16:17], off
	;; [unrolled: 1-line block ×4, first 2 shown]
.LBB75_122:                             ;   in Loop: Header=BB75_74 Depth=1
	ds_read_b32 v123, v94
	ds_read_b128 v[14:17], v93 offset:192
	v_add_f32_e32 v26, 0, v26
	v_add_f32_e32 v22, 0, v22
	;; [unrolled: 1-line block ×3, first 2 shown]
	v_cmp_gt_i32_e32 vcc_lo, s3, v0
	v_add_f32_e32 v26, v26, v27
	v_add_f32_e32 v22, v22, v23
	;; [unrolled: 1-line block ×3, first 2 shown]
	s_or_b32 s2, s5, vcc_lo
	v_add_f32_e32 v24, v26, v24
	v_add_f32_e32 v20, v22, v20
	;; [unrolled: 1-line block ×3, first 2 shown]
	s_and_b32 s3, s1, s2
	v_add_f32_e32 v24, v24, v25
	v_add_f32_e32 v20, v20, v21
	s_waitcnt vmcnt(0) lgkmcnt(1)
	v_mul_f32_e32 v124, v120, v123
	v_mul_f32_e32 v125, v119, v123
	;; [unrolled: 1-line block ×4, first 2 shown]
	ds_write2_b32 v95, v124, v125 offset1:67
	ds_write2_b32 v95, v126, v123 offset0:134 offset1:201
	s_waitcnt lgkmcnt(0)
	s_barrier
	buffer_gl0_inv
	ds_read2_b32 v[123:124], v92 offset1:1
	ds_read2_b32 v[125:126], v92 offset0:2 offset1:3
	s_waitcnt lgkmcnt(0)
	s_barrier
	buffer_gl0_inv
	v_add_f32_e32 v123, 0, v123
	v_add_f32_e32 v23, v123, v124
	v_add_f32_e32 v22, v23, v125
	v_add_f32_e32 v23, v27, v29
	v_add_f32_e32 v21, v22, v126
	ds_write2_b32 v89, v20, v24 offset1:16
	ds_write2_b32 v89, v23, v21 offset0:32 offset1:48
	s_waitcnt lgkmcnt(0)
	s_barrier
	buffer_gl0_inv
	s_and_saveexec_b32 s2, s3
	s_cbranch_execz .LBB75_124
; %bb.123:                              ;   in Loop: Header=BB75_74 Depth=1
	ds_read2_b32 v[20:21], v90 offset1:1
	ds_read2_b32 v[22:23], v90 offset0:2 offset1:3
	ds_read2_b32 v[24:25], v90 offset0:4 offset1:5
	;; [unrolled: 1-line block ×3, first 2 shown]
	s_waitcnt lgkmcnt(3)
	v_add_f32_e32 v20, v20, v21
	s_waitcnt lgkmcnt(2)
	v_add_f32_e32 v20, v20, v22
	v_add_f32_e32 v22, v20, v23
	ds_read2_b32 v[20:21], v90 offset0:8 offset1:9
	s_waitcnt lgkmcnt(2)
	v_add_f32_e32 v22, v22, v24
	v_add_f32_e32 v24, v22, v25
	ds_read2_b32 v[22:23], v90 offset0:10 offset1:11
	;; [unrolled: 4-line block ×3, first 2 shown]
	ds_read_b32 v27, v90 offset:56
	s_waitcnt lgkmcnt(3)
	v_add_f32_e32 v20, v26, v20
	v_add_f32_e32 v20, v20, v21
	s_waitcnt lgkmcnt(2)
	v_add_f32_e32 v20, v20, v22
	ds_read_b32 v22, v91
	v_add_f32_e32 v20, v20, v23
	s_waitcnt lgkmcnt(2)
	v_add_f32_e32 v20, v20, v24
	v_add_f32_e32 v21, v20, v25
	v_ashrrev_i32_e32 v20, 31, v19
	s_waitcnt lgkmcnt(1)
	v_add_f32_e32 v23, v21, v27
	v_lshlrev_b64 v[20:21], 2, v[19:20]
	s_waitcnt lgkmcnt(0)
	v_add_f32_e32 v22, v23, v22
	v_add_co_u32 v20, vcc_lo, s7, v20
	v_add_co_ci_u32_e64 v21, null, s13, v21, vcc_lo
	global_store_dword v[20:21], v22, off
.LBB75_124:                             ;   in Loop: Header=BB75_74 Depth=1
	s_or_b32 exec_lo, exec_lo, s2
	v_fmac_f32_e32 v32, v110, v2
	v_add_co_u32 v37, vcc_lo, v37, s8
	v_add_co_ci_u32_e64 v38, null, s9, v38, vcc_lo
	v_fmac_f32_e32 v32, v107, v3
	v_add_co_u32 v43, vcc_lo, v43, s8
	v_add_co_ci_u32_e64 v44, null, s9, v44, vcc_lo
	;; [unrolled: 3-line block ×10, first 2 shown]
	v_add_co_u32 v61, vcc_lo, v61, s8
	v_add_co_ci_u32_e64 v62, null, s9, v62, vcc_lo
	v_add_co_u32 v63, vcc_lo, v63, s8
	v_fmac_f32_e32 v32, v118, v12
	v_add_co_ci_u32_e64 v64, null, s9, v64, vcc_lo
	v_add_co_u32 v65, vcc_lo, v65, s8
	v_add_co_ci_u32_e64 v66, null, s9, v66, vcc_lo
	v_add_co_u32 v69, vcc_lo, v69, s8
	v_fmac_f32_e32 v32, v117, v13
	v_add_co_ci_u32_e64 v70, null, s9, v70, vcc_lo
	v_add_co_u32 v73, vcc_lo, v73, s8
	v_add_co_ci_u32_e64 v74, null, s9, v74, vcc_lo
	v_add_co_u32 v85, vcc_lo, v85, s8
	;; [unrolled: 2-line block ×3, first 2 shown]
	v_fmac_f32_e32 v32, v120, v14
	v_add_co_ci_u32_e64 v88, null, s9, v88, vcc_lo
	v_add_co_u32 v75, vcc_lo, v75, s8
	v_add_co_ci_u32_e64 v76, null, s9, v76, vcc_lo
	v_add_co_u32 v67, vcc_lo, v67, s8
	v_fmac_f32_e32 v32, v119, v15
	v_add_co_ci_u32_e64 v68, null, s9, v68, vcc_lo
	v_add_co_u32 v77, vcc_lo, v77, s8
	v_add_co_ci_u32_e64 v78, null, s9, v78, vcc_lo
	v_add_co_u32 v79, vcc_lo, v79, s8
	;; [unrolled: 2-line block ×3, first 2 shown]
	v_fmac_f32_e32 v32, v122, v16
	v_add_co_ci_u32_e64 v82, null, s9, v82, vcc_lo
	v_add_co_u32 v83, vcc_lo, v83, s8
	v_add_co_ci_u32_e64 v84, null, s9, v84, vcc_lo
	v_add_co_u32 v71, vcc_lo, v71, s8
	v_add_nc_u32_e32 v19, 64, v19
	v_fmac_f32_e32 v32, v121, v17
	v_add_co_ci_u32_e64 v72, null, s9, v72, vcc_lo
	s_add_i32 s3, s6, 2
	s_add_i32 s2, s6, 1
	;; [unrolled: 1-line block ×3, first 2 shown]
	s_cmp_ge_u32 s3, s26
	s_waitcnt_vscnt null, 0x0
	s_barrier
	buffer_gl0_inv
	s_cbranch_scc1 .LBB75_126
; %bb.125:                              ;   in Loop: Header=BB75_74 Depth=1
	s_mov_b32 s6, s2
	s_cmp_eq_u32 s29, s6
	s_cselect_b32 s3, s27, 0
	s_and_saveexec_b32 s2, s0
	s_cbranch_execnz .LBB75_71
	s_branch .LBB75_74
.LBB75_126:
	v_cmp_gt_i32_e32 vcc_lo, s12, v0
	v_mad_u32_u24 v1, 0x10c, v1, v33
	s_or_b32 s1, s28, vcc_lo
	ds_write_b32 v1, v32
	s_and_b32 s0, s0, s1
	s_waitcnt lgkmcnt(0)
	s_barrier
	buffer_gl0_inv
	s_and_saveexec_b32 s1, s0
	s_cbranch_execz .LBB75_128
; %bb.127:
	ds_read2_b32 v[0:1], v33 offset1:67
	ds_read2_b32 v[2:3], v33 offset0:134 offset1:201
	v_ashrrev_i32_e32 v19, 31, v18
	s_waitcnt lgkmcnt(1)
	v_add_f32_e32 v0, v0, v1
	s_waitcnt lgkmcnt(0)
	v_add_f32_e32 v2, v0, v2
	v_lshlrev_b64 v[0:1], 2, v[18:19]
	v_add_f32_e32 v2, v2, v3
	v_add_co_u32 v0, vcc_lo, s7, v0
	v_add_co_ci_u32_e64 v1, null, s13, v1, vcc_lo
	global_store_dword v[0:1], v2, off
.LBB75_128:
	s_endpgm
	.section	.rodata,"a",@progbits
	.p2align	6, 0x0
	.amdhsa_kernel _ZL26rocblas_hemvn_kernel_upperILb0ELi64ELi4ELi33ELi32ELi16EifPKfPfEviT6_lT7_lT5_lS4_lS5_lS3_lT8_i
		.amdhsa_group_segment_fixed_size 4800
		.amdhsa_private_segment_fixed_size 0
		.amdhsa_kernarg_size 368
		.amdhsa_user_sgpr_count 6
		.amdhsa_user_sgpr_private_segment_buffer 1
		.amdhsa_user_sgpr_dispatch_ptr 0
		.amdhsa_user_sgpr_queue_ptr 0
		.amdhsa_user_sgpr_kernarg_segment_ptr 1
		.amdhsa_user_sgpr_dispatch_id 0
		.amdhsa_user_sgpr_flat_scratch_init 0
		.amdhsa_user_sgpr_private_segment_size 0
		.amdhsa_wavefront_size32 1
		.amdhsa_uses_dynamic_stack 0
		.amdhsa_system_sgpr_private_segment_wavefront_offset 0
		.amdhsa_system_sgpr_workgroup_id_x 1
		.amdhsa_system_sgpr_workgroup_id_y 0
		.amdhsa_system_sgpr_workgroup_id_z 1
		.amdhsa_system_sgpr_workgroup_info 0
		.amdhsa_system_vgpr_workitem_id 1
		.amdhsa_next_free_vgpr 127
		.amdhsa_next_free_sgpr 40
		.amdhsa_reserve_vcc 1
		.amdhsa_reserve_flat_scratch 0
		.amdhsa_float_round_mode_32 0
		.amdhsa_float_round_mode_16_64 0
		.amdhsa_float_denorm_mode_32 3
		.amdhsa_float_denorm_mode_16_64 3
		.amdhsa_dx10_clamp 1
		.amdhsa_ieee_mode 1
		.amdhsa_fp16_overflow 0
		.amdhsa_workgroup_processor_mode 1
		.amdhsa_memory_ordered 1
		.amdhsa_forward_progress 1
		.amdhsa_shared_vgpr_count 0
		.amdhsa_exception_fp_ieee_invalid_op 0
		.amdhsa_exception_fp_denorm_src 0
		.amdhsa_exception_fp_ieee_div_zero 0
		.amdhsa_exception_fp_ieee_overflow 0
		.amdhsa_exception_fp_ieee_underflow 0
		.amdhsa_exception_fp_ieee_inexact 0
		.amdhsa_exception_int_div_zero 0
	.end_amdhsa_kernel
	.section	.text._ZL26rocblas_hemvn_kernel_upperILb0ELi64ELi4ELi33ELi32ELi16EifPKfPfEviT6_lT7_lT5_lS4_lS5_lS3_lT8_i,"axG",@progbits,_ZL26rocblas_hemvn_kernel_upperILb0ELi64ELi4ELi33ELi32ELi16EifPKfPfEviT6_lT7_lT5_lS4_lS5_lS3_lT8_i,comdat
.Lfunc_end75:
	.size	_ZL26rocblas_hemvn_kernel_upperILb0ELi64ELi4ELi33ELi32ELi16EifPKfPfEviT6_lT7_lT5_lS4_lS5_lS3_lT8_i, .Lfunc_end75-_ZL26rocblas_hemvn_kernel_upperILb0ELi64ELi4ELi33ELi32ELi16EifPKfPfEviT6_lT7_lT5_lS4_lS5_lS3_lT8_i
                                        ; -- End function
	.set _ZL26rocblas_hemvn_kernel_upperILb0ELi64ELi4ELi33ELi32ELi16EifPKfPfEviT6_lT7_lT5_lS4_lS5_lS3_lT8_i.num_vgpr, 127
	.set _ZL26rocblas_hemvn_kernel_upperILb0ELi64ELi4ELi33ELi32ELi16EifPKfPfEviT6_lT7_lT5_lS4_lS5_lS3_lT8_i.num_agpr, 0
	.set _ZL26rocblas_hemvn_kernel_upperILb0ELi64ELi4ELi33ELi32ELi16EifPKfPfEviT6_lT7_lT5_lS4_lS5_lS3_lT8_i.numbered_sgpr, 40
	.set _ZL26rocblas_hemvn_kernel_upperILb0ELi64ELi4ELi33ELi32ELi16EifPKfPfEviT6_lT7_lT5_lS4_lS5_lS3_lT8_i.num_named_barrier, 0
	.set _ZL26rocblas_hemvn_kernel_upperILb0ELi64ELi4ELi33ELi32ELi16EifPKfPfEviT6_lT7_lT5_lS4_lS5_lS3_lT8_i.private_seg_size, 0
	.set _ZL26rocblas_hemvn_kernel_upperILb0ELi64ELi4ELi33ELi32ELi16EifPKfPfEviT6_lT7_lT5_lS4_lS5_lS3_lT8_i.uses_vcc, 1
	.set _ZL26rocblas_hemvn_kernel_upperILb0ELi64ELi4ELi33ELi32ELi16EifPKfPfEviT6_lT7_lT5_lS4_lS5_lS3_lT8_i.uses_flat_scratch, 0
	.set _ZL26rocblas_hemvn_kernel_upperILb0ELi64ELi4ELi33ELi32ELi16EifPKfPfEviT6_lT7_lT5_lS4_lS5_lS3_lT8_i.has_dyn_sized_stack, 0
	.set _ZL26rocblas_hemvn_kernel_upperILb0ELi64ELi4ELi33ELi32ELi16EifPKfPfEviT6_lT7_lT5_lS4_lS5_lS3_lT8_i.has_recursion, 0
	.set _ZL26rocblas_hemvn_kernel_upperILb0ELi64ELi4ELi33ELi32ELi16EifPKfPfEviT6_lT7_lT5_lS4_lS5_lS3_lT8_i.has_indirect_call, 0
	.section	.AMDGPU.csdata,"",@progbits
; Kernel info:
; codeLenInByte = 7792
; TotalNumSgprs: 42
; NumVgprs: 127
; ScratchSize: 0
; MemoryBound: 0
; FloatMode: 240
; IeeeMode: 1
; LDSByteSize: 4800 bytes/workgroup (compile time only)
; SGPRBlocks: 0
; VGPRBlocks: 15
; NumSGPRsForWavesPerEU: 42
; NumVGPRsForWavesPerEU: 127
; Occupancy: 8
; WaveLimiterHint : 1
; COMPUTE_PGM_RSRC2:SCRATCH_EN: 0
; COMPUTE_PGM_RSRC2:USER_SGPR: 6
; COMPUTE_PGM_RSRC2:TRAP_HANDLER: 0
; COMPUTE_PGM_RSRC2:TGID_X_EN: 1
; COMPUTE_PGM_RSRC2:TGID_Y_EN: 0
; COMPUTE_PGM_RSRC2:TGID_Z_EN: 1
; COMPUTE_PGM_RSRC2:TIDIG_COMP_CNT: 1
	.section	.text._ZL36rocblas_hemvn_kernel_upper_block_sumILi64EifPffEviT1_lS1_lT2_lT0_lPT3_i,"axG",@progbits,_ZL36rocblas_hemvn_kernel_upper_block_sumILi64EifPffEviT1_lS1_lT2_lT0_lPT3_i,comdat
	.globl	_ZL36rocblas_hemvn_kernel_upper_block_sumILi64EifPffEviT1_lS1_lT2_lT0_lPT3_i ; -- Begin function _ZL36rocblas_hemvn_kernel_upper_block_sumILi64EifPffEviT1_lS1_lT2_lT0_lPT3_i
	.p2align	8
	.type	_ZL36rocblas_hemvn_kernel_upper_block_sumILi64EifPffEviT1_lS1_lT2_lT0_lPT3_i,@function
_ZL36rocblas_hemvn_kernel_upper_block_sumILi64EifPffEviT1_lS1_lT2_lT0_lPT3_i: ; @_ZL36rocblas_hemvn_kernel_upper_block_sumILi64EifPffEviT1_lS1_lT2_lT0_lPT3_i
; %bb.0:
	s_clause 0x1
	s_load_dwordx2 s[8:9], s[4:5], 0x0
	s_load_dword s12, s[4:5], 0x10
	s_mov_b32 s13, 0
	s_waitcnt lgkmcnt(0)
	v_cmp_eq_f32_e64 s0, s9, 0
	v_cmp_eq_f32_e64 s1, s12, 1.0
	s_and_b32 s0, s0, s1
	s_and_b32 vcc_lo, exec_lo, s0
	s_cbranch_vccnz .LBB76_19
; %bb.1:
	s_clause 0x2
	s_load_dwordx4 s[0:3], s[4:5], 0x38
	s_load_dwordx4 s[16:19], s[4:5], 0x20
	s_load_dword s14, s[4:5], 0x30
	v_lshl_or_b32 v0, s6, 6, v0
	v_cmp_neq_f32_e64 s15, s9, 0
	s_waitcnt lgkmcnt(0)
	s_mul_i32 s1, s1, s7
	s_mul_hi_u32 s10, s0, s7
	s_mul_i32 s0, s0, s7
	s_add_i32 s1, s10, s1
	s_lshl_b64 s[0:1], s[0:1], 2
	s_add_u32 s10, s16, s0
	s_addc_u32 s11, s17, s1
	s_lshl_b64 s[0:1], s[18:19], 2
	s_add_u32 s10, s10, s0
	v_cmp_gt_i32_e64 s0, s8, v0
	s_addc_u32 s11, s11, s1
	s_and_b32 vcc_lo, exec_lo, s15
	s_cbranch_vccnz .LBB76_6
; %bb.2:
	s_mov_b32 s1, 0
                                        ; implicit-def: $vgpr4
                                        ; implicit-def: $vgpr2_vgpr3
	s_and_saveexec_b32 s15, s0
	s_cbranch_execz .LBB76_7
; %bb.3:
	v_mul_lo_u32 v2, s14, v0
	v_cmp_eq_f32_e64 s0, s12, 0
	v_mov_b32_e32 v4, 0
	s_and_b32 vcc_lo, exec_lo, s0
	v_ashrrev_i32_e32 v3, 31, v2
	s_cbranch_vccnz .LBB76_5
; %bb.4:
	v_lshlrev_b64 v[4:5], 2, v[2:3]
	v_add_co_u32 v4, vcc_lo, s10, v4
	v_add_co_ci_u32_e64 v5, null, s11, v5, vcc_lo
	global_load_dword v1, v[4:5], off
	s_waitcnt vmcnt(0)
	v_mul_f32_e32 v4, s12, v1
.LBB76_5:
	s_mov_b32 s13, exec_lo
	s_or_b32 exec_lo, exec_lo, s15
	s_and_b32 vcc_lo, exec_lo, s1
	s_cbranch_vccnz .LBB76_8
	s_branch .LBB76_17
.LBB76_6:
                                        ; implicit-def: $vgpr4
                                        ; implicit-def: $vgpr2_vgpr3
	s_cbranch_execnz .LBB76_8
	s_branch .LBB76_17
.LBB76_7:
	s_or_b32 exec_lo, exec_lo, s15
	s_and_b32 vcc_lo, exec_lo, s1
	s_cbranch_vccz .LBB76_17
.LBB76_8:
	s_mov_b32 s15, exec_lo
                                        ; implicit-def: $vgpr4
                                        ; implicit-def: $vgpr2_vgpr3
	v_cmpx_gt_i32_e64 s8, v0
	s_cbranch_execz .LBB76_16
; %bb.9:
	v_mov_b32_e32 v1, 0
	s_cmp_lt_i32 s6, 0
	s_cbranch_scc1 .LBB76_12
; %bb.10:
	s_load_dword s0, s[4:5], 0x50
	s_ashr_i32 s1, s8, 31
	s_mul_hi_u32 s4, s8, s7
	s_mul_i32 s5, s1, s7
	v_mov_b32_e32 v1, 0
	s_mul_i32 s7, s8, s7
	s_add_i32 s4, s4, s5
	v_lshlrev_b64 v[2:3], 2, v[0:1]
	s_waitcnt lgkmcnt(0)
	s_mul_i32 s5, s4, s0
	s_mul_hi_u32 s16, s7, s0
	s_mul_i32 s4, s7, s0
	s_add_i32 s5, s16, s5
	s_lshl_b64 s[4:5], s[4:5], 2
	s_add_u32 s0, s2, s4
	s_addc_u32 s2, s3, s5
	v_add_co_u32 v2, vcc_lo, s0, v2
	v_add_co_ci_u32_e64 v3, null, s2, v3, vcc_lo
	s_mov_b32 s0, s8
	s_add_i32 s2, s6, 1
	s_lshl_b64 s[0:1], s[0:1], 2
.LBB76_11:                              ; =>This Inner Loop Header: Depth=1
	global_load_dword v4, v[2:3], off
	v_add_co_u32 v2, vcc_lo, v2, s0
	v_add_co_ci_u32_e64 v3, null, s1, v3, vcc_lo
	s_add_i32 s2, s2, -1
	s_cmp_eq_u32 s2, 0
	s_waitcnt vmcnt(0)
	v_add_f32_e32 v1, v1, v4
	s_cbranch_scc0 .LBB76_11
.LBB76_12:
	v_mul_lo_u32 v2, s14, v0
	v_cmp_eq_f32_e64 s0, s12, 0
	s_and_b32 vcc_lo, exec_lo, s0
	s_mov_b32 s0, 0
	v_ashrrev_i32_e32 v3, 31, v2
	s_cbranch_vccz .LBB76_20
; %bb.13:
	v_mul_f32_e32 v4, s9, v1
	s_andn2_b32 vcc_lo, exec_lo, s0
	s_cbranch_vccnz .LBB76_15
.LBB76_14:
	v_lshlrev_b64 v[4:5], 2, v[2:3]
	v_add_co_u32 v4, vcc_lo, s10, v4
	v_add_co_ci_u32_e64 v5, null, s11, v5, vcc_lo
	global_load_dword v0, v[4:5], off
	s_waitcnt vmcnt(0)
	v_mul_f32_e32 v4, s12, v0
	v_fmac_f32_e32 v4, s9, v1
.LBB76_15:
	s_or_b32 s13, s13, exec_lo
.LBB76_16:
	s_or_b32 exec_lo, exec_lo, s15
.LBB76_17:
	s_and_saveexec_b32 s0, s13
	s_cbranch_execz .LBB76_19
; %bb.18:
	v_lshlrev_b64 v[0:1], 2, v[2:3]
	v_add_co_u32 v0, vcc_lo, s10, v0
	v_add_co_ci_u32_e64 v1, null, s11, v1, vcc_lo
	global_store_dword v[0:1], v4, off
.LBB76_19:
	s_endpgm
.LBB76_20:
                                        ; implicit-def: $vgpr4
	s_branch .LBB76_14
	.section	.rodata,"a",@progbits
	.p2align	6, 0x0
	.amdhsa_kernel _ZL36rocblas_hemvn_kernel_upper_block_sumILi64EifPffEviT1_lS1_lT2_lT0_lPT3_i
		.amdhsa_group_segment_fixed_size 0
		.amdhsa_private_segment_fixed_size 0
		.amdhsa_kernarg_size 336
		.amdhsa_user_sgpr_count 6
		.amdhsa_user_sgpr_private_segment_buffer 1
		.amdhsa_user_sgpr_dispatch_ptr 0
		.amdhsa_user_sgpr_queue_ptr 0
		.amdhsa_user_sgpr_kernarg_segment_ptr 1
		.amdhsa_user_sgpr_dispatch_id 0
		.amdhsa_user_sgpr_flat_scratch_init 0
		.amdhsa_user_sgpr_private_segment_size 0
		.amdhsa_wavefront_size32 1
		.amdhsa_uses_dynamic_stack 0
		.amdhsa_system_sgpr_private_segment_wavefront_offset 0
		.amdhsa_system_sgpr_workgroup_id_x 1
		.amdhsa_system_sgpr_workgroup_id_y 0
		.amdhsa_system_sgpr_workgroup_id_z 1
		.amdhsa_system_sgpr_workgroup_info 0
		.amdhsa_system_vgpr_workitem_id 0
		.amdhsa_next_free_vgpr 6
		.amdhsa_next_free_sgpr 20
		.amdhsa_reserve_vcc 1
		.amdhsa_reserve_flat_scratch 0
		.amdhsa_float_round_mode_32 0
		.amdhsa_float_round_mode_16_64 0
		.amdhsa_float_denorm_mode_32 3
		.amdhsa_float_denorm_mode_16_64 3
		.amdhsa_dx10_clamp 1
		.amdhsa_ieee_mode 1
		.amdhsa_fp16_overflow 0
		.amdhsa_workgroup_processor_mode 1
		.amdhsa_memory_ordered 1
		.amdhsa_forward_progress 1
		.amdhsa_shared_vgpr_count 0
		.amdhsa_exception_fp_ieee_invalid_op 0
		.amdhsa_exception_fp_denorm_src 0
		.amdhsa_exception_fp_ieee_div_zero 0
		.amdhsa_exception_fp_ieee_overflow 0
		.amdhsa_exception_fp_ieee_underflow 0
		.amdhsa_exception_fp_ieee_inexact 0
		.amdhsa_exception_int_div_zero 0
	.end_amdhsa_kernel
	.section	.text._ZL36rocblas_hemvn_kernel_upper_block_sumILi64EifPffEviT1_lS1_lT2_lT0_lPT3_i,"axG",@progbits,_ZL36rocblas_hemvn_kernel_upper_block_sumILi64EifPffEviT1_lS1_lT2_lT0_lPT3_i,comdat
.Lfunc_end76:
	.size	_ZL36rocblas_hemvn_kernel_upper_block_sumILi64EifPffEviT1_lS1_lT2_lT0_lPT3_i, .Lfunc_end76-_ZL36rocblas_hemvn_kernel_upper_block_sumILi64EifPffEviT1_lS1_lT2_lT0_lPT3_i
                                        ; -- End function
	.set _ZL36rocblas_hemvn_kernel_upper_block_sumILi64EifPffEviT1_lS1_lT2_lT0_lPT3_i.num_vgpr, 6
	.set _ZL36rocblas_hemvn_kernel_upper_block_sumILi64EifPffEviT1_lS1_lT2_lT0_lPT3_i.num_agpr, 0
	.set _ZL36rocblas_hemvn_kernel_upper_block_sumILi64EifPffEviT1_lS1_lT2_lT0_lPT3_i.numbered_sgpr, 20
	.set _ZL36rocblas_hemvn_kernel_upper_block_sumILi64EifPffEviT1_lS1_lT2_lT0_lPT3_i.num_named_barrier, 0
	.set _ZL36rocblas_hemvn_kernel_upper_block_sumILi64EifPffEviT1_lS1_lT2_lT0_lPT3_i.private_seg_size, 0
	.set _ZL36rocblas_hemvn_kernel_upper_block_sumILi64EifPffEviT1_lS1_lT2_lT0_lPT3_i.uses_vcc, 1
	.set _ZL36rocblas_hemvn_kernel_upper_block_sumILi64EifPffEviT1_lS1_lT2_lT0_lPT3_i.uses_flat_scratch, 0
	.set _ZL36rocblas_hemvn_kernel_upper_block_sumILi64EifPffEviT1_lS1_lT2_lT0_lPT3_i.has_dyn_sized_stack, 0
	.set _ZL36rocblas_hemvn_kernel_upper_block_sumILi64EifPffEviT1_lS1_lT2_lT0_lPT3_i.has_recursion, 0
	.set _ZL36rocblas_hemvn_kernel_upper_block_sumILi64EifPffEviT1_lS1_lT2_lT0_lPT3_i.has_indirect_call, 0
	.section	.AMDGPU.csdata,"",@progbits
; Kernel info:
; codeLenInByte = 600
; TotalNumSgprs: 22
; NumVgprs: 6
; ScratchSize: 0
; MemoryBound: 0
; FloatMode: 240
; IeeeMode: 1
; LDSByteSize: 0 bytes/workgroup (compile time only)
; SGPRBlocks: 0
; VGPRBlocks: 0
; NumSGPRsForWavesPerEU: 22
; NumVGPRsForWavesPerEU: 6
; Occupancy: 16
; WaveLimiterHint : 0
; COMPUTE_PGM_RSRC2:SCRATCH_EN: 0
; COMPUTE_PGM_RSRC2:USER_SGPR: 6
; COMPUTE_PGM_RSRC2:TRAP_HANDLER: 0
; COMPUTE_PGM_RSRC2:TGID_X_EN: 1
; COMPUTE_PGM_RSRC2:TGID_Y_EN: 0
; COMPUTE_PGM_RSRC2:TGID_Z_EN: 1
; COMPUTE_PGM_RSRC2:TIDIG_COMP_CNT: 0
	.section	.text._ZL50rocblas_symv_kernel_lower_double_buffered_diagonalILi32ELi4E24rocblas_internal_val_ptrIfEPKfPfEvbiT1_lT2_lllS6_lllS5_lT3_llli,"axG",@progbits,_ZL50rocblas_symv_kernel_lower_double_buffered_diagonalILi32ELi4E24rocblas_internal_val_ptrIfEPKfPfEvbiT1_lT2_lllS6_lllS5_lT3_llli,comdat
	.globl	_ZL50rocblas_symv_kernel_lower_double_buffered_diagonalILi32ELi4E24rocblas_internal_val_ptrIfEPKfPfEvbiT1_lT2_lllS6_lllS5_lT3_llli ; -- Begin function _ZL50rocblas_symv_kernel_lower_double_buffered_diagonalILi32ELi4E24rocblas_internal_val_ptrIfEPKfPfEvbiT1_lT2_lllS6_lllS5_lT3_llli
	.p2align	8
	.type	_ZL50rocblas_symv_kernel_lower_double_buffered_diagonalILi32ELi4E24rocblas_internal_val_ptrIfEPKfPfEvbiT1_lT2_lllS6_lllS5_lT3_llli,@function
_ZL50rocblas_symv_kernel_lower_double_buffered_diagonalILi32ELi4E24rocblas_internal_val_ptrIfEPKfPfEvbiT1_lT2_lllS6_lllS5_lT3_llli: ; @_ZL50rocblas_symv_kernel_lower_double_buffered_diagonalILi32ELi4E24rocblas_internal_val_ptrIfEPKfPfEvbiT1_lT2_lllS6_lllS5_lT3_llli
; %bb.0:
	s_clause 0x1
	s_load_dword s0, s[4:5], 0x0
	s_load_dwordx16 s[8:23], s[4:5], 0x8
	s_mov_b32 s1, -1
                                        ; implicit-def: $sgpr33
	s_waitcnt lgkmcnt(0)
	s_bitcmp1_b32 s0, 0
	s_cselect_b32 s0, -1, 0
	s_xor_b32 s0, s0, -1
	s_and_b32 vcc_lo, exec_lo, s0
	s_cbranch_vccnz .LBB77_10
; %bb.1:
	s_load_dwordx8 s[24:31], s[4:5], 0x48
	s_andn2_b32 vcc_lo, exec_lo, s1
	s_cbranch_vccz .LBB77_11
.LBB77_2:
	s_andn2_b32 vcc_lo, exec_lo, s0
	s_cbranch_vccnz .LBB77_4
.LBB77_3:
	s_waitcnt lgkmcnt(0)
	s_mul_i32 s0, s31, s7
	s_mul_hi_u32 s1, s30, s7
	s_add_i32 s1, s1, s0
	s_mul_i32 s0, s30, s7
	s_lshl_b64 s[0:1], s[0:1], 2
	s_add_u32 s0, s28, s0
	s_addc_u32 s1, s29, s1
	s_load_dword s28, s[0:1], 0x0
.LBB77_4:
	s_waitcnt lgkmcnt(0)
	v_cmp_eq_f32_e64 s0, s33, 0
	v_cmp_eq_f32_e64 s1, s28, 1.0
	s_and_b32 s0, s0, s1
	s_and_b32 vcc_lo, exec_lo, s0
	s_cbranch_vccnz .LBB77_9
; %bb.5:
	s_clause 0x2
	s_load_dwordx2 s[8:9], s[4:5], 0x80
	s_load_dwordx2 s[10:11], s[4:5], 0x68
	s_load_dwordx4 s[0:3], s[4:5], 0x70
	v_cmp_neq_f32_e64 s29, s33, 0
	s_waitcnt lgkmcnt(0)
	s_mul_i32 s5, s9, s7
	s_mul_hi_u32 s9, s8, s7
	s_mul_i32 s4, s8, s7
	s_add_i32 s5, s9, s5
	s_lshl_b64 s[4:5], s[4:5], 2
	s_add_u32 s4, s10, s4
	s_addc_u32 s5, s11, s5
	s_lshl_b64 s[0:1], s[0:1], 2
	s_add_u32 s10, s4, s0
	s_addc_u32 s11, s5, s1
	s_lshl_b32 s4, s6, 5
	s_ashr_i32 s5, s4, 31
	s_mul_hi_u32 s0, s2, s4
	s_mul_i32 s1, s2, s5
	s_mul_i32 s6, s3, s4
	s_add_i32 s1, s0, s1
	s_mul_i32 s0, s2, s4
	s_add_i32 s1, s1, s6
	s_lshl_b64 s[8:9], s[0:1], 2
	v_cmp_eq_u32_e64 s0, 0, v1
	s_add_u32 s1, s10, s8
	s_addc_u32 s6, s11, s9
	s_and_b32 vcc_lo, exec_lo, s29
	s_cbranch_vccnz .LBB77_12
; %bb.6:
	s_mov_b32 s8, 0
	s_and_saveexec_b32 s9, s0
	s_cbranch_execz .LBB77_8
; %bb.7:
	v_mad_u64_u32 v[2:3], null, s2, v0, 0
	v_mad_u64_u32 v[3:4], null, s3, v0, v[3:4]
	v_lshlrev_b64 v[2:3], 2, v[2:3]
	v_add_co_u32 v2, vcc_lo, s1, v2
	v_add_co_ci_u32_e64 v3, null, s6, v3, vcc_lo
	global_load_dword v4, v[2:3], off
	s_waitcnt vmcnt(0)
	v_mul_f32_e32 v4, s28, v4
	global_store_dword v[2:3], v4, off
.LBB77_8:
	s_or_b32 exec_lo, exec_lo, s9
	s_andn2_b32 vcc_lo, exec_lo, s8
	s_cbranch_vccz .LBB77_13
.LBB77_9:
	s_endpgm
.LBB77_10:
	s_mul_i32 s1, s11, s7
	s_mul_hi_u32 s2, s10, s7
	s_add_i32 s3, s2, s1
	s_mul_i32 s2, s10, s7
	s_lshl_b64 s[2:3], s[2:3], 2
	s_add_u32 s2, s8, s2
	s_addc_u32 s3, s9, s3
	s_load_dword s33, s[2:3], 0x0
	s_load_dwordx8 s[24:31], s[4:5], 0x48
	s_cbranch_execnz .LBB77_2
.LBB77_11:
	s_waitcnt lgkmcnt(0)
	s_mov_b32 s33, s8
	s_andn2_b32 vcc_lo, exec_lo, s0
	s_cbranch_vccz .LBB77_3
	s_branch .LBB77_4
.LBB77_12:
.LBB77_13:
	v_mov_b32_e32 v4, 0
	v_cmp_eq_u32_e64 s0, 0, v1
	s_and_saveexec_b32 s8, s0
	s_cbranch_execz .LBB77_17
; %bb.14:
	v_cmp_eq_f32_e64 s9, s28, 0
	v_mov_b32_e32 v4, 0
	s_and_b32 vcc_lo, exec_lo, s9
	s_cbranch_vccnz .LBB77_16
; %bb.15:
	v_mad_u64_u32 v[2:3], null, s2, v0, 0
	v_mad_u64_u32 v[3:4], null, s3, v0, v[3:4]
	v_lshlrev_b64 v[2:3], 2, v[2:3]
	v_add_co_u32 v2, vcc_lo, s1, v2
	v_add_co_ci_u32_e64 v3, null, s6, v3, vcc_lo
	global_load_dword v2, v[2:3], off
	s_waitcnt vmcnt(0)
	v_mul_f32_e32 v4, s28, v2
.LBB77_16:
	v_mad_u64_u32 v[2:3], null, s24, v0, 0
	s_mul_i32 s9, s27, s7
	s_mul_hi_u32 s11, s26, s7
	s_mul_i32 s10, s26, s7
	s_add_i32 s11, s11, s9
	s_mul_i32 s26, s24, s5
	s_lshl_b64 s[10:11], s[10:11], 2
	v_mad_u64_u32 v[5:6], null, s25, v0, v[3:4]
	s_add_u32 s20, s20, s10
	s_addc_u32 s21, s21, s11
	s_lshl_b64 s[10:11], s[22:23], 2
	s_mul_hi_u32 s9, s24, s4
	s_add_u32 s20, s20, s10
	s_mul_i32 s22, s25, s4
	v_mov_b32_e32 v3, v5
	s_addc_u32 s21, s21, s11
	s_add_i32 s9, s9, s26
	s_mul_i32 s10, s24, s4
	s_add_i32 s11, s9, s22
	v_lshlrev_b64 v[2:3], 2, v[2:3]
	s_lshl_b64 s[10:11], s[10:11], 2
	s_add_u32 s9, s20, s10
	s_addc_u32 s10, s21, s11
	v_add_co_u32 v2, vcc_lo, s9, v2
	v_add_co_ci_u32_e64 v3, null, s10, v3, vcc_lo
	global_load_dword v2, v[2:3], off
	v_lshlrev_b32_e32 v3, 2, v0
	s_waitcnt vmcnt(0)
	ds_write_b32 v3, v2 offset:5120
.LBB77_17:
	s_or_b32 exec_lo, exec_lo, s8
	v_mad_u64_u32 v[2:3], null, s16, v1, 0
	s_mul_i32 s9, s19, s7
	s_mul_hi_u32 s10, s18, s7
	s_mul_i32 s8, s18, s7
	s_add_i32 s9, s10, s9
	s_lshl_b64 s[8:9], s[8:9], 2
	v_mad_u64_u32 v[5:6], null, s17, v1, v[3:4]
	s_add_u32 s7, s12, s8
	s_addc_u32 s10, s13, s9
	s_lshl_b64 s[8:9], s[14:15], 2
	s_add_u32 s7, s7, s8
	s_addc_u32 s8, s10, s9
	s_add_u32 s9, s16, 1
	v_mov_b32_e32 v3, v5
	s_addc_u32 s10, s17, 0
	s_mul_i32 s5, s9, s5
	s_mul_hi_u32 s11, s9, s4
	s_mul_i32 s10, s10, s4
	s_add_i32 s5, s11, s5
	s_mul_i32 s4, s9, s4
	s_add_i32 s5, s5, s10
	v_lshlrev_b64 v[2:3], 2, v[2:3]
	s_lshl_b64 s[4:5], s[4:5], 2
	v_lshlrev_b32_e32 v5, 2, v0
	s_add_u32 s4, s7, s4
	s_addc_u32 s5, s8, s5
	s_mov_b32 s7, exec_lo
	v_add_co_u32 v2, vcc_lo, s4, v2
	v_add_co_ci_u32_e64 v3, null, s5, v3, vcc_lo
	s_lshl_b64 s[4:5], s[16:17], 4
	v_add_co_u32 v6, vcc_lo, v2, v5
	v_add_co_ci_u32_e64 v7, null, 0, v3, vcc_lo
	v_add_co_u32 v8, vcc_lo, v6, s4
	v_add_co_ci_u32_e64 v9, null, s5, v7, vcc_lo
	;; [unrolled: 2-line block ×4, first 2 shown]
	s_clause 0x3
	global_load_dword v12, v[6:7], off
	global_load_dword v13, v[8:9], off
	;; [unrolled: 1-line block ×4, first 2 shown]
	v_lshlrev_b32_e32 v6, 7, v1
	v_add_nc_u32_e32 v7, 0x200, v6
	v_add_nc_u32_e32 v14, 0x400, v6
	;; [unrolled: 1-line block ×7, first 2 shown]
	s_waitcnt vmcnt(3)
	ds_write_b32 v9, v12
	s_waitcnt vmcnt(2)
	ds_write_b32 v8, v13
	;; [unrolled: 2-line block ×4, first 2 shown]
	v_cmpx_lt_u32_e32 15, v0
	s_cbranch_execz .LBB77_19
; %bb.18:
	v_add_co_u32 v2, vcc_lo, v2, s4
	s_lshl_b64 s[8:9], s[16:17], 2
	v_add_co_ci_u32_e64 v3, null, s5, v3, vcc_lo
	s_lshl_b64 s[8:9], s[8:9], 2
	v_add_co_u32 v10, vcc_lo, v2, s8
	v_add_co_ci_u32_e64 v11, null, s9, v3, vcc_lo
	v_add_co_u32 v12, vcc_lo, v10, s4
	v_add_co_ci_u32_e64 v13, null, s5, v11, vcc_lo
	v_add_co_u32 v14, vcc_lo, v12, s4
	v_add_co_ci_u32_e64 v15, null, s5, v13, vcc_lo
	s_clause 0x1
	global_load_dword v2, v[2:3], off
	global_load_dword v3, v[10:11], off
	;; [unrolled: 1-line block ×4, first 2 shown]
	s_waitcnt vmcnt(2)
	ds_write2st64_b32 v9, v2, v3 offset0:8 offset1:10
	s_waitcnt vmcnt(0)
	ds_write2st64_b32 v9, v10, v11 offset0:12 offset1:14
.LBB77_19:
	s_or_b32 exec_lo, exec_lo, s7
	v_lshlrev_b32_e32 v10, 7, v0
	s_mov_b32 s4, exec_lo
	s_waitcnt lgkmcnt(0)
	s_waitcnt_vscnt null, 0x0
	s_barrier
	buffer_gl0_inv
	v_cmpx_ge_u32_e64 v0, v1
	s_xor_b32 s4, exec_lo, s4
; %bb.20:
	v_lshlrev_b32_e32 v10, 7, v0
; %bb.21:
	s_or_saveexec_b32 s4, s4
	v_lshlrev_b32_e32 v2, 5, v1
	v_lshlrev_b32_e32 v3, 2, v1
	s_xor_b32 exec_lo, exec_lo, s4
	s_cbranch_execz .LBB77_23
; %bb.22:
	v_mul_u32_u24_e32 v11, 0x7c, v0
	v_lshl_add_u32 v12, v2, 2, v5
	v_add3_u32 v11, v5, v11, v3
	ds_read_b32 v11, v11
	s_waitcnt lgkmcnt(0)
	ds_write_b32 v12, v11
.LBB77_23:
	s_or_b32 exec_lo, exec_lo, s4
	v_sub_nc_u32_e32 v11, v0, v1
	v_lshl_add_u32 v10, v1, 2, v10
	s_mov_b32 s4, exec_lo
	v_sub_nc_u32_e32 v12, 0, v11
	v_max_i32_e32 v11, v11, v12
	v_cmpx_gt_u32_e32 4, v11
	s_cbranch_execz .LBB77_25
; %bb.24:
	ds_read_b32 v12, v10 offset:16
	s_waitcnt lgkmcnt(0)
	ds_write_b32 v8, v12
.LBB77_25:
	s_or_b32 exec_lo, exec_lo, s4
	s_mov_b32 s4, exec_lo
	v_cmpx_gt_u32_e32 8, v11
	s_cbranch_execz .LBB77_27
; %bb.26:
	ds_read_b32 v12, v10 offset:32
	s_waitcnt lgkmcnt(0)
	ds_write_b32 v6, v12
.LBB77_27:
	s_or_b32 exec_lo, exec_lo, s4
	s_mov_b32 s4, exec_lo
	v_cmpx_gt_u32_e32 12, v11
	s_cbranch_execz .LBB77_29
; %bb.28:
	ds_read_b32 v12, v10 offset:48
	s_waitcnt lgkmcnt(0)
	ds_write_b32 v7, v12
.LBB77_29:
	s_or_b32 exec_lo, exec_lo, s4
	s_mov_b32 s4, exec_lo
	v_cmpx_gt_u32_e32 16, v11
	s_cbranch_execz .LBB77_31
; %bb.30:
	ds_read_b32 v12, v10 offset:64
	s_waitcnt lgkmcnt(0)
	ds_write_b32 v9, v12 offset:2048
.LBB77_31:
	s_or_b32 exec_lo, exec_lo, s4
	s_mov_b32 s4, exec_lo
	v_cmpx_gt_u32_e32 20, v11
	s_cbranch_execz .LBB77_33
; %bb.32:
	ds_read_b32 v12, v10 offset:80
	s_waitcnt lgkmcnt(0)
	ds_write_b32 v9, v12 offset:2560
.LBB77_33:
	s_or_b32 exec_lo, exec_lo, s4
	s_mov_b32 s4, exec_lo
	v_cmpx_gt_u32_e32 24, v11
	s_cbranch_execz .LBB77_35
; %bb.34:
	ds_read_b32 v12, v10 offset:96
	s_waitcnt lgkmcnt(0)
	ds_write_b32 v9, v12 offset:3072
.LBB77_35:
	s_or_b32 exec_lo, exec_lo, s4
	v_cmp_lt_u32_e32 vcc_lo, 27, v11
	v_add_nc_u32_e32 v11, 28, v1
                                        ; implicit-def: $vgpr12
	s_and_saveexec_b32 s4, vcc_lo
	s_xor_b32 s4, exec_lo, s4
; %bb.36:
	v_add_nc_u32_e32 v11, 28, v1
                                        ; implicit-def: $vgpr10
	v_lshlrev_b32_e32 v12, 7, v11
; %bb.37:
	s_andn2_saveexec_b32 s4, s4
	s_cbranch_execz .LBB77_39
; %bb.38:
	ds_read_b32 v10, v10 offset:112
	v_lshlrev_b32_e32 v12, 7, v11
	v_add_nc_u32_e32 v13, v5, v12
	s_waitcnt lgkmcnt(0)
	ds_write_b32 v13, v10
.LBB77_39:
	s_or_b32 exec_lo, exec_lo, s4
	v_add_nc_u32_e32 v10, 0x1400, v3
	s_waitcnt lgkmcnt(0)
	s_barrier
	buffer_gl0_inv
	v_lshl_add_u32 v1, v1, 7, v5
	ds_read2_b32 v[13:14], v10 offset1:4
	ds_read_b32 v15, v9
	ds_read_b32 v16, v8
	ds_read2_b32 v[8:9], v10 offset0:8 offset1:12
	ds_read_b32 v17, v6
	ds_read_b32 v18, v7
	v_add_nc_u32_e32 v12, v5, v12
	v_lshlrev_b32_e32 v19, 2, v11
	ds_read2st64_b32 v[6:7], v1 offset0:8 offset1:10
	ds_read2_b32 v[10:11], v10 offset0:16 offset1:20
	ds_read_b32 v1, v1 offset:3072
	ds_read_b32 v12, v12
	ds_read_b32 v19, v19 offset:5120
	ds_read_b32 v3, v3 offset:5216
	s_waitcnt lgkmcnt(10)
	v_fma_f32 v13, v15, v13, 0
	s_waitcnt lgkmcnt(9)
	v_fmac_f32_e32 v13, v16, v14
	s_waitcnt lgkmcnt(7)
	v_fmac_f32_e32 v13, v17, v8
	;; [unrolled: 2-line block ×4, first 2 shown]
	v_fmac_f32_e32 v13, v7, v11
	s_waitcnt lgkmcnt(0)
	v_fmac_f32_e32 v13, v1, v3
	v_add_lshl_u32 v1, v2, v0, 2
	v_fmac_f32_e32 v13, v12, v19
	ds_write_b32 v1, v13 offset:4096
	s_waitcnt lgkmcnt(0)
	s_barrier
	buffer_gl0_inv
	s_and_saveexec_b32 s4, s0
	s_cbranch_execz .LBB77_9
; %bb.40:
	v_add_nc_u32_e32 v3, 0x1000, v5
	v_mad_u64_u32 v[7:8], null, s2, v0, 0
	v_cmp_neq_f32_e64 vcc_lo, s28, 0
	ds_read2_b32 v[1:2], v3 offset1:32
	ds_read2_b32 v[5:6], v3 offset0:64 offset1:96
	s_waitcnt lgkmcnt(1)
	v_add_f32_e32 v3, 0, v1
	v_mov_b32_e32 v1, v8
	v_add_f32_e32 v2, v3, v2
	v_mad_u64_u32 v[0:1], null, s3, v0, v[1:2]
	s_waitcnt lgkmcnt(0)
	v_add_f32_e32 v1, v2, v5
	v_add_f32_e32 v1, v1, v6
	v_mov_b32_e32 v8, v0
	v_mul_f32_e32 v2, s33, v1
	v_fmac_f32_e32 v4, s33, v1
	v_lshlrev_b64 v[0:1], 2, v[7:8]
	v_cndmask_b32_e32 v2, v2, v4, vcc_lo
	v_add_co_u32 v0, vcc_lo, s1, v0
	v_add_co_ci_u32_e64 v1, null, s6, v1, vcc_lo
	global_store_dword v[0:1], v2, off
	s_endpgm
	.section	.rodata,"a",@progbits
	.p2align	6, 0x0
	.amdhsa_kernel _ZL50rocblas_symv_kernel_lower_double_buffered_diagonalILi32ELi4E24rocblas_internal_val_ptrIfEPKfPfEvbiT1_lT2_lllS6_lllS5_lT3_llli
		.amdhsa_group_segment_fixed_size 5248
		.amdhsa_private_segment_fixed_size 0
		.amdhsa_kernarg_size 140
		.amdhsa_user_sgpr_count 6
		.amdhsa_user_sgpr_private_segment_buffer 1
		.amdhsa_user_sgpr_dispatch_ptr 0
		.amdhsa_user_sgpr_queue_ptr 0
		.amdhsa_user_sgpr_kernarg_segment_ptr 1
		.amdhsa_user_sgpr_dispatch_id 0
		.amdhsa_user_sgpr_flat_scratch_init 0
		.amdhsa_user_sgpr_private_segment_size 0
		.amdhsa_wavefront_size32 1
		.amdhsa_uses_dynamic_stack 0
		.amdhsa_system_sgpr_private_segment_wavefront_offset 0
		.amdhsa_system_sgpr_workgroup_id_x 1
		.amdhsa_system_sgpr_workgroup_id_y 0
		.amdhsa_system_sgpr_workgroup_id_z 1
		.amdhsa_system_sgpr_workgroup_info 0
		.amdhsa_system_vgpr_workitem_id 1
		.amdhsa_next_free_vgpr 20
		.amdhsa_next_free_sgpr 34
		.amdhsa_reserve_vcc 1
		.amdhsa_reserve_flat_scratch 0
		.amdhsa_float_round_mode_32 0
		.amdhsa_float_round_mode_16_64 0
		.amdhsa_float_denorm_mode_32 3
		.amdhsa_float_denorm_mode_16_64 3
		.amdhsa_dx10_clamp 1
		.amdhsa_ieee_mode 1
		.amdhsa_fp16_overflow 0
		.amdhsa_workgroup_processor_mode 1
		.amdhsa_memory_ordered 1
		.amdhsa_forward_progress 1
		.amdhsa_shared_vgpr_count 0
		.amdhsa_exception_fp_ieee_invalid_op 0
		.amdhsa_exception_fp_denorm_src 0
		.amdhsa_exception_fp_ieee_div_zero 0
		.amdhsa_exception_fp_ieee_overflow 0
		.amdhsa_exception_fp_ieee_underflow 0
		.amdhsa_exception_fp_ieee_inexact 0
		.amdhsa_exception_int_div_zero 0
	.end_amdhsa_kernel
	.section	.text._ZL50rocblas_symv_kernel_lower_double_buffered_diagonalILi32ELi4E24rocblas_internal_val_ptrIfEPKfPfEvbiT1_lT2_lllS6_lllS5_lT3_llli,"axG",@progbits,_ZL50rocblas_symv_kernel_lower_double_buffered_diagonalILi32ELi4E24rocblas_internal_val_ptrIfEPKfPfEvbiT1_lT2_lllS6_lllS5_lT3_llli,comdat
.Lfunc_end77:
	.size	_ZL50rocblas_symv_kernel_lower_double_buffered_diagonalILi32ELi4E24rocblas_internal_val_ptrIfEPKfPfEvbiT1_lT2_lllS6_lllS5_lT3_llli, .Lfunc_end77-_ZL50rocblas_symv_kernel_lower_double_buffered_diagonalILi32ELi4E24rocblas_internal_val_ptrIfEPKfPfEvbiT1_lT2_lllS6_lllS5_lT3_llli
                                        ; -- End function
	.set _ZL50rocblas_symv_kernel_lower_double_buffered_diagonalILi32ELi4E24rocblas_internal_val_ptrIfEPKfPfEvbiT1_lT2_lllS6_lllS5_lT3_llli.num_vgpr, 20
	.set _ZL50rocblas_symv_kernel_lower_double_buffered_diagonalILi32ELi4E24rocblas_internal_val_ptrIfEPKfPfEvbiT1_lT2_lllS6_lllS5_lT3_llli.num_agpr, 0
	.set _ZL50rocblas_symv_kernel_lower_double_buffered_diagonalILi32ELi4E24rocblas_internal_val_ptrIfEPKfPfEvbiT1_lT2_lllS6_lllS5_lT3_llli.numbered_sgpr, 34
	.set _ZL50rocblas_symv_kernel_lower_double_buffered_diagonalILi32ELi4E24rocblas_internal_val_ptrIfEPKfPfEvbiT1_lT2_lllS6_lllS5_lT3_llli.num_named_barrier, 0
	.set _ZL50rocblas_symv_kernel_lower_double_buffered_diagonalILi32ELi4E24rocblas_internal_val_ptrIfEPKfPfEvbiT1_lT2_lllS6_lllS5_lT3_llli.private_seg_size, 0
	.set _ZL50rocblas_symv_kernel_lower_double_buffered_diagonalILi32ELi4E24rocblas_internal_val_ptrIfEPKfPfEvbiT1_lT2_lllS6_lllS5_lT3_llli.uses_vcc, 1
	.set _ZL50rocblas_symv_kernel_lower_double_buffered_diagonalILi32ELi4E24rocblas_internal_val_ptrIfEPKfPfEvbiT1_lT2_lllS6_lllS5_lT3_llli.uses_flat_scratch, 0
	.set _ZL50rocblas_symv_kernel_lower_double_buffered_diagonalILi32ELi4E24rocblas_internal_val_ptrIfEPKfPfEvbiT1_lT2_lllS6_lllS5_lT3_llli.has_dyn_sized_stack, 0
	.set _ZL50rocblas_symv_kernel_lower_double_buffered_diagonalILi32ELi4E24rocblas_internal_val_ptrIfEPKfPfEvbiT1_lT2_lllS6_lllS5_lT3_llli.has_recursion, 0
	.set _ZL50rocblas_symv_kernel_lower_double_buffered_diagonalILi32ELi4E24rocblas_internal_val_ptrIfEPKfPfEvbiT1_lT2_lllS6_lllS5_lT3_llli.has_indirect_call, 0
	.section	.AMDGPU.csdata,"",@progbits
; Kernel info:
; codeLenInByte = 1940
; TotalNumSgprs: 36
; NumVgprs: 20
; ScratchSize: 0
; MemoryBound: 0
; FloatMode: 240
; IeeeMode: 1
; LDSByteSize: 5248 bytes/workgroup (compile time only)
; SGPRBlocks: 0
; VGPRBlocks: 2
; NumSGPRsForWavesPerEU: 36
; NumVGPRsForWavesPerEU: 20
; Occupancy: 16
; WaveLimiterHint : 0
; COMPUTE_PGM_RSRC2:SCRATCH_EN: 0
; COMPUTE_PGM_RSRC2:USER_SGPR: 6
; COMPUTE_PGM_RSRC2:TRAP_HANDLER: 0
; COMPUTE_PGM_RSRC2:TGID_X_EN: 1
; COMPUTE_PGM_RSRC2:TGID_Y_EN: 0
; COMPUTE_PGM_RSRC2:TGID_Z_EN: 1
; COMPUTE_PGM_RSRC2:TIDIG_COMP_CNT: 1
	.section	.text._ZL54rocblas_symv_kernel_lower_double_buffered_non_diagonalILi32ELi4ELi4E24rocblas_internal_val_ptrIfEPKfPfEvbiT2_lT3_lllS6_lllT4_llli,"axG",@progbits,_ZL54rocblas_symv_kernel_lower_double_buffered_non_diagonalILi32ELi4ELi4E24rocblas_internal_val_ptrIfEPKfPfEvbiT2_lT3_lllS6_lllT4_llli,comdat
	.globl	_ZL54rocblas_symv_kernel_lower_double_buffered_non_diagonalILi32ELi4ELi4E24rocblas_internal_val_ptrIfEPKfPfEvbiT2_lT3_lllS6_lllT4_llli ; -- Begin function _ZL54rocblas_symv_kernel_lower_double_buffered_non_diagonalILi32ELi4ELi4E24rocblas_internal_val_ptrIfEPKfPfEvbiT2_lT3_lllS6_lllT4_llli
	.p2align	8
	.type	_ZL54rocblas_symv_kernel_lower_double_buffered_non_diagonalILi32ELi4ELi4E24rocblas_internal_val_ptrIfEPKfPfEvbiT2_lT3_lllS6_lllT4_llli,@function
_ZL54rocblas_symv_kernel_lower_double_buffered_non_diagonalILi32ELi4ELi4E24rocblas_internal_val_ptrIfEPKfPfEvbiT2_lT3_lllS6_lllT4_llli: ; @_ZL54rocblas_symv_kernel_lower_double_buffered_non_diagonalILi32ELi4ELi4E24rocblas_internal_val_ptrIfEPKfPfEvbiT2_lT3_lllS6_lllT4_llli
; %bb.0:
	s_clause 0x1
	s_load_dword s0, s[4:5], 0x0
	s_load_dwordx16 s[12:27], s[4:5], 0x8
	s_waitcnt lgkmcnt(0)
	s_bitcmp0_b32 s0, 0
	s_mov_b32 s0, 0
	s_cbranch_scc0 .LBB78_2
; %bb.1:
	s_mul_i32 s1, s15, s8
	s_mul_hi_u32 s2, s14, s8
	s_add_i32 s3, s2, s1
	s_mul_i32 s2, s14, s8
	s_lshl_b64 s[2:3], s[2:3], 2
	s_add_u32 s2, s12, s2
	s_addc_u32 s3, s13, s3
	s_load_dword s28, s[2:3], 0x0
	s_andn2_b32 vcc_lo, exec_lo, s0
	s_cbranch_vccz .LBB78_3
	s_branch .LBB78_4
.LBB78_2:
                                        ; implicit-def: $sgpr28
.LBB78_3:
	s_waitcnt lgkmcnt(0)
	s_mov_b32 s28, s12
.LBB78_4:
	s_waitcnt lgkmcnt(0)
	v_cmp_eq_f32_e64 s0, s28, 0
	s_and_b32 vcc_lo, exec_lo, s0
	s_cbranch_vccnz .LBB78_29
; %bb.5:
	s_load_dwordx2 s[0:1], s[4:5], 0x80
	s_waitcnt lgkmcnt(0)
	v_cvt_f32_u32_e32 v2, s1
	s_add_i32 s2, s0, -1
	s_cmp_eq_u32 s6, s2
	v_rcp_iflag_f32_e32 v2, v2
	v_mul_f32_e32 v2, 0x4f7ffffe, v2
	v_cvt_u32_f32_e32 v2, v2
	v_readfirstlane_b32 s3, v2
	s_cbranch_scc1 .LBB78_29
; %bb.6:
	s_load_dwordx4 s[12:15], s[4:5], 0x48
	s_not_b32 s2, s6
	s_sub_i32 s9, 0, s1
	s_add_i32 s2, s0, s2
	s_mul_i32 s9, s9, s3
	v_cmp_eq_u32_e32 vcc_lo, 0, v1
	s_waitcnt lgkmcnt(0)
	s_mul_i32 s0, s15, s8
	s_mul_hi_u32 s11, s14, s8
	s_mul_i32 s10, s14, s8
	s_add_i32 s11, s11, s0
	s_mul_hi_u32 s0, s3, s9
	s_lshl_b64 s[10:11], s[10:11], 2
	s_add_i32 s3, s3, s0
	s_add_u32 s0, s24, s10
	s_addc_u32 s9, s25, s11
	s_lshl_b64 s[10:11], s[26:27], 2
	s_mul_hi_u32 s3, s2, s3
	s_add_u32 s0, s0, s10
	s_addc_u32 s11, s9, s11
	s_lshl_b32 s9, s6, 5
	s_ashr_i32 s10, s9, 31
	s_mul_hi_u32 s6, s12, s9
	s_mul_i32 s14, s12, s10
	s_mul_i32 s15, s13, s9
	s_add_i32 s6, s6, s14
	s_mul_i32 s14, s12, s9
	s_add_i32 s15, s6, s15
	s_lshl_b64 s[14:15], s[14:15], 2
	s_add_u32 s25, s0, s14
	s_addc_u32 s24, s11, s15
	s_and_saveexec_b32 s6, vcc_lo
	s_cbranch_execz .LBB78_8
; %bb.7:
	v_mad_u64_u32 v[2:3], null, s12, v0, 0
	v_mad_u64_u32 v[3:4], null, s13, v0, v[3:4]
	v_lshlrev_b64 v[2:3], 2, v[2:3]
	v_add_co_u32 v2, s0, s25, v2
	v_add_co_ci_u32_e64 v3, null, s24, v3, s0
	global_load_dword v2, v[2:3], off
	v_lshlrev_b32_e32 v3, 2, v0
	s_waitcnt vmcnt(0)
	ds_write_b32 v3, v2 offset:3072
.LBB78_8:
	s_or_b32 exec_lo, exec_lo, s6
	s_mul_i32 s0, s3, s1
	s_add_i32 s6, s3, 1
	s_sub_i32 s0, s2, s0
	s_sub_i32 s11, s0, s1
	s_cmp_ge_u32 s0, s1
	s_cselect_b32 s3, s6, s3
	s_cselect_b32 s0, s11, s0
	s_add_i32 s6, s3, 1
	s_cmp_ge_u32 s0, s1
	s_cselect_b32 s6, s6, s3
	s_add_i32 s0, s1, -1
	s_mov_b32 s26, s6
	s_cmp_lg_u32 s7, s0
	s_cbranch_scc1 .LBB78_10
; %bb.9:
	s_mul_i32 s0, s6, s1
	s_sub_i32 s0, s2, s0
	s_add_i32 s26, s0, s6
.LBB78_10:
	s_cmp_eq_u32 s26, 0
	s_cbranch_scc1 .LBB78_29
; %bb.11:
	s_clause 0x2
	s_load_dwordx2 s[14:15], s[4:5], 0x70
	s_load_dwordx4 s[0:3], s[4:5], 0x60
	s_load_dwordx2 s[4:5], s[4:5], 0x58
	v_lshl_add_u32 v2, v1, 5, v0
	v_and_b32_e32 v1, 15, v0
	s_waitcnt lgkmcnt(0)
	s_barrier
	buffer_gl0_inv
	v_lshrrev_b32_e32 v17, 4, v2
	s_mul_i32 s11, s15, s8
	s_mul_hi_u32 s15, s14, s8
	s_mul_i32 s14, s14, s8
	s_add_i32 s15, s15, s11
	s_mul_i32 s11, s2, s10
	s_lshl_b64 s[14:15], s[14:15], 2
	s_mul_hi_u32 s27, s2, s9
	s_add_u32 s4, s4, s14
	s_addc_u32 s5, s5, s15
	s_lshl_b64 s[0:1], s[0:1], 2
	s_mul_i32 s14, s3, s9
	s_add_u32 s4, s4, s0
	s_addc_u32 s5, s5, s1
	s_add_i32 s1, s27, s11
	s_mul_i32 s0, s2, s9
	s_add_i32 s1, s1, s14
	s_lshl_b64 s[0:1], s[0:1], 2
	s_add_u32 s14, s4, s0
	s_addc_u32 s15, s5, s1
	s_cmp_lt_i32 s26, 1
	s_cbranch_scc1 .LBB78_20
; %bb.12:
	v_lshlrev_b32_e32 v5, 2, v17
	v_mov_b32_e32 v2, 0
	s_mul_i32 s0, s23, s8
	s_mul_hi_u32 s1, s22, s8
	s_mul_i32 s7, s7, s6
	s_add_i32 s1, s1, s0
	s_mul_i32 s0, s22, s8
	s_lshl_b32 s6, s7, 5
	s_lshl_b64 s[0:1], s[0:1], 2
	v_mad_u64_u32 v[3:4], null, s20, v5, v[1:2]
	s_ashr_i32 s7, s6, 31
	s_add_u32 s4, s16, s0
	s_addc_u32 s5, s17, s1
	s_lshl_b64 s[0:1], s[18:19], 2
	s_mul_hi_u32 s16, s12, s6
	s_add_u32 s4, s4, s0
	s_addc_u32 s5, s5, s1
	s_add_u32 s0, s20, 1
	v_mad_u64_u32 v[4:5], null, s21, v5, v[4:5]
	s_mul_i32 s1, s0, s10
	s_mul_hi_u32 s8, s0, s9
	s_addc_u32 s10, s21, 0
	s_add_i32 s1, s8, s1
	s_mul_i32 s10, s10, s9
	s_mul_i32 s0, s0, s9
	s_add_i32 s1, s1, s10
	v_lshlrev_b64 v[5:6], 2, v[3:4]
	s_lshl_b64 s[0:1], s[0:1], 2
	v_lshl_or_b32 v15, v1, 2, 0x800
	s_add_u32 s4, s4, s0
	s_addc_u32 s5, s5, s1
	s_lshl_b64 s[0:1], s[6:7], 2
	v_lshlrev_b32_e32 v16, 7, v17
	s_add_u32 s8, s4, s0
	s_addc_u32 s9, s5, s1
	v_add_co_u32 v3, s0, s8, v5
	v_add_co_ci_u32_e64 v4, null, s9, v6, s0
	s_lshl_b64 s[4:5], s[20:21], 2
	s_mul_hi_u32 s1, s2, s6
	v_add_co_u32 v7, s0, v3, s4
	v_add_co_ci_u32_e64 v8, null, s5, v4, s0
	s_lshl_b64 s[10:11], s[12:13], 7
	v_add_co_u32 v9, s0, v7, s4
	v_add_co_ci_u32_e64 v10, null, s5, v8, s0
	v_lshl_add_u32 v23, v17, 4, 0xc00
	v_add_co_u32 v11, s0, v9, s4
	v_add_co_ci_u32_e64 v12, null, s5, v10, s0
	s_clause 0x3
	global_load_dword v24, v[3:4], off offset:128
	global_load_dword v25, v[7:8], off offset:128
	;; [unrolled: 1-line block ×4, first 2 shown]
	v_or_b32_e32 v12, 16, v1
	v_mad_u64_u32 v[9:10], null, s12, v1, 0
	v_mad_u64_u32 v[3:4], null, s2, v0, 0
	;; [unrolled: 1-line block ×3, first 2 shown]
	s_mul_i32 s0, s2, s7
	s_mul_i32 s7, s12, s7
	v_mov_b32_e32 v7, v10
	s_add_i32 s0, s1, s0
	s_mul_i32 s1, s3, s6
	v_lshl_or_b32 v21, v0, 2, 0x800
	v_mov_b32_e32 v8, v14
	s_add_i32 s1, s0, s1
	s_mul_i32 s0, s2, s6
	v_add_nc_u32_e32 v22, v15, v16
	s_lshl_b64 s[0:1], s[0:1], 2
	v_mad_u64_u32 v[10:11], null, s13, v1, v[7:8]
	v_mad_u64_u32 v[7:8], null, s13, v12, v[8:9]
	;; [unrolled: 1-line block ×3, first 2 shown]
	s_add_u32 s0, s14, s0
	s_addc_u32 s1, s15, s1
	s_add_i32 s7, s16, s7
	s_mul_i32 s16, s13, s6
	v_mov_b32_e32 v14, v7
	s_add_i32 s7, s7, s16
	s_mul_i32 s6, s12, s6
	v_mov_b32_e32 v4, v11
	s_lshl_b64 s[6:7], s[6:7], 2
	v_lshlrev_b64 v[11:12], 2, v[9:10]
	v_lshlrev_b64 v[9:10], 2, v[13:14]
	s_add_u32 s13, s25, s6
	s_addc_u32 s12, s24, s7
	s_lshl_b64 s[6:7], s[2:3], 7
	s_cmp_eq_u32 s26, 1
	s_cbranch_scc1 .LBB78_21
; %bb.13:
	v_mov_b32_e32 v18, 0
	s_add_u32 s8, s8, 0x80
	v_mov_b32_e32 v8, s1
	s_addc_u32 s9, s9, 0
	s_lshl_b64 s[16:17], s[20:21], 3
	v_mov_b32_e32 v7, s0
	v_mov_b32_e32 v20, 0
	;; [unrolled: 1-line block ×4, first 2 shown]
	s_add_i32 s26, s26, -2
	s_sub_u32 s16, 0, s16
	s_subb_u32 s17, 0, s17
	s_mov_b32 s18, 0
.LBB78_14:                              ; =>This Loop Header: Depth=1
                                        ;     Child Loop BB78_16 Depth 2
	v_add_co_u32 v13, s0, s8, v5
	s_add_u32 s13, s13, s10
	v_add_co_ci_u32_e64 v14, null, s9, v6, s0
	s_addc_u32 s12, s12, s11
	v_add_co_u32 v15, s0, s13, v11
	v_add_co_ci_u32_e64 v16, null, s12, v12, s0
	v_add_co_u32 v28, s0, v13, s4
	v_add_co_ci_u32_e64 v29, null, s5, v14, s0
	;; [unrolled: 2-line block ×4, first 2 shown]
	s_clause 0x1
	global_load_dword v32, v[13:14], off offset:64
	global_load_dword v33, v[28:29], off offset:64
	v_add_co_u32 v36, s0, v34, s4
	v_add_co_ci_u32_e64 v37, null, s5, v35, s0
	global_load_dword v34, v[34:35], off offset:64
	v_add_co_u32 v28, s0, v36, s16
	v_add_co_ci_u32_e64 v29, null, s17, v37, s0
	;; [unrolled: 3-line block ×3, first 2 shown]
	v_add_co_u32 v40, s0, v38, s4
	v_add_co_ci_u32_e64 v41, null, s5, v39, s0
	s_clause 0x1
	global_load_dword v37, v[15:16], off
	global_load_dword v36, v[30:31], off
	s_clause 0x3
	global_load_dword v30, v[28:29], off offset:128
	global_load_dword v29, v[38:39], off offset:128
	;; [unrolled: 1-line block ×4, first 2 shown]
	ds_read_b128 v[13:16], v23
	s_waitcnt vmcnt(0) lgkmcnt(0)
	s_barrier
	buffer_gl0_inv
	v_fma_f32 v38, v24, v13, 0
	v_fmac_f32_e32 v38, v25, v14
	v_fmac_f32_e32 v38, v26, v15
	;; [unrolled: 1-line block ×3, first 2 shown]
	v_fma_f32 v13, v32, v13, 0
	v_fmac_f32_e32 v13, v33, v14
	v_fmac_f32_e32 v13, v34, v15
	;; [unrolled: 1-line block ×3, first 2 shown]
	ds_write2_b32 v22, v38, v13 offset1:16
	s_waitcnt lgkmcnt(0)
	s_barrier
	buffer_gl0_inv
	s_and_saveexec_b32 s1, vcc_lo
	s_cbranch_execz .LBB78_18
; %bb.15:                               ;   in Loop: Header=BB78_14 Depth=1
	v_lshlrev_b64 v[13:14], 2, v[3:4]
	v_add_co_u32 v7, s0, v7, s6
	v_add_co_ci_u32_e64 v8, null, s7, v8, s0
	s_mov_b32 s19, 0
	v_add_co_u32 v13, s0, v7, v13
	v_add_co_ci_u32_e64 v14, null, v8, v14, s0
	global_load_dword v16, v[13:14], off
	ds_read2_b32 v[38:39], v21 offset1:32
	ds_read2_b32 v[40:41], v21 offset0:64 offset1:96
	ds_read2_b32 v[42:43], v21 offset0:128 offset1:160
	s_waitcnt lgkmcnt(2)
	v_add_f32_e32 v15, 0, v38
	v_add_f32_e32 v15, v15, v39
	ds_read2_b32 v[38:39], v21 offset0:192 offset1:224
	s_waitcnt lgkmcnt(2)
	v_add_f32_e32 v15, v15, v40
	v_add_f32_e32 v15, v15, v41
	s_waitcnt lgkmcnt(1)
	v_add_f32_e32 v15, v15, v42
	v_add_f32_e32 v15, v15, v43
	;; [unrolled: 3-line block ×3, first 2 shown]
	v_mul_f32_e32 v38, s28, v15
.LBB78_16:                              ;   Parent Loop BB78_14 Depth=1
                                        ; =>  This Inner Loop Header: Depth=2
	s_waitcnt vmcnt(0)
	v_add_f32_e32 v15, v16, v38
	global_atomic_cmpswap v15, v[13:14], v[15:16], off glc
	s_waitcnt vmcnt(0)
	v_cmp_eq_u32_e64 s0, v15, v16
	v_mov_b32_e32 v16, v15
	s_or_b32 s19, s0, s19
	s_andn2_b32 exec_lo, exec_lo, s19
	s_cbranch_execnz .LBB78_16
; %bb.17:                               ;   in Loop: Header=BB78_14 Depth=1
	s_or_b32 exec_lo, exec_lo, s19
.LBB78_18:                              ;   in Loop: Header=BB78_14 Depth=1
	s_or_b32 exec_lo, exec_lo, s1
	v_fmac_f32_e32 v18, v37, v24
	v_fmac_f32_e32 v20, v37, v25
	;; [unrolled: 1-line block ×4, first 2 shown]
	s_add_u32 s0, s8, 0x80
	v_fmac_f32_e32 v18, v36, v32
	v_fmac_f32_e32 v20, v36, v33
	;; [unrolled: 1-line block ×4, first 2 shown]
	s_addc_u32 s1, s9, 0
	s_add_i32 s19, s18, 1
	s_cmp_eq_u32 s18, s26
	s_cbranch_scc1 .LBB78_22
; %bb.19:                               ;   in Loop: Header=BB78_14 Depth=1
	v_mov_b32_e32 v24, v31
	v_mov_b32_e32 v25, v30
	;; [unrolled: 1-line block ×4, first 2 shown]
	s_mov_b32 s18, s19
	s_mov_b64 s[8:9], s[0:1]
	s_branch .LBB78_14
.LBB78_20:
	v_mov_b32_e32 v2, 0
	v_mov_b32_e32 v19, v2
	;; [unrolled: 1-line block ×4, first 2 shown]
	s_branch .LBB78_26
.LBB78_21:
	v_mov_b32_e32 v8, s1
	v_mov_b32_e32 v7, s0
	s_waitcnt vmcnt(0)
	v_mov_b32_e32 v28, v27
	v_mov_b32_e32 v29, v26
	;; [unrolled: 1-line block ×7, first 2 shown]
.LBB78_22:
	v_add_co_u32 v5, s0, s8, v5
	v_add_co_ci_u32_e64 v6, null, s9, v6, s0
	s_add_u32 s1, s13, s10
	v_add_co_u32 v14, s0, v5, s4
	v_add_co_ci_u32_e64 v15, null, s5, v6, s0
	global_load_dword v13, v[5:6], off offset:192
	v_add_co_u32 v5, s0, v14, s4
	v_add_co_ci_u32_e64 v6, null, s5, v15, s0
	s_addc_u32 s8, s12, s11
	v_add_co_u32 v24, s0, s1, v11
	v_add_co_ci_u32_e64 v25, null, s8, v12, s0
	s_clause 0x1
	global_load_dword v11, v[14:15], off offset:192
	global_load_dword v12, v[5:6], off offset:192
	v_add_co_u32 v5, s0, v5, s4
	v_add_co_ci_u32_e64 v6, null, s5, v6, s0
	global_load_dword v15, v[24:25], off
	global_load_dword v14, v[5:6], off offset:192
	v_add_co_u32 v5, s0, s1, v9
	v_add_co_ci_u32_e64 v6, null, s8, v10, s0
	ds_read_b128 v[23:26], v23
	global_load_dword v9, v[5:6], off
	s_waitcnt vmcnt(0) lgkmcnt(0)
	s_barrier
	buffer_gl0_inv
	v_fma_f32 v5, v31, v23, 0
	v_fmac_f32_e32 v5, v30, v24
	v_fmac_f32_e32 v5, v29, v25
	;; [unrolled: 1-line block ×3, first 2 shown]
	v_fma_f32 v6, v13, v23, 0
	v_fmac_f32_e32 v6, v11, v24
	v_fmac_f32_e32 v6, v12, v25
	;; [unrolled: 1-line block ×7, first 2 shown]
	ds_write2_b32 v22, v5, v6 offset1:16
	s_waitcnt lgkmcnt(0)
	s_barrier
	buffer_gl0_inv
	s_and_saveexec_b32 s1, vcc_lo
	s_cbranch_execz .LBB78_25
; %bb.23:
	v_lshlrev_b64 v[3:4], 2, v[3:4]
	v_add_co_u32 v5, s0, v7, s6
	v_add_co_ci_u32_e64 v6, null, s7, v8, s0
	s_mov_b32 s4, 0
	v_add_co_u32 v3, s0, v5, v3
	v_add_co_ci_u32_e64 v4, null, v6, v4, s0
	global_load_dword v6, v[3:4], off
	ds_read2_b32 v[7:8], v21 offset1:32
	ds_read2_b32 v[15:16], v21 offset0:64 offset1:96
	ds_read2_b32 v[22:23], v21 offset0:128 offset1:160
	s_waitcnt lgkmcnt(2)
	v_add_f32_e32 v5, 0, v7
	v_add_f32_e32 v5, v5, v8
	ds_read2_b32 v[7:8], v21 offset0:192 offset1:224
	s_waitcnt lgkmcnt(2)
	v_add_f32_e32 v5, v5, v15
	v_add_f32_e32 v5, v5, v16
	s_waitcnt lgkmcnt(1)
	v_add_f32_e32 v5, v5, v22
	v_add_f32_e32 v5, v5, v23
	;; [unrolled: 3-line block ×3, first 2 shown]
	v_mul_f32_e32 v7, s28, v5
.LBB78_24:                              ; =>This Inner Loop Header: Depth=1
	s_waitcnt vmcnt(0)
	v_add_f32_e32 v5, v6, v7
	global_atomic_cmpswap v5, v[3:4], v[5:6], off glc
	s_waitcnt vmcnt(0)
	v_cmp_eq_u32_e64 s0, v5, v6
	v_mov_b32_e32 v6, v5
	s_or_b32 s4, s0, s4
	s_andn2_b32 exec_lo, exec_lo, s4
	s_cbranch_execnz .LBB78_24
.LBB78_25:
	s_or_b32 exec_lo, exec_lo, s1
	v_fmac_f32_e32 v18, v9, v13
	v_fmac_f32_e32 v20, v9, v11
	;; [unrolled: 1-line block ×4, first 2 shown]
.LBB78_26:
	v_lshlrev_b32_e32 v3, 8, v17
	v_lshl_or_b32 v3, v1, 2, v3
	ds_write2_b32 v3, v18, v20 offset1:16
	ds_write2_b32 v3, v19, v2 offset0:32 offset1:48
	s_waitcnt lgkmcnt(0)
	s_barrier
	buffer_gl0_inv
	s_and_saveexec_b32 s0, vcc_lo
	s_cbranch_execz .LBB78_29
; %bb.27:
	v_mad_u64_u32 v[2:3], null, s2, v0, 0
	v_add_nc_u32_e32 v6, 2, v0
	v_lshlrev_b32_e32 v7, 6, v0
	v_add_nc_u32_e32 v9, 3, v0
	v_add_nc_u32_e32 v10, 4, v0
	;; [unrolled: 1-line block ×3, first 2 shown]
	v_and_b32_e32 v6, 15, v6
	v_mad_u64_u32 v[3:4], null, s3, v0, v[3:4]
	v_add_nc_u32_e32 v4, 1, v0
	v_lshl_or_b32 v8, v1, 2, v7
	v_lshl_or_b32 v6, v6, 2, v7
	v_add_nc_u32_e32 v12, 6, v0
	v_add_nc_u32_e32 v13, 7, v0
	v_and_b32_e32 v4, 15, v4
	v_lshlrev_b64 v[2:3], 2, v[2:3]
	v_and_b32_e32 v9, 15, v9
	v_and_b32_e32 v10, 15, v10
	;; [unrolled: 1-line block ×3, first 2 shown]
	v_lshl_or_b32 v4, v4, 2, v7
	v_and_b32_e32 v12, 15, v12
	v_add_co_u32 v2, vcc_lo, s14, v2
	v_add_co_ci_u32_e64 v3, null, s15, v3, vcc_lo
	v_and_b32_e32 v13, 15, v13
	v_lshl_or_b32 v9, v9, 2, v7
	v_lshl_or_b32 v10, v10, 2, v7
	global_load_dword v5, v[2:3], off
	ds_read_b32 v8, v8
	ds_read_b32 v4, v4
	;; [unrolled: 1-line block ×3, first 2 shown]
	v_lshl_or_b32 v11, v11, 2, v7
	v_lshl_or_b32 v12, v12, 2, v7
	;; [unrolled: 1-line block ×3, first 2 shown]
	ds_read_b32 v9, v9
	ds_read_b32 v10, v10
	;; [unrolled: 1-line block ×5, first 2 shown]
	v_xor_b32_e32 v1, 8, v1
	s_mov_b32 s0, 0
	v_lshl_or_b32 v1, v1, 2, v7
	s_waitcnt lgkmcnt(7)
	v_add_f32_e32 v8, 0, v8
	s_waitcnt lgkmcnt(6)
	v_add_f32_e32 v4, v8, v4
	v_add_nc_u32_e32 v8, 10, v0
	s_waitcnt lgkmcnt(5)
	v_add_f32_e32 v4, v4, v6
	v_add_nc_u32_e32 v6, 9, v0
	v_and_b32_e32 v8, 15, v8
	s_waitcnt lgkmcnt(4)
	v_add_f32_e32 v4, v4, v9
	v_and_b32_e32 v6, 15, v6
	v_lshl_or_b32 v8, v8, 2, v7
	v_add_nc_u32_e32 v9, 11, v0
	s_waitcnt lgkmcnt(3)
	v_add_f32_e32 v4, v4, v10
	v_lshl_or_b32 v6, v6, 2, v7
	v_add_nc_u32_e32 v10, 12, v0
	ds_read_b32 v1, v1
	ds_read_b32 v6, v6
	;; [unrolled: 1-line block ×3, first 2 shown]
	s_waitcnt lgkmcnt(5)
	v_add_f32_e32 v4, v4, v11
	v_add_nc_u32_e32 v11, 13, v0
	v_and_b32_e32 v9, 15, v9
	v_and_b32_e32 v10, 15, v10
	s_waitcnt lgkmcnt(4)
	v_add_f32_e32 v4, v4, v12
	v_add_nc_u32_e32 v12, 14, v0
	v_add_nc_u32_e32 v0, -1, v0
	v_and_b32_e32 v11, 15, v11
	v_lshl_or_b32 v9, v9, 2, v7
	s_waitcnt lgkmcnt(3)
	v_add_f32_e32 v4, v4, v13
	v_and_b32_e32 v12, 15, v12
	v_and_b32_e32 v0, 15, v0
	v_lshl_or_b32 v10, v10, 2, v7
	v_lshl_or_b32 v11, v11, 2, v7
	;; [unrolled: 1-line block ×4, first 2 shown]
	ds_read_b32 v7, v9
	ds_read_b32 v9, v10
	;; [unrolled: 1-line block ×5, first 2 shown]
	s_waitcnt lgkmcnt(7)
	v_add_f32_e32 v1, v4, v1
	s_waitcnt lgkmcnt(6)
	v_add_f32_e32 v1, v1, v6
	s_waitcnt lgkmcnt(5)
	v_add_f32_e32 v1, v1, v8
	s_waitcnt lgkmcnt(4)
	v_add_f32_e32 v1, v1, v7
	s_waitcnt lgkmcnt(3)
	v_add_f32_e32 v1, v1, v9
	s_waitcnt lgkmcnt(2)
	v_add_f32_e32 v1, v1, v10
	s_waitcnt lgkmcnt(1)
	v_add_f32_e32 v1, v1, v11
	s_waitcnt lgkmcnt(0)
	v_add_f32_e32 v0, v1, v0
	v_mul_f32_e32 v0, s28, v0
.LBB78_28:                              ; =>This Inner Loop Header: Depth=1
	s_waitcnt vmcnt(0)
	v_add_f32_e32 v4, v5, v0
	global_atomic_cmpswap v1, v[2:3], v[4:5], off glc
	s_waitcnt vmcnt(0)
	v_cmp_eq_u32_e32 vcc_lo, v1, v5
	v_mov_b32_e32 v5, v1
	s_or_b32 s0, vcc_lo, s0
	s_andn2_b32 exec_lo, exec_lo, s0
	s_cbranch_execnz .LBB78_28
.LBB78_29:
	s_endpgm
	.section	.rodata,"a",@progbits
	.p2align	6, 0x0
	.amdhsa_kernel _ZL54rocblas_symv_kernel_lower_double_buffered_non_diagonalILi32ELi4ELi4E24rocblas_internal_val_ptrIfEPKfPfEvbiT2_lT3_lllS6_lllT4_llli
		.amdhsa_group_segment_fixed_size 3200
		.amdhsa_private_segment_fixed_size 0
		.amdhsa_kernarg_size 384
		.amdhsa_user_sgpr_count 6
		.amdhsa_user_sgpr_private_segment_buffer 1
		.amdhsa_user_sgpr_dispatch_ptr 0
		.amdhsa_user_sgpr_queue_ptr 0
		.amdhsa_user_sgpr_kernarg_segment_ptr 1
		.amdhsa_user_sgpr_dispatch_id 0
		.amdhsa_user_sgpr_flat_scratch_init 0
		.amdhsa_user_sgpr_private_segment_size 0
		.amdhsa_wavefront_size32 1
		.amdhsa_uses_dynamic_stack 0
		.amdhsa_system_sgpr_private_segment_wavefront_offset 0
		.amdhsa_system_sgpr_workgroup_id_x 1
		.amdhsa_system_sgpr_workgroup_id_y 1
		.amdhsa_system_sgpr_workgroup_id_z 1
		.amdhsa_system_sgpr_workgroup_info 0
		.amdhsa_system_vgpr_workitem_id 1
		.amdhsa_next_free_vgpr 44
		.amdhsa_next_free_sgpr 29
		.amdhsa_reserve_vcc 1
		.amdhsa_reserve_flat_scratch 0
		.amdhsa_float_round_mode_32 0
		.amdhsa_float_round_mode_16_64 0
		.amdhsa_float_denorm_mode_32 3
		.amdhsa_float_denorm_mode_16_64 3
		.amdhsa_dx10_clamp 1
		.amdhsa_ieee_mode 1
		.amdhsa_fp16_overflow 0
		.amdhsa_workgroup_processor_mode 1
		.amdhsa_memory_ordered 1
		.amdhsa_forward_progress 1
		.amdhsa_shared_vgpr_count 0
		.amdhsa_exception_fp_ieee_invalid_op 0
		.amdhsa_exception_fp_denorm_src 0
		.amdhsa_exception_fp_ieee_div_zero 0
		.amdhsa_exception_fp_ieee_overflow 0
		.amdhsa_exception_fp_ieee_underflow 0
		.amdhsa_exception_fp_ieee_inexact 0
		.amdhsa_exception_int_div_zero 0
	.end_amdhsa_kernel
	.section	.text._ZL54rocblas_symv_kernel_lower_double_buffered_non_diagonalILi32ELi4ELi4E24rocblas_internal_val_ptrIfEPKfPfEvbiT2_lT3_lllS6_lllT4_llli,"axG",@progbits,_ZL54rocblas_symv_kernel_lower_double_buffered_non_diagonalILi32ELi4ELi4E24rocblas_internal_val_ptrIfEPKfPfEvbiT2_lT3_lllS6_lllT4_llli,comdat
.Lfunc_end78:
	.size	_ZL54rocblas_symv_kernel_lower_double_buffered_non_diagonalILi32ELi4ELi4E24rocblas_internal_val_ptrIfEPKfPfEvbiT2_lT3_lllS6_lllT4_llli, .Lfunc_end78-_ZL54rocblas_symv_kernel_lower_double_buffered_non_diagonalILi32ELi4ELi4E24rocblas_internal_val_ptrIfEPKfPfEvbiT2_lT3_lllS6_lllT4_llli
                                        ; -- End function
	.set _ZL54rocblas_symv_kernel_lower_double_buffered_non_diagonalILi32ELi4ELi4E24rocblas_internal_val_ptrIfEPKfPfEvbiT2_lT3_lllS6_lllT4_llli.num_vgpr, 44
	.set _ZL54rocblas_symv_kernel_lower_double_buffered_non_diagonalILi32ELi4ELi4E24rocblas_internal_val_ptrIfEPKfPfEvbiT2_lT3_lllS6_lllT4_llli.num_agpr, 0
	.set _ZL54rocblas_symv_kernel_lower_double_buffered_non_diagonalILi32ELi4ELi4E24rocblas_internal_val_ptrIfEPKfPfEvbiT2_lT3_lllS6_lllT4_llli.numbered_sgpr, 29
	.set _ZL54rocblas_symv_kernel_lower_double_buffered_non_diagonalILi32ELi4ELi4E24rocblas_internal_val_ptrIfEPKfPfEvbiT2_lT3_lllS6_lllT4_llli.num_named_barrier, 0
	.set _ZL54rocblas_symv_kernel_lower_double_buffered_non_diagonalILi32ELi4ELi4E24rocblas_internal_val_ptrIfEPKfPfEvbiT2_lT3_lllS6_lllT4_llli.private_seg_size, 0
	.set _ZL54rocblas_symv_kernel_lower_double_buffered_non_diagonalILi32ELi4ELi4E24rocblas_internal_val_ptrIfEPKfPfEvbiT2_lT3_lllS6_lllT4_llli.uses_vcc, 1
	.set _ZL54rocblas_symv_kernel_lower_double_buffered_non_diagonalILi32ELi4ELi4E24rocblas_internal_val_ptrIfEPKfPfEvbiT2_lT3_lllS6_lllT4_llli.uses_flat_scratch, 0
	.set _ZL54rocblas_symv_kernel_lower_double_buffered_non_diagonalILi32ELi4ELi4E24rocblas_internal_val_ptrIfEPKfPfEvbiT2_lT3_lllS6_lllT4_llli.has_dyn_sized_stack, 0
	.set _ZL54rocblas_symv_kernel_lower_double_buffered_non_diagonalILi32ELi4ELi4E24rocblas_internal_val_ptrIfEPKfPfEvbiT2_lT3_lllS6_lllT4_llli.has_recursion, 0
	.set _ZL54rocblas_symv_kernel_lower_double_buffered_non_diagonalILi32ELi4ELi4E24rocblas_internal_val_ptrIfEPKfPfEvbiT2_lT3_lllS6_lllT4_llli.has_indirect_call, 0
	.section	.AMDGPU.csdata,"",@progbits
; Kernel info:
; codeLenInByte = 2896
; TotalNumSgprs: 31
; NumVgprs: 44
; ScratchSize: 0
; MemoryBound: 0
; FloatMode: 240
; IeeeMode: 1
; LDSByteSize: 3200 bytes/workgroup (compile time only)
; SGPRBlocks: 0
; VGPRBlocks: 5
; NumSGPRsForWavesPerEU: 31
; NumVGPRsForWavesPerEU: 44
; Occupancy: 16
; WaveLimiterHint : 0
; COMPUTE_PGM_RSRC2:SCRATCH_EN: 0
; COMPUTE_PGM_RSRC2:USER_SGPR: 6
; COMPUTE_PGM_RSRC2:TRAP_HANDLER: 0
; COMPUTE_PGM_RSRC2:TGID_X_EN: 1
; COMPUTE_PGM_RSRC2:TGID_Y_EN: 1
; COMPUTE_PGM_RSRC2:TGID_Z_EN: 1
; COMPUTE_PGM_RSRC2:TIDIG_COMP_CNT: 1
	.section	.text._ZL58rocblas_symv_kernel_lower_double_buffered_diagonal_genericILi32ELi4E24rocblas_internal_val_ptrIfEPKfPfEvbiT1_lT2_lllS6_lllS5_lT3_lllii,"axG",@progbits,_ZL58rocblas_symv_kernel_lower_double_buffered_diagonal_genericILi32ELi4E24rocblas_internal_val_ptrIfEPKfPfEvbiT1_lT2_lllS6_lllS5_lT3_lllii,comdat
	.globl	_ZL58rocblas_symv_kernel_lower_double_buffered_diagonal_genericILi32ELi4E24rocblas_internal_val_ptrIfEPKfPfEvbiT1_lT2_lllS6_lllS5_lT3_lllii ; -- Begin function _ZL58rocblas_symv_kernel_lower_double_buffered_diagonal_genericILi32ELi4E24rocblas_internal_val_ptrIfEPKfPfEvbiT1_lT2_lllS6_lllS5_lT3_lllii
	.p2align	8
	.type	_ZL58rocblas_symv_kernel_lower_double_buffered_diagonal_genericILi32ELi4E24rocblas_internal_val_ptrIfEPKfPfEvbiT1_lT2_lllS6_lllS5_lT3_lllii,@function
_ZL58rocblas_symv_kernel_lower_double_buffered_diagonal_genericILi32ELi4E24rocblas_internal_val_ptrIfEPKfPfEvbiT1_lT2_lllS6_lllS5_lT3_lllii: ; @_ZL58rocblas_symv_kernel_lower_double_buffered_diagonal_genericILi32ELi4E24rocblas_internal_val_ptrIfEPKfPfEvbiT1_lT2_lllS6_lllS5_lT3_lllii
; %bb.0:
	s_clause 0x1
	s_load_dword s0, s[4:5], 0x0
	s_load_dwordx16 s[8:23], s[4:5], 0x8
	s_mov_b32 s1, -1
                                        ; implicit-def: $sgpr33
	s_waitcnt lgkmcnt(0)
	s_bitcmp1_b32 s0, 0
	s_cselect_b32 s0, -1, 0
	s_xor_b32 s0, s0, -1
	s_and_b32 vcc_lo, exec_lo, s0
	s_cbranch_vccnz .LBB79_13
; %bb.1:
	s_load_dwordx8 s[24:31], s[4:5], 0x48
	s_andn2_b32 vcc_lo, exec_lo, s1
	s_cbranch_vccz .LBB79_14
.LBB79_2:
	s_andn2_b32 vcc_lo, exec_lo, s0
	s_cbranch_vccnz .LBB79_4
.LBB79_3:
	s_waitcnt lgkmcnt(0)
	s_mul_i32 s0, s31, s7
	s_mul_hi_u32 s1, s30, s7
	s_add_i32 s1, s1, s0
	s_mul_i32 s0, s30, s7
	s_lshl_b64 s[0:1], s[0:1], 2
	s_add_u32 s0, s28, s0
	s_addc_u32 s1, s29, s1
	s_load_dword s28, s[0:1], 0x0
.LBB79_4:
	s_waitcnt lgkmcnt(0)
	v_cmp_eq_f32_e64 s0, s33, 0
	v_cmp_eq_f32_e64 s1, s28, 1.0
	s_and_b32 s0, s0, s1
	s_and_b32 vcc_lo, exec_lo, s0
	s_cbranch_vccnz .LBB79_12
; %bb.5:
	s_clause 0x3
	s_load_dwordx2 s[8:9], s[4:5], 0x80
	s_load_dwordx2 s[30:31], s[4:5], 0x68
	s_load_dwordx4 s[0:3], s[4:5], 0x70
	s_load_dword s10, s[4:5], 0x88
	v_cmp_neq_f32_e64 s34, s33, 0
	s_waitcnt lgkmcnt(0)
	s_mul_i32 s9, s9, s7
	s_mul_hi_u32 s11, s8, s7
	s_mul_i32 s8, s8, s7
	s_add_i32 s9, s11, s9
	s_lshl_b64 s[8:9], s[8:9], 2
	s_add_u32 s8, s30, s8
	s_addc_u32 s9, s31, s9
	s_lshl_b64 s[0:1], s[0:1], 2
	s_add_u32 s11, s8, s0
	s_addc_u32 s29, s9, s1
	s_lshl_b32 s8, s6, 5
	s_ashr_i32 s9, s8, 31
	s_mul_hi_u32 s0, s2, s8
	s_mul_i32 s1, s2, s9
	s_mul_i32 s30, s3, s8
	s_add_i32 s1, s0, s1
	s_mul_i32 s0, s2, s8
	s_add_i32 s1, s1, s30
	s_lshl_b64 s[30:31], s[0:1], 2
	v_cmp_eq_u32_e64 s0, 0, v1
	s_add_u32 s1, s11, s30
	s_addc_u32 s11, s29, s31
	s_and_b32 vcc_lo, exec_lo, s34
	s_cbranch_vccnz .LBB79_15
; %bb.6:
	s_mov_b32 s29, 0
	s_and_saveexec_b32 s30, s0
	s_cbranch_execz .LBB79_11
; %bb.7:
	v_cmp_gt_i32_e64 s0, s10, v0
	s_mov_b32 s31, exec_lo
	v_cmpx_le_i32_e64 s10, v0
	s_cbranch_execz .LBB79_9
; %bb.8:
	s_load_dword s34, s[4:5], 0x90
	s_waitcnt lgkmcnt(0)
	s_add_i32 s34, s34, -1
	s_cmp_lt_u32 s6, s34
	s_cselect_b32 s34, -1, 0
	s_andn2_b32 s0, s0, exec_lo
	s_and_b32 s34, s34, exec_lo
	s_or_b32 s0, s0, s34
.LBB79_9:
	s_or_b32 exec_lo, exec_lo, s31
	s_and_b32 exec_lo, exec_lo, s0
	s_cbranch_execz .LBB79_11
; %bb.10:
	v_mad_u64_u32 v[2:3], null, s2, v0, 0
	v_mad_u64_u32 v[3:4], null, s3, v0, v[3:4]
	v_lshlrev_b64 v[2:3], 2, v[2:3]
	v_add_co_u32 v2, vcc_lo, s1, v2
	v_add_co_ci_u32_e64 v3, null, s11, v3, vcc_lo
	global_load_dword v4, v[2:3], off
	s_waitcnt vmcnt(0)
	v_mul_f32_e32 v4, s28, v4
	global_store_dword v[2:3], v4, off
.LBB79_11:
	s_or_b32 exec_lo, exec_lo, s30
	s_andn2_b32 vcc_lo, exec_lo, s29
	s_cbranch_vccz .LBB79_16
.LBB79_12:
	s_endpgm
.LBB79_13:
	s_mul_i32 s1, s11, s7
	s_mul_hi_u32 s2, s10, s7
	s_add_i32 s3, s2, s1
	s_mul_i32 s2, s10, s7
	s_lshl_b64 s[2:3], s[2:3], 2
	s_add_u32 s2, s8, s2
	s_addc_u32 s3, s9, s3
	s_load_dword s33, s[2:3], 0x0
	s_load_dwordx8 s[24:31], s[4:5], 0x48
	s_cbranch_execnz .LBB79_2
.LBB79_14:
	s_waitcnt lgkmcnt(0)
	s_mov_b32 s33, s8
	s_andn2_b32 vcc_lo, exec_lo, s0
	s_cbranch_vccz .LBB79_3
	s_branch .LBB79_4
.LBB79_15:
.LBB79_16:
	s_mul_i32 s0, s27, s7
	s_mul_hi_u32 s27, s26, s7
	s_mul_i32 s26, s26, s7
	s_add_i32 s27, s27, s0
	s_load_dword s0, s[4:5], 0x90
	s_lshl_b64 s[4:5], s[26:27], 2
	v_mov_b32_e32 v6, 0
	s_add_u32 s20, s20, s4
	s_addc_u32 s21, s21, s5
	s_lshl_b64 s[4:5], s[22:23], 2
	s_mul_hi_u32 s22, s24, s8
	s_add_u32 s20, s20, s4
	s_mul_i32 s4, s24, s9
	s_addc_u32 s21, s21, s5
	s_add_i32 s4, s22, s4
	s_mul_i32 s5, s25, s8
	s_add_i32 s5, s4, s5
	s_mul_i32 s4, s24, s8
	s_lshl_b64 s[4:5], s[4:5], 2
	s_add_u32 s4, s20, s4
	s_addc_u32 s5, s21, s5
	s_waitcnt lgkmcnt(0)
	s_add_i32 s0, s0, -1
	s_cmp_lg_u32 s6, s0
	v_cmp_eq_u32_e64 s0, 0, v1
	s_cselect_b32 s20, -1, 0
	s_mov_b32 s6, -1
	s_and_b32 vcc_lo, exec_lo, s20
	s_cbranch_vccz .LBB79_21
; %bb.17:
	s_and_saveexec_b32 s6, s0
	s_cbranch_execz .LBB79_20
; %bb.18:
	v_mad_u64_u32 v[2:3], null, s24, v0, 0
	v_cmp_eq_f32_e64 s21, s28, 0
	v_mov_b32_e32 v6, 0
	v_mad_u64_u32 v[3:4], null, s25, v0, v[3:4]
	v_lshlrev_b64 v[2:3], 2, v[2:3]
	v_add_co_u32 v2, vcc_lo, s4, v2
	v_add_co_ci_u32_e64 v3, null, s5, v3, vcc_lo
	s_and_b32 vcc_lo, exec_lo, s21
	global_load_dword v2, v[2:3], off
	v_lshlrev_b32_e32 v3, 2, v0
	s_waitcnt vmcnt(0)
	ds_write_b32 v3, v2 offset:5120
	s_cbranch_vccnz .LBB79_20
; %bb.19:
	v_mad_u64_u32 v[2:3], null, s2, v0, 0
	v_mad_u64_u32 v[3:4], null, s3, v0, v[3:4]
	v_lshlrev_b64 v[2:3], 2, v[2:3]
	v_add_co_u32 v2, vcc_lo, s1, v2
	v_add_co_ci_u32_e64 v3, null, s11, v3, vcc_lo
	global_load_dword v2, v[2:3], off
	s_waitcnt vmcnt(0)
	v_mul_f32_e32 v6, s28, v2
.LBB79_20:
	s_or_b32 exec_lo, exec_lo, s6
	s_mov_b32 s6, 0
.LBB79_21:
	s_andn2_b32 vcc_lo, exec_lo, s6
	s_cbranch_vccnz .LBB79_30
; %bb.22:
	v_mov_b32_e32 v6, 0
	s_and_saveexec_b32 s6, s0
	s_cbranch_execz .LBB79_29
; %bb.23:
	s_mov_b32 s21, exec_lo
	v_cmpx_le_i32_e64 s10, v0
	s_xor_b32 s21, exec_lo, s21
; %bb.24:
	v_lshlrev_b32_e32 v2, 2, v0
	v_mov_b32_e32 v3, 0
	ds_write_b32 v2, v3 offset:5120
; %bb.25:
	s_or_saveexec_b32 s21, s21
	v_mov_b32_e32 v6, 0
	s_xor_b32 exec_lo, exec_lo, s21
	s_cbranch_execz .LBB79_28
; %bb.26:
	v_mad_u64_u32 v[2:3], null, s24, v0, 0
	v_mov_b32_e32 v6, 0
	v_mad_u64_u32 v[3:4], null, s25, v0, v[3:4]
	v_lshlrev_b64 v[2:3], 2, v[2:3]
	v_add_co_u32 v2, vcc_lo, s4, v2
	v_add_co_ci_u32_e64 v3, null, s5, v3, vcc_lo
	v_cmp_eq_f32_e64 s4, s28, 0
	global_load_dword v2, v[2:3], off
	v_lshlrev_b32_e32 v3, 2, v0
	s_and_b32 vcc_lo, exec_lo, s4
	s_waitcnt vmcnt(0)
	ds_write_b32 v3, v2 offset:5120
	s_cbranch_vccnz .LBB79_28
; %bb.27:
	v_mad_u64_u32 v[2:3], null, s2, v0, 0
	v_mad_u64_u32 v[3:4], null, s3, v0, v[3:4]
	v_lshlrev_b64 v[2:3], 2, v[2:3]
	v_add_co_u32 v2, vcc_lo, s1, v2
	v_add_co_ci_u32_e64 v3, null, s11, v3, vcc_lo
	global_load_dword v2, v[2:3], off
	s_waitcnt vmcnt(0)
	v_mul_f32_e32 v6, s28, v2
.LBB79_28:
	s_or_b32 exec_lo, exec_lo, s21
.LBB79_29:
	s_or_b32 exec_lo, exec_lo, s6
.LBB79_30:
	s_mul_i32 s5, s19, s7
	s_mul_hi_u32 s6, s18, s7
	v_mad_u64_u32 v[2:3], null, s16, v1, 0
	s_mul_i32 s4, s18, s7
	s_add_i32 s5, s6, s5
	v_lshlrev_b32_e32 v7, 2, v0
	s_lshl_b64 s[4:5], s[4:5], 2
	v_lshlrev_b32_e32 v8, 7, v1
	s_add_u32 s18, s12, s4
	s_addc_u32 s19, s13, s5
	s_lshl_b64 s[6:7], s[14:15], 2
	v_mad_u64_u32 v[3:4], null, s17, v1, v[3:4]
	s_add_u32 s14, s18, s6
	s_addc_u32 s15, s19, s7
	s_add_u32 s18, s16, 1
	s_addc_u32 s19, s17, 0
	s_mul_i32 s9, s18, s9
	s_mul_hi_u32 s21, s18, s8
	s_mul_i32 s19, s19, s8
	s_add_i32 s9, s21, s9
	s_mul_i32 s8, s18, s8
	s_add_i32 s9, s9, s19
	v_lshlrev_b64 v[4:5], 2, v[2:3]
	s_lshl_b64 s[8:9], s[8:9], 2
	v_lshlrev_b32_e32 v10, 5, v1
	s_add_u32 s14, s14, s8
	s_addc_u32 s15, s15, s9
	v_add_nc_u32_e32 v8, v7, v8
	v_add_co_u32 v2, vcc_lo, s14, v4
	v_add_co_ci_u32_e64 v3, null, s15, v5, vcc_lo
	s_mov_b32 s14, -1
	v_add_co_u32 v2, vcc_lo, v2, v7
	v_add_co_ci_u32_e64 v3, null, 0, v3, vcc_lo
	s_andn2_b32 vcc_lo, exec_lo, s20
	s_cbranch_vccnz .LBB79_32
; %bb.31:
	s_lshl_b64 s[14:15], s[16:17], 4
	v_add_co_u32 v11, vcc_lo, v2, s14
	v_add_co_ci_u32_e64 v12, null, s15, v3, vcc_lo
	v_add_co_u32 v13, vcc_lo, v11, s14
	v_add_co_ci_u32_e64 v14, null, s15, v12, vcc_lo
	;; [unrolled: 2-line block ×7, first 2 shown]
	s_clause 0x5
	global_load_dword v9, v[2:3], off
	global_load_dword v11, v[11:12], off
	;; [unrolled: 1-line block ×8, first 2 shown]
	s_mov_b32 s14, 0
	s_waitcnt vmcnt(6)
	ds_write2st64_b32 v8, v9, v11 offset1:2
	s_waitcnt vmcnt(4)
	ds_write2st64_b32 v8, v12, v13 offset0:4 offset1:6
	s_waitcnt vmcnt(2)
	ds_write2st64_b32 v8, v14, v15 offset0:8 offset1:10
	s_waitcnt vmcnt(0)
	ds_write2st64_b32 v8, v16, v17 offset0:12 offset1:14
.LBB79_32:
	v_add_nc_u32_e32 v9, v10, v0
	s_andn2_b32 vcc_lo, exec_lo, s14
	s_cbranch_vccnz .LBB79_40
; %bb.33:
	v_mov_b32_e32 v11, 0
	s_mov_b32 s14, exec_lo
	ds_write2st64_b32 v8, v11, v11 offset1:2
	ds_write2st64_b32 v8, v11, v11 offset0:4 offset1:6
	ds_write2st64_b32 v8, v11, v11 offset0:8 offset1:10
	ds_write2st64_b32 v8, v11, v11 offset0:12 offset1:14
	v_cmpx_gt_i32_e64 s10, v0
	s_cbranch_execz .LBB79_39
; %bb.34:
	s_cmp_lt_u32 s10, 4
	s_mov_b32 s15, 0
	s_cbranch_scc1 .LBB79_37
; %bb.35:
	s_lshr_b32 s15, s10, 2
	s_add_u32 s4, s8, s4
	s_addc_u32 s5, s9, s5
	s_add_u32 s4, s6, s4
	s_addc_u32 s5, s7, s5
	v_add_co_u32 v4, vcc_lo, s4, v4
	v_add_co_ci_u32_e64 v5, null, s5, v5, vcc_lo
	v_lshl_add_u32 v11, v10, 2, v7
	v_add_co_u32 v4, vcc_lo, v4, v7
	v_add_co_ci_u32_e64 v5, null, 0, v5, vcc_lo
	s_lshl_b64 s[4:5], s[16:17], 4
	v_add_co_u32 v4, vcc_lo, s12, v4
	v_add_co_ci_u32_e64 v5, null, s13, v5, vcc_lo
	s_mov_b32 s6, s15
.LBB79_36:                              ; =>This Inner Loop Header: Depth=1
	global_load_dword v12, v[4:5], off
	v_add_co_u32 v4, vcc_lo, v4, s4
	v_add_co_ci_u32_e64 v5, null, s5, v5, vcc_lo
	s_add_i32 s6, s6, -1
	s_cmp_lg_u32 s6, 0
	s_waitcnt vmcnt(0)
	ds_write_b32 v11, v12
	v_add_nc_u32_e32 v11, 0x200, v11
	s_cbranch_scc1 .LBB79_36
.LBB79_37:
	s_and_b32 s4, s10, 3
	v_cmp_gt_u32_e32 vcc_lo, s4, v1
	s_and_b32 exec_lo, exec_lo, vcc_lo
	s_cbranch_execz .LBB79_39
; %bb.38:
	s_lshl_b32 s4, s15, 2
	s_mul_i32 s5, s17, s4
	s_mul_hi_u32 s6, s16, s4
	s_mul_i32 s4, s16, s4
	s_add_i32 s5, s6, s5
	s_lshl_b64 s[4:5], s[4:5], 2
	v_add_co_u32 v2, vcc_lo, v2, s4
	v_add_co_ci_u32_e64 v3, null, s5, v3, vcc_lo
	global_load_dword v2, v[2:3], off
	v_lshlrev_b32_e32 v3, 2, v9
	v_lshl_add_u32 v3, s15, 9, v3
	s_waitcnt vmcnt(0)
	ds_write_b32 v3, v2
.LBB79_39:
	s_or_b32 exec_lo, exec_lo, s14
.LBB79_40:
	v_lshlrev_b32_e32 v3, 7, v0
	s_mov_b32 s4, exec_lo
	s_waitcnt lgkmcnt(0)
	s_waitcnt_vscnt null, 0x0
	s_barrier
	buffer_gl0_inv
	v_cmpx_ge_u32_e64 v0, v1
	s_xor_b32 s4, exec_lo, s4
; %bb.41:
	v_lshlrev_b32_e32 v3, 7, v0
                                        ; implicit-def: $vgpr10
; %bb.42:
	s_or_saveexec_b32 s4, s4
	v_lshlrev_b32_e32 v2, 2, v1
	s_xor_b32 exec_lo, exec_lo, s4
	s_cbranch_execz .LBB79_44
; %bb.43:
	v_mul_u32_u24_e32 v4, 0x7c, v0
	v_lshl_add_u32 v5, v10, 2, v7
	v_add3_u32 v4, v7, v4, v2
	ds_read_b32 v4, v4
	s_waitcnt lgkmcnt(0)
	ds_write_b32 v5, v4
.LBB79_44:
	s_or_b32 exec_lo, exec_lo, s4
	v_sub_nc_u32_e32 v4, v0, v1
	s_mov_b32 s4, exec_lo
	v_sub_nc_u32_e32 v5, 0, v4
	v_max_i32_e32 v5, v4, v5
	v_lshl_add_u32 v4, v1, 2, v3
	v_lshl_add_u32 v3, v1, 7, v7
	v_cmpx_gt_u32_e32 4, v5
	s_cbranch_execz .LBB79_46
; %bb.45:
	ds_read_b32 v10, v4 offset:16
	s_waitcnt lgkmcnt(0)
	ds_write_b32 v3, v10 offset:512
.LBB79_46:
	s_or_b32 exec_lo, exec_lo, s4
	s_mov_b32 s4, exec_lo
	v_cmpx_gt_u32_e32 8, v5
	s_cbranch_execz .LBB79_48
; %bb.47:
	ds_read_b32 v10, v4 offset:32
	s_waitcnt lgkmcnt(0)
	ds_write_b32 v3, v10 offset:1024
.LBB79_48:
	s_or_b32 exec_lo, exec_lo, s4
	s_mov_b32 s4, exec_lo
	;; [unrolled: 9-line block ×5, first 2 shown]
	v_cmpx_gt_u32_e32 24, v5
	s_cbranch_execz .LBB79_56
; %bb.55:
	ds_read_b32 v10, v4 offset:96
	s_waitcnt lgkmcnt(0)
	ds_write_b32 v8, v10 offset:3072
.LBB79_56:
	s_or_b32 exec_lo, exec_lo, s4
	v_cmp_lt_u32_e32 vcc_lo, 27, v5
	v_add_nc_u32_e32 v10, 28, v1
                                        ; implicit-def: $vgpr5
	s_and_saveexec_b32 s4, vcc_lo
	s_xor_b32 s4, exec_lo, s4
; %bb.57:
	v_add_nc_u32_e32 v10, 28, v1
                                        ; implicit-def: $vgpr4
	v_lshlrev_b32_e32 v5, 7, v10
; %bb.58:
	s_andn2_saveexec_b32 s4, s4
	s_cbranch_execz .LBB79_60
; %bb.59:
	ds_read_b32 v1, v4 offset:112
	v_lshlrev_b32_e32 v5, 7, v10
	v_add_nc_u32_e32 v4, v7, v5
	s_waitcnt lgkmcnt(0)
	ds_write_b32 v4, v1
.LBB79_60:
	s_or_b32 exec_lo, exec_lo, s4
	v_add_nc_u32_e32 v1, 0x1400, v2
	s_waitcnt lgkmcnt(0)
	s_barrier
	buffer_gl0_inv
	ds_read_b32 v4, v8
	ds_read2_b32 v[11:12], v1 offset1:4
	ds_read2st64_b32 v[13:14], v3 offset0:2 offset1:4
	ds_read2_b32 v[15:16], v1 offset0:8 offset1:12
	v_lshlrev_b32_e32 v8, 2, v10
	ds_read2st64_b32 v[17:18], v3 offset0:6 offset1:8
	ds_read2_b32 v[19:20], v1 offset0:16 offset1:20
	ds_read_b32 v10, v2 offset:5216
	ds_read_b32 v8, v8 offset:5120
	ds_read2st64_b32 v[1:2], v3 offset0:10 offset1:12
	v_add_nc_u32_e32 v3, v7, v5
	ds_read_b32 v3, v3
	s_waitcnt lgkmcnt(8)
	v_fma_f32 v4, v4, v11, 0
	s_waitcnt lgkmcnt(7)
	v_fmac_f32_e32 v4, v13, v12
	s_waitcnt lgkmcnt(6)
	v_fmac_f32_e32 v4, v14, v15
	;; [unrolled: 2-line block ×5, first 2 shown]
	v_lshlrev_b32_e32 v1, 2, v9
	v_fmac_f32_e32 v4, v2, v10
	s_waitcnt lgkmcnt(0)
	v_fmac_f32_e32 v4, v3, v8
	ds_write_b32 v1, v4 offset:4096
	s_waitcnt lgkmcnt(0)
	s_barrier
	buffer_gl0_inv
	s_and_saveexec_b32 s4, s0
	s_cbranch_execz .LBB79_12
; %bb.61:
	v_add_nc_u32_e32 v3, 0x1000, v7
	v_cmp_neq_f32_e64 vcc_lo, s28, 0
	s_mov_b32 s0, -1
	ds_read2_b32 v[1:2], v3 offset1:32
	ds_read2_b32 v[3:4], v3 offset0:64 offset1:96
	s_waitcnt lgkmcnt(1)
	v_add_f32_e32 v1, 0, v1
	v_add_f32_e32 v1, v1, v2
	s_waitcnt lgkmcnt(0)
	v_add_f32_e32 v1, v1, v3
	v_add_f32_e32 v1, v1, v4
	v_mul_f32_e32 v2, s33, v1
	v_fmac_f32_e32 v6, s33, v1
	v_cndmask_b32_e32 v1, v2, v6, vcc_lo
	s_and_b32 vcc_lo, exec_lo, s20
	s_cbranch_vccz .LBB79_63
; %bb.62:
	v_mad_u64_u32 v[2:3], null, s2, v0, 0
	s_mov_b32 s0, 0
	v_mad_u64_u32 v[3:4], null, s3, v0, v[3:4]
	v_lshlrev_b64 v[2:3], 2, v[2:3]
	v_add_co_u32 v2, vcc_lo, s1, v2
	v_add_co_ci_u32_e64 v3, null, s11, v3, vcc_lo
	global_store_dword v[2:3], v1, off
.LBB79_63:
	s_andn2_b32 vcc_lo, exec_lo, s0
	s_cbranch_vccnz .LBB79_12
; %bb.64:
	v_cmp_gt_i32_e32 vcc_lo, s10, v0
	s_and_b32 exec_lo, exec_lo, vcc_lo
	s_cbranch_execz .LBB79_12
; %bb.65:
	v_mad_u64_u32 v[2:3], null, s2, v0, 0
	v_mad_u64_u32 v[3:4], null, s3, v0, v[3:4]
	v_lshlrev_b64 v[2:3], 2, v[2:3]
	v_add_co_u32 v2, vcc_lo, s1, v2
	v_add_co_ci_u32_e64 v3, null, s11, v3, vcc_lo
	global_store_dword v[2:3], v1, off
	s_endpgm
	.section	.rodata,"a",@progbits
	.p2align	6, 0x0
	.amdhsa_kernel _ZL58rocblas_symv_kernel_lower_double_buffered_diagonal_genericILi32ELi4E24rocblas_internal_val_ptrIfEPKfPfEvbiT1_lT2_lllS6_lllS5_lT3_lllii
		.amdhsa_group_segment_fixed_size 5248
		.amdhsa_private_segment_fixed_size 0
		.amdhsa_kernarg_size 400
		.amdhsa_user_sgpr_count 6
		.amdhsa_user_sgpr_private_segment_buffer 1
		.amdhsa_user_sgpr_dispatch_ptr 0
		.amdhsa_user_sgpr_queue_ptr 0
		.amdhsa_user_sgpr_kernarg_segment_ptr 1
		.amdhsa_user_sgpr_dispatch_id 0
		.amdhsa_user_sgpr_flat_scratch_init 0
		.amdhsa_user_sgpr_private_segment_size 0
		.amdhsa_wavefront_size32 1
		.amdhsa_uses_dynamic_stack 0
		.amdhsa_system_sgpr_private_segment_wavefront_offset 0
		.amdhsa_system_sgpr_workgroup_id_x 1
		.amdhsa_system_sgpr_workgroup_id_y 0
		.amdhsa_system_sgpr_workgroup_id_z 1
		.amdhsa_system_sgpr_workgroup_info 0
		.amdhsa_system_vgpr_workitem_id 1
		.amdhsa_next_free_vgpr 25
		.amdhsa_next_free_sgpr 35
		.amdhsa_reserve_vcc 1
		.amdhsa_reserve_flat_scratch 0
		.amdhsa_float_round_mode_32 0
		.amdhsa_float_round_mode_16_64 0
		.amdhsa_float_denorm_mode_32 3
		.amdhsa_float_denorm_mode_16_64 3
		.amdhsa_dx10_clamp 1
		.amdhsa_ieee_mode 1
		.amdhsa_fp16_overflow 0
		.amdhsa_workgroup_processor_mode 1
		.amdhsa_memory_ordered 1
		.amdhsa_forward_progress 1
		.amdhsa_shared_vgpr_count 0
		.amdhsa_exception_fp_ieee_invalid_op 0
		.amdhsa_exception_fp_denorm_src 0
		.amdhsa_exception_fp_ieee_div_zero 0
		.amdhsa_exception_fp_ieee_overflow 0
		.amdhsa_exception_fp_ieee_underflow 0
		.amdhsa_exception_fp_ieee_inexact 0
		.amdhsa_exception_int_div_zero 0
	.end_amdhsa_kernel
	.section	.text._ZL58rocblas_symv_kernel_lower_double_buffered_diagonal_genericILi32ELi4E24rocblas_internal_val_ptrIfEPKfPfEvbiT1_lT2_lllS6_lllS5_lT3_lllii,"axG",@progbits,_ZL58rocblas_symv_kernel_lower_double_buffered_diagonal_genericILi32ELi4E24rocblas_internal_val_ptrIfEPKfPfEvbiT1_lT2_lllS6_lllS5_lT3_lllii,comdat
.Lfunc_end79:
	.size	_ZL58rocblas_symv_kernel_lower_double_buffered_diagonal_genericILi32ELi4E24rocblas_internal_val_ptrIfEPKfPfEvbiT1_lT2_lllS6_lllS5_lT3_lllii, .Lfunc_end79-_ZL58rocblas_symv_kernel_lower_double_buffered_diagonal_genericILi32ELi4E24rocblas_internal_val_ptrIfEPKfPfEvbiT1_lT2_lllS6_lllS5_lT3_lllii
                                        ; -- End function
	.set _ZL58rocblas_symv_kernel_lower_double_buffered_diagonal_genericILi32ELi4E24rocblas_internal_val_ptrIfEPKfPfEvbiT1_lT2_lllS6_lllS5_lT3_lllii.num_vgpr, 25
	.set _ZL58rocblas_symv_kernel_lower_double_buffered_diagonal_genericILi32ELi4E24rocblas_internal_val_ptrIfEPKfPfEvbiT1_lT2_lllS6_lllS5_lT3_lllii.num_agpr, 0
	.set _ZL58rocblas_symv_kernel_lower_double_buffered_diagonal_genericILi32ELi4E24rocblas_internal_val_ptrIfEPKfPfEvbiT1_lT2_lllS6_lllS5_lT3_lllii.numbered_sgpr, 35
	.set _ZL58rocblas_symv_kernel_lower_double_buffered_diagonal_genericILi32ELi4E24rocblas_internal_val_ptrIfEPKfPfEvbiT1_lT2_lllS6_lllS5_lT3_lllii.num_named_barrier, 0
	.set _ZL58rocblas_symv_kernel_lower_double_buffered_diagonal_genericILi32ELi4E24rocblas_internal_val_ptrIfEPKfPfEvbiT1_lT2_lllS6_lllS5_lT3_lllii.private_seg_size, 0
	.set _ZL58rocblas_symv_kernel_lower_double_buffered_diagonal_genericILi32ELi4E24rocblas_internal_val_ptrIfEPKfPfEvbiT1_lT2_lllS6_lllS5_lT3_lllii.uses_vcc, 1
	.set _ZL58rocblas_symv_kernel_lower_double_buffered_diagonal_genericILi32ELi4E24rocblas_internal_val_ptrIfEPKfPfEvbiT1_lT2_lllS6_lllS5_lT3_lllii.uses_flat_scratch, 0
	.set _ZL58rocblas_symv_kernel_lower_double_buffered_diagonal_genericILi32ELi4E24rocblas_internal_val_ptrIfEPKfPfEvbiT1_lT2_lllS6_lllS5_lT3_lllii.has_dyn_sized_stack, 0
	.set _ZL58rocblas_symv_kernel_lower_double_buffered_diagonal_genericILi32ELi4E24rocblas_internal_val_ptrIfEPKfPfEvbiT1_lT2_lllS6_lllS5_lT3_lllii.has_recursion, 0
	.set _ZL58rocblas_symv_kernel_lower_double_buffered_diagonal_genericILi32ELi4E24rocblas_internal_val_ptrIfEPKfPfEvbiT1_lT2_lllS6_lllS5_lT3_lllii.has_indirect_call, 0
	.section	.AMDGPU.csdata,"",@progbits
; Kernel info:
; codeLenInByte = 2564
; TotalNumSgprs: 37
; NumVgprs: 25
; ScratchSize: 0
; MemoryBound: 0
; FloatMode: 240
; IeeeMode: 1
; LDSByteSize: 5248 bytes/workgroup (compile time only)
; SGPRBlocks: 0
; VGPRBlocks: 3
; NumSGPRsForWavesPerEU: 37
; NumVGPRsForWavesPerEU: 25
; Occupancy: 16
; WaveLimiterHint : 0
; COMPUTE_PGM_RSRC2:SCRATCH_EN: 0
; COMPUTE_PGM_RSRC2:USER_SGPR: 6
; COMPUTE_PGM_RSRC2:TRAP_HANDLER: 0
; COMPUTE_PGM_RSRC2:TGID_X_EN: 1
; COMPUTE_PGM_RSRC2:TGID_Y_EN: 0
; COMPUTE_PGM_RSRC2:TGID_Z_EN: 1
; COMPUTE_PGM_RSRC2:TIDIG_COMP_CNT: 1
	.section	.text._ZL62rocblas_symv_kernel_lower_double_buffered_non_diagonal_genericILi32ELi4ELi4E24rocblas_internal_val_ptrIfEPKfPfEvbiT2_lT3_lllS6_lllT4_lllii,"axG",@progbits,_ZL62rocblas_symv_kernel_lower_double_buffered_non_diagonal_genericILi32ELi4ELi4E24rocblas_internal_val_ptrIfEPKfPfEvbiT2_lT3_lllS6_lllT4_lllii,comdat
	.globl	_ZL62rocblas_symv_kernel_lower_double_buffered_non_diagonal_genericILi32ELi4ELi4E24rocblas_internal_val_ptrIfEPKfPfEvbiT2_lT3_lllS6_lllT4_lllii ; -- Begin function _ZL62rocblas_symv_kernel_lower_double_buffered_non_diagonal_genericILi32ELi4ELi4E24rocblas_internal_val_ptrIfEPKfPfEvbiT2_lT3_lllS6_lllT4_lllii
	.p2align	8
	.type	_ZL62rocblas_symv_kernel_lower_double_buffered_non_diagonal_genericILi32ELi4ELi4E24rocblas_internal_val_ptrIfEPKfPfEvbiT2_lT3_lllS6_lllT4_lllii,@function
_ZL62rocblas_symv_kernel_lower_double_buffered_non_diagonal_genericILi32ELi4ELi4E24rocblas_internal_val_ptrIfEPKfPfEvbiT2_lT3_lllS6_lllT4_lllii: ; @_ZL62rocblas_symv_kernel_lower_double_buffered_non_diagonal_genericILi32ELi4ELi4E24rocblas_internal_val_ptrIfEPKfPfEvbiT2_lT3_lllS6_lllT4_lllii
; %bb.0:
	s_clause 0x1
	s_load_dword s0, s[4:5], 0x0
	s_load_dwordx16 s[12:27], s[4:5], 0x8
	s_waitcnt lgkmcnt(0)
	s_bitcmp0_b32 s0, 0
	s_mov_b32 s0, 0
	s_cbranch_scc0 .LBB80_2
; %bb.1:
	s_mul_i32 s1, s15, s8
	s_mul_hi_u32 s2, s14, s8
	s_add_i32 s3, s2, s1
	s_mul_i32 s2, s14, s8
	s_lshl_b64 s[2:3], s[2:3], 2
	s_add_u32 s2, s12, s2
	s_addc_u32 s3, s13, s3
	s_load_dword s1, s[2:3], 0x0
	s_andn2_b32 vcc_lo, exec_lo, s0
	s_cbranch_vccz .LBB80_3
	s_branch .LBB80_4
.LBB80_2:
                                        ; implicit-def: $sgpr1
.LBB80_3:
	s_waitcnt lgkmcnt(0)
	s_mov_b32 s1, s12
.LBB80_4:
	s_waitcnt lgkmcnt(0)
	v_cmp_eq_f32_e64 s0, s1, 0
	s_and_b32 vcc_lo, exec_lo, s0
	s_cbranch_vccnz .LBB80_42
; %bb.5:
	s_load_dwordx2 s[10:11], s[4:5], 0x80
	s_waitcnt lgkmcnt(0)
	v_cvt_f32_u32_e32 v2, s11
	s_add_i32 s2, s10, -1
	s_cmp_eq_u32 s6, s2
	v_rcp_iflag_f32_e32 v2, v2
	v_mul_f32_e32 v2, 0x4f7ffffe, v2
	v_cvt_u32_f32_e32 v2, v2
	v_readfirstlane_b32 s0, v2
	s_cbranch_scc1 .LBB80_42
; %bb.6:
	s_load_dwordx4 s[28:31], s[4:5], 0x48
	s_not_b32 s3, s6
	s_sub_i32 s9, 0, s11
	s_add_i32 s2, s2, s3
	s_mul_i32 s9, s9, s0
	s_waitcnt lgkmcnt(0)
	s_mul_i32 s3, s31, s8
	s_mul_hi_u32 s13, s30, s8
	s_mul_i32 s12, s30, s8
	s_add_i32 s13, s13, s3
	s_mul_hi_u32 s3, s0, s9
	s_lshl_b64 s[12:13], s[12:13], 2
	s_add_i32 s3, s0, s3
	s_add_u32 s0, s24, s12
	s_addc_u32 s9, s25, s13
	s_lshl_b64 s[12:13], s[26:27], 2
	s_mul_hi_u32 s3, s2, s3
	s_add_u32 s14, s0, s12
	s_addc_u32 s15, s9, s13
	s_lshl_b32 s9, s6, 5
	s_ashr_i32 s25, s9, 31
	s_mul_hi_u32 s0, s28, s9
	s_mul_i32 s12, s28, s25
	s_mul_i32 s13, s29, s9
	s_add_i32 s0, s0, s12
	s_mul_i32 s12, s28, s9
	s_add_i32 s13, s0, s13
	v_cmp_eq_u32_e64 s0, 0, v1
	s_lshl_b64 s[12:13], s[12:13], 2
	s_add_u32 s12, s14, s12
	s_addc_u32 s13, s15, s13
	s_and_saveexec_b32 s14, s0
	s_cbranch_execz .LBB80_8
; %bb.7:
	v_mad_u64_u32 v[2:3], null, s28, v0, 0
	v_mad_u64_u32 v[3:4], null, s29, v0, v[3:4]
	v_lshlrev_b64 v[2:3], 2, v[2:3]
	v_add_co_u32 v2, vcc_lo, s12, v2
	v_add_co_ci_u32_e64 v3, null, s13, v3, vcc_lo
	global_load_dword v2, v[2:3], off
	v_lshlrev_b32_e32 v3, 2, v0
	s_waitcnt vmcnt(0)
	ds_write_b32 v3, v2 offset:3072
.LBB80_8:
	s_or_b32 exec_lo, exec_lo, s14
	s_mul_i32 s14, s3, s11
	s_add_i32 s15, s3, 1
	s_sub_i32 s14, s2, s14
	s_sub_i32 s24, s14, s11
	s_cmp_ge_u32 s14, s11
	s_cselect_b32 s3, s15, s3
	s_cselect_b32 s14, s24, s14
	s_add_i32 s15, s3, 1
	s_cmp_ge_u32 s14, s11
	s_cselect_b32 s3, s15, s3
	s_add_i32 s14, s11, -1
	s_mov_b32 s24, s3
	s_cmp_eq_u32 s7, s14
	s_cselect_b32 s30, -1, 0
	s_cmp_lg_u32 s7, s14
	s_cbranch_scc1 .LBB80_10
; %bb.9:
	s_mul_i32 s11, s3, s11
	s_sub_i32 s2, s2, s11
	s_add_i32 s24, s2, s3
.LBB80_10:
	s_cmp_lg_u32 s7, s14
	s_cselect_b32 s2, -1, 0
	s_cmp_eq_u32 s24, 0
	s_cselect_b32 s11, -1, 0
	s_and_b32 s2, s2, s11
	s_and_b32 vcc_lo, exec_lo, s2
	s_cbranch_vccnz .LBB80_42
; %bb.11:
	s_mul_i32 s2, s23, s8
	s_mul_hi_u32 s11, s22, s8
	s_mul_i32 s7, s7, s3
	s_add_i32 s3, s11, s2
	s_mul_i32 s2, s22, s8
	s_lshl_b32 s22, s7, 5
	s_lshl_b64 s[2:3], s[2:3], 2
	s_ashr_i32 s23, s22, 31
	s_add_u32 s7, s16, s2
	v_lshl_add_u32 v1, v1, 5, v0
	s_addc_u32 s11, s17, s3
	s_lshl_b64 s[2:3], s[18:19], 2
	v_mov_b32_e32 v2, 0
	s_add_u32 s7, s7, s2
	s_addc_u32 s11, s11, s3
	s_add_u32 s2, s20, 1
	v_lshrrev_b32_e32 v19, 4, v1
	s_mul_i32 s3, s2, s25
	s_mul_hi_u32 s14, s2, s9
	s_addc_u32 s15, s21, 0
	s_add_i32 s3, s14, s3
	s_mul_i32 s15, s15, s9
	v_and_b32_e32 v1, 15, v0
	v_lshlrev_b32_e32 v20, 2, v19
	s_add_i32 s3, s3, s15
	s_mul_i32 s2, s2, s9
	s_load_dwordx2 s[18:19], s[4:5], 0x58
	s_lshl_b64 s[2:3], s[2:3], 2
	v_mad_u64_u32 v[3:4], null, s20, v20, v[1:2]
	s_add_u32 s7, s7, s2
	s_addc_u32 s11, s11, s3
	s_lshl_b64 s[2:3], s[22:23], 2
	s_mul_hi_u32 s14, s28, s22
	s_add_u32 s2, s7, s2
	s_mul_i32 s7, s28, s23
	s_addc_u32 s3, s11, s3
	s_add_i32 s7, s14, s7
	s_mul_i32 s11, s29, s22
	s_mul_i32 s14, s28, s22
	s_add_i32 s15, s7, s11
	v_mad_u64_u32 v[4:5], null, s21, v20, v[4:5]
	s_lshl_b64 s[14:15], s[14:15], 2
	v_mov_b32_e32 v31, v2
	s_add_u32 s16, s12, s14
	v_mov_b32_e32 v27, v2
	v_mov_b32_e32 v28, v2
	;; [unrolled: 1-line block ×4, first 2 shown]
	s_addc_u32 s17, s13, s15
	s_add_i32 s7, s10, -2
	s_lshl_b64 s[10:11], s[28:29], 5
	s_cmp_ge_u32 s6, s7
	s_waitcnt lgkmcnt(0)
	s_barrier
	buffer_gl0_inv
	s_cbranch_scc1 .LBB80_13
; %bb.12:
	v_lshlrev_b64 v[5:6], 2, v[3:4]
	v_mad_u64_u32 v[7:8], null, s28, v1, 0
	s_lshl_b64 s[6:7], s[10:11], 2
	s_add_u32 s14, s16, s6
	v_add_co_u32 v5, vcc_lo, s2, v5
	v_add_co_ci_u32_e64 v6, null, s3, v6, vcc_lo
	s_addc_u32 s15, s17, s7
	s_lshl_b64 s[6:7], s[20:21], 2
	s_lshl_b64 s[12:13], s[20:21], 3
	v_mad_u64_u32 v[9:10], null, s20, 12, v[5:6]
	v_mad_u64_u32 v[11:12], null, s29, v1, v[8:9]
	v_mov_b32_e32 v8, v11
	v_mad_u64_u32 v[10:11], null, s21, 12, v[10:11]
	v_add_co_u32 v11, vcc_lo, v5, s6
	v_lshlrev_b64 v[7:8], 2, v[7:8]
	v_add_co_ci_u32_e64 v12, null, s7, v6, vcc_lo
	v_add_co_u32 v13, vcc_lo, v5, s12
	v_add_co_ci_u32_e64 v14, null, s13, v6, vcc_lo
	v_add_co_u32 v7, vcc_lo, s14, v7
	v_add_co_ci_u32_e64 v8, null, s15, v8, vcc_lo
	s_clause 0x3
	global_load_dword v27, v[5:6], off offset:128
	global_load_dword v28, v[11:12], off offset:128
	global_load_dword v29, v[13:14], off offset:128
	global_load_dword v30, v[9:10], off offset:128
	global_load_dword v31, v[7:8], off
.LBB80_13:
	s_clause 0x1
	s_load_dwordx2 s[6:7], s[4:5], 0x70
	s_load_dwordx4 s[12:15], s[4:5], 0x60
	v_or_b32_e32 v24, 16, v1
	s_waitcnt lgkmcnt(0)
	s_mul_i32 s7, s7, s8
	s_mul_hi_u32 s26, s6, s8
	s_mul_i32 s6, s6, s8
	s_add_i32 s7, s26, s7
	s_mul_i32 s25, s14, s25
	s_lshl_b64 s[6:7], s[6:7], 2
	s_mul_hi_u32 s26, s14, s9
	s_add_u32 s18, s18, s6
	s_addc_u32 s19, s19, s7
	s_lshl_b64 s[6:7], s[12:13], 2
	s_mul_i32 s27, s15, s9
	s_add_u32 s12, s18, s6
	s_addc_u32 s13, s19, s7
	s_add_i32 s6, s26, s25
	s_mul_i32 s8, s14, s9
	s_add_i32 s9, s6, s27
	s_mul_i32 s18, s14, s23
	s_lshl_b64 s[6:7], s[8:9], 2
	s_mul_hi_u32 s19, s14, s22
	s_add_u32 s26, s12, s6
	s_mul_i32 s8, s15, s22
	s_addc_u32 s27, s13, s7
	s_add_i32 s7, s19, s18
	s_mul_i32 s6, s14, s22
	s_add_i32 s7, s7, s8
	s_lshl_b64 s[6:7], s[6:7], 2
	s_add_u32 s8, s26, s6
	s_addc_u32 s9, s27, s7
	s_cmp_lt_i32 s24, 1
	s_cbranch_scc1 .LBB80_22
; %bb.14:
	v_mad_u64_u32 v[5:6], null, s28, v24, 0
	v_mad_u64_u32 v[7:8], null, s14, v0, 0
	v_lshlrev_b32_e32 v11, 7, v19
	v_lshl_add_u32 v33, v20, 2, 0xc00
	v_lshl_or_b32 v26, v0, 2, 0x800
	s_lshl_b64 s[6:7], s[14:15], 7
	v_mov_b32_e32 v2, v6
	s_cmp_lg_u32 s24, 1
	v_mov_b32_e32 v6, v8
	v_mad_u64_u32 v[8:9], null, s29, v24, v[2:3]
	v_mad_u64_u32 v[9:10], null, s15, v0, v[6:7]
	v_lshl_or_b32 v2, v1, 2, 0x800
	v_mov_b32_e32 v6, v8
	v_add_nc_u32_e32 v32, v2, v11
	v_mov_b32_e32 v8, v9
	v_lshlrev_b64 v[9:10], 2, v[5:6]
	v_lshlrev_b64 v[7:8], 2, v[7:8]
	s_cbranch_scc0 .LBB80_23
; %bb.15:
	v_mad_u64_u32 v[13:14], null, s28, v1, 0
	v_mov_b32_e32 v21, 0
	v_mov_b32_e32 v5, s8
	v_lshlrev_b64 v[11:12], 2, v[3:4]
	s_lshl_b64 s[12:13], s[20:21], 3
	v_mov_b32_e32 v6, s9
	s_waitcnt vmcnt(0)
	v_mov_b32_e32 v38, v31
	v_mov_b32_e32 v2, v14
	;; [unrolled: 1-line block ×6, first 2 shown]
	v_mad_u64_u32 v[14:15], null, s29, v1, v[2:3]
	v_mov_b32_e32 v2, v21
	v_mov_b32_e32 v41, v29
	v_mov_b32_e32 v42, v30
	s_add_i32 s31, s24, -2
	s_lshl_b64 s[18:19], s[20:21], 2
	s_sub_u32 s34, 0, s12
	v_lshlrev_b64 v[13:14], 2, v[13:14]
	s_mov_b32 s33, 0
	s_subb_u32 s35, 0, s13
	s_lshl_b64 s[24:25], s[10:11], 2
	s_mov_b64 s[12:13], s[2:3]
	s_mov_b64 s[22:23], s[16:17]
.LBB80_16:                              ; =>This Loop Header: Depth=1
                                        ;     Child Loop BB80_18 Depth 2
	v_add_co_u32 v15, vcc_lo, s12, v11
	v_add_co_ci_u32_e64 v16, null, s13, v12, vcc_lo
	s_add_u32 s22, s22, s24
	v_add_co_u32 v17, vcc_lo, v15, s18
	v_add_co_ci_u32_e64 v18, null, s19, v16, vcc_lo
	s_addc_u32 s23, s23, s25
	v_add_co_u32 v34, vcc_lo, v17, s18
	v_add_co_ci_u32_e64 v35, null, s19, v18, vcc_lo
	v_add_co_u32 v36, vcc_lo, s22, v9
	v_add_co_ci_u32_e64 v37, null, s23, v10, vcc_lo
	;; [unrolled: 2-line block ×3, first 2 shown]
	global_load_dword v43, v[36:37], off
	s_clause 0x3
	global_load_dword v47, v[15:16], off offset:192
	global_load_dword v45, v[17:18], off offset:192
	global_load_dword v44, v[34:35], off offset:192
	global_load_dword v46, v[48:49], off offset:192
	v_add_co_u32 v17, vcc_lo, v48, s34
	v_add_co_ci_u32_e64 v18, null, s35, v49, vcc_lo
	s_add_u32 s36, s22, s24
	v_add_co_u32 v36, vcc_lo, v17, s18
	v_add_co_ci_u32_e64 v37, null, s19, v18, vcc_lo
	s_addc_u32 s37, s23, s25
	v_add_co_u32 v48, vcc_lo, v36, s18
	v_add_co_ci_u32_e64 v49, null, s19, v37, vcc_lo
	v_add_co_u32 v50, vcc_lo, s36, v13
	v_add_co_ci_u32_e64 v51, null, s37, v14, vcc_lo
	s_clause 0x3
	global_load_dword v35, v[17:18], off offset:256
	global_load_dword v36, v[36:37], off offset:256
	;; [unrolled: 1-line block ×4, first 2 shown]
	global_load_dword v25, v[50:51], off
	ds_read_b128 v[15:18], v33
	s_waitcnt vmcnt(0) lgkmcnt(0)
	s_barrier
	buffer_gl0_inv
	v_fma_f32 v48, v39, v15, 0
	v_fmac_f32_e32 v48, v40, v16
	v_fmac_f32_e32 v48, v41, v17
	v_fmac_f32_e32 v48, v42, v18
	v_fma_f32 v15, v47, v15, 0
	v_fmac_f32_e32 v15, v45, v16
	v_fmac_f32_e32 v15, v44, v17
	;; [unrolled: 1-line block ×3, first 2 shown]
	ds_write2_b32 v32, v48, v15 offset1:16
	s_waitcnt lgkmcnt(0)
	s_barrier
	buffer_gl0_inv
	s_and_saveexec_b32 s36, s0
	s_cbranch_execz .LBB80_20
; %bb.17:                               ;   in Loop: Header=BB80_16 Depth=1
	v_add_co_u32 v5, vcc_lo, v5, s6
	v_add_co_ci_u32_e64 v6, null, s7, v6, vcc_lo
	s_mov_b32 s37, 0
	v_add_co_u32 v15, vcc_lo, v5, v7
	v_add_co_ci_u32_e64 v16, null, v6, v8, vcc_lo
	global_load_dword v18, v[15:16], off
	ds_read2_b32 v[48:49], v26 offset1:32
	ds_read2_b32 v[50:51], v26 offset0:64 offset1:96
	ds_read2_b32 v[52:53], v26 offset0:128 offset1:160
	s_waitcnt lgkmcnt(2)
	v_add_f32_e32 v17, 0, v48
	v_add_f32_e32 v17, v17, v49
	ds_read2_b32 v[48:49], v26 offset0:192 offset1:224
	s_waitcnt lgkmcnt(2)
	v_add_f32_e32 v17, v17, v50
	v_add_f32_e32 v17, v17, v51
	s_waitcnt lgkmcnt(1)
	v_add_f32_e32 v17, v17, v52
	v_add_f32_e32 v17, v17, v53
	;; [unrolled: 3-line block ×3, first 2 shown]
	v_mul_f32_e32 v48, s1, v17
.LBB80_18:                              ;   Parent Loop BB80_16 Depth=1
                                        ; =>  This Inner Loop Header: Depth=2
	s_waitcnt vmcnt(0)
	v_add_f32_e32 v17, v18, v48
	global_atomic_cmpswap v17, v[15:16], v[17:18], off glc
	s_waitcnt vmcnt(0)
	v_cmp_eq_u32_e32 vcc_lo, v17, v18
	v_mov_b32_e32 v18, v17
	s_or_b32 s37, vcc_lo, s37
	s_andn2_b32 exec_lo, exec_lo, s37
	s_cbranch_execnz .LBB80_18
; %bb.19:                               ;   in Loop: Header=BB80_16 Depth=1
	s_or_b32 exec_lo, exec_lo, s37
.LBB80_20:                              ;   in Loop: Header=BB80_16 Depth=1
	s_or_b32 exec_lo, exec_lo, s36
	v_fmac_f32_e32 v21, v38, v39
	v_fmac_f32_e32 v23, v38, v40
	;; [unrolled: 1-line block ×4, first 2 shown]
	s_add_u32 s12, s12, 0x80
	v_fmac_f32_e32 v21, v43, v47
	v_fmac_f32_e32 v23, v43, v45
	;; [unrolled: 1-line block ×4, first 2 shown]
	s_addc_u32 s13, s13, 0
	s_add_i32 s36, s33, 1
	s_cmp_eq_u32 s33, s31
	s_cbranch_scc1 .LBB80_24
; %bb.21:                               ;   in Loop: Header=BB80_16 Depth=1
	v_mov_b32_e32 v38, v25
	v_mov_b32_e32 v39, v37
	;; [unrolled: 1-line block ×5, first 2 shown]
	s_mov_b32 s33, s36
	s_branch .LBB80_16
.LBB80_22:
	v_mov_b32_e32 v5, s8
	v_mov_b32_e32 v6, s9
	;; [unrolled: 1-line block ×6, first 2 shown]
	s_waitcnt vmcnt(0)
	v_mov_b32_e32 v25, v31
	s_and_b32 vcc_lo, exec_lo, s30
	s_cbranch_vccnz .LBB80_31
	s_branch .LBB80_39
.LBB80_23:
                                        ; implicit-def: $vgpr34
                                        ; implicit-def: $vgpr36
                                        ; implicit-def: $vgpr35
                                        ; implicit-def: $vgpr37
                                        ; implicit-def: $vgpr22
                                        ; implicit-def: $vgpr23
                                        ; implicit-def: $vgpr21
                                        ; implicit-def: $sgpr22_sgpr23
                                        ; implicit-def: $vgpr5_vgpr6
                                        ; implicit-def: $vgpr25
                                        ; implicit-def: $sgpr12_sgpr13
                                        ; implicit-def: $sgpr18_sgpr19
	s_cbranch_execnz .LBB80_25
	s_branch .LBB80_26
.LBB80_24:
	s_branch .LBB80_26
.LBB80_25:
	v_mov_b32_e32 v21, 0
	v_mov_b32_e32 v5, s8
	;; [unrolled: 1-line block ×3, first 2 shown]
	s_waitcnt vmcnt(0)
	v_mov_b32_e32 v25, v31
	v_mov_b32_e32 v23, 0
	v_mov_b32_e32 v22, 0
	v_mov_b32_e32 v2, v21
	v_mov_b32_e32 v37, v27
	v_mov_b32_e32 v35, v28
	v_mov_b32_e32 v36, v29
	v_mov_b32_e32 v34, v30
	s_lshl_b64 s[18:19], s[20:21], 2
	s_mov_b64 s[12:13], s[2:3]
	s_mov_b64 s[22:23], s[16:17]
.LBB80_26:
	v_lshlrev_b64 v[11:12], 2, v[3:4]
	s_lshl_b64 s[2:3], s[10:11], 2
	v_fmac_f32_e32 v2, v25, v34
	s_add_u32 s16, s22, s2
	s_addc_u32 s17, s23, s3
	s_sub_u32 s2, 0, s18
	v_add_co_u32 v11, vcc_lo, s12, v11
	v_add_co_ci_u32_e64 v12, null, s13, v12, vcc_lo
	s_subb_u32 s3, 0, s19
	v_fmac_f32_e32 v22, v25, v36
	v_fmac_f32_e32 v23, v25, v35
	v_mad_u64_u32 v[16:17], null, s20, 12, v[11:12]
	v_fmac_f32_e32 v21, v25, v37
	v_mov_b32_e32 v13, v17
	s_waitcnt vmcnt(4)
	v_add_co_u32 v27, vcc_lo, v16, s2
	v_mad_u64_u32 v[14:15], null, s21, 12, v[13:14]
	s_waitcnt vmcnt(3)
	v_add_co_ci_u32_e64 v28, null, s3, v14, vcc_lo
	v_add_co_u32 v17, vcc_lo, v27, s2
	s_add_u32 s2, s12, 0x80
	v_add_co_ci_u32_e64 v18, null, s3, v28, vcc_lo
	v_add_co_u32 v9, vcc_lo, s16, v9
	v_add_co_ci_u32_e64 v10, null, s17, v10, vcc_lo
	s_clause 0x1
	global_load_dword v13, v[17:18], off offset:192
	global_load_dword v15, v[11:12], off offset:192
	v_mov_b32_e32 v17, v14
	s_addc_u32 s3, s13, 0
	s_clause 0x1
	global_load_dword v14, v[27:28], off offset:192
	global_load_dword v12, v[16:17], off offset:192
	global_load_dword v11, v[9:10], off
	s_waitcnt vmcnt(6)
	ds_read_b128 v[27:30], v33
	s_waitcnt vmcnt(0) lgkmcnt(0)
	s_barrier
	buffer_gl0_inv
	v_fma_f32 v9, v37, v27, 0
	v_fmac_f32_e32 v9, v35, v28
	v_fmac_f32_e32 v9, v36, v29
	;; [unrolled: 1-line block ×3, first 2 shown]
	v_fma_f32 v10, v15, v27, 0
	v_fmac_f32_e32 v10, v13, v28
	v_fmac_f32_e32 v10, v14, v29
	;; [unrolled: 1-line block ×3, first 2 shown]
	ds_write2_b32 v32, v9, v10 offset1:16
	s_waitcnt lgkmcnt(0)
	s_barrier
	buffer_gl0_inv
	s_and_saveexec_b32 s8, s0
	s_cbranch_execz .LBB80_30
; %bb.27:
	v_add_co_u32 v5, vcc_lo, v5, s6
	v_add_co_ci_u32_e64 v6, null, s7, v6, vcc_lo
	s_mov_b32 s6, 0
	v_add_co_u32 v7, vcc_lo, v5, v7
	v_add_co_ci_u32_e64 v8, null, v6, v8, vcc_lo
	global_load_dword v10, v[7:8], off
	ds_read2_b32 v[16:17], v26 offset1:32
	ds_read2_b32 v[27:28], v26 offset0:64 offset1:96
	ds_read2_b32 v[29:30], v26 offset0:128 offset1:160
	s_waitcnt lgkmcnt(2)
	v_add_f32_e32 v9, 0, v16
	v_add_f32_e32 v9, v9, v17
	ds_read2_b32 v[16:17], v26 offset0:192 offset1:224
	s_waitcnt lgkmcnt(2)
	v_add_f32_e32 v9, v9, v27
	v_add_f32_e32 v9, v9, v28
	s_waitcnt lgkmcnt(1)
	v_add_f32_e32 v9, v9, v29
	v_add_f32_e32 v9, v9, v30
	;; [unrolled: 3-line block ×3, first 2 shown]
	v_mul_f32_e32 v16, s1, v9
.LBB80_28:                              ; =>This Inner Loop Header: Depth=1
	s_waitcnt vmcnt(0)
	v_add_f32_e32 v9, v10, v16
	global_atomic_cmpswap v9, v[7:8], v[9:10], off glc
	s_waitcnt vmcnt(0)
	v_cmp_eq_u32_e32 vcc_lo, v9, v10
	v_mov_b32_e32 v10, v9
	s_or_b32 s6, vcc_lo, s6
	s_andn2_b32 exec_lo, exec_lo, s6
	s_cbranch_execnz .LBB80_28
; %bb.29:
	s_or_b32 exec_lo, exec_lo, s6
.LBB80_30:
	s_or_b32 exec_lo, exec_lo, s8
	v_fmac_f32_e32 v21, v11, v15
	v_fmac_f32_e32 v23, v11, v13
	;; [unrolled: 1-line block ×4, first 2 shown]
	s_and_b32 vcc_lo, exec_lo, s30
	s_cbranch_vccz .LBB80_39
.LBB80_31:
	s_load_dword s4, s[4:5], 0x78
	s_lshl_b64 s[6:7], s[10:11], 2
	v_mov_b32_e32 v7, 0
	v_mov_b32_e32 v15, 0
	v_mov_b32_e32 v14, 0
	v_mov_b32_e32 v13, 0
	v_mov_b32_e32 v12, 0
	s_add_u32 s5, s16, s6
	s_addc_u32 s6, s17, s7
	s_mov_b32 s7, exec_lo
	s_waitcnt lgkmcnt(0)
	v_cmpx_gt_i32_e64 s4, v1
	s_cbranch_execz .LBB80_33
; %bb.32:
	v_lshlrev_b64 v[8:9], 2, v[3:4]
	v_mad_u64_u32 v[12:13], null, s28, v1, 0
	s_lshl_b64 s[8:9], s[20:21], 2
	s_lshl_b64 s[10:11], s[20:21], 3
	v_add_co_u32 v8, vcc_lo, s2, v8
	v_add_co_ci_u32_e64 v9, null, s3, v9, vcc_lo
	v_mov_b32_e32 v10, v13
	v_add_co_u32 v25, vcc_lo, v8, s8
	v_mad_u64_u32 v[16:17], null, s20, 12, v[8:9]
	v_mad_u64_u32 v[13:14], null, s29, v1, v[10:11]
	v_add_co_ci_u32_e64 v26, null, s9, v9, vcc_lo
	v_add_co_u32 v27, vcc_lo, v8, s10
	v_mov_b32_e32 v10, v17
	v_add_co_ci_u32_e64 v28, null, s11, v9, vcc_lo
	v_lshlrev_b64 v[12:13], 2, v[12:13]
	v_mad_u64_u32 v[14:15], null, s21, 12, v[10:11]
	v_add_co_u32 v29, vcc_lo, s5, v12
	v_add_co_ci_u32_e64 v30, null, s6, v13, vcc_lo
	v_mov_b32_e32 v17, v14
	s_clause 0x3
	global_load_dword v15, v[8:9], off offset:128
	global_load_dword v14, v[25:26], off offset:128
	global_load_dword v13, v[27:28], off offset:128
	global_load_dword v12, v[16:17], off offset:128
	global_load_dword v25, v[29:30], off
.LBB80_33:
	s_or_b32 exec_lo, exec_lo, s7
	v_mov_b32_e32 v8, 0
	v_mov_b32_e32 v9, 0
	;; [unrolled: 1-line block ×3, first 2 shown]
	s_mov_b32 s7, exec_lo
	v_cmpx_gt_i32_e64 s4, v24
	s_cbranch_execz .LBB80_35
; %bb.34:
	v_lshlrev_b64 v[3:4], 2, v[3:4]
	v_mad_u64_u32 v[7:8], null, s28, v24, 0
	s_lshl_b64 s[8:9], s[20:21], 3
	v_add_co_u32 v3, vcc_lo, s2, v3
	v_add_co_ci_u32_e64 v4, null, s3, v4, vcc_lo
	v_mad_u64_u32 v[8:9], null, s29, v24, v[8:9]
	s_lshl_b64 s[2:3], s[20:21], 2
	v_mad_u64_u32 v[10:11], null, s20, 12, v[3:4]
	v_lshlrev_b64 v[7:8], 2, v[7:8]
	v_mov_b32_e32 v9, v11
	v_mad_u64_u32 v[16:17], null, s21, 12, v[9:10]
	v_add_co_u32 v17, vcc_lo, v3, s2
	v_add_co_ci_u32_e64 v18, null, s3, v4, vcc_lo
	v_add_co_u32 v26, vcc_lo, v3, s8
	v_add_co_ci_u32_e64 v27, null, s9, v4, vcc_lo
	v_add_co_u32 v28, vcc_lo, s5, v7
	v_mov_b32_e32 v11, v16
	v_add_co_ci_u32_e64 v29, null, s6, v8, vcc_lo
	s_clause 0x3
	global_load_dword v7, v[3:4], off offset:192
	global_load_dword v8, v[17:18], off offset:192
	;; [unrolled: 1-line block ×4, first 2 shown]
	global_load_dword v11, v[28:29], off
.LBB80_35:
	s_or_b32 exec_lo, exec_lo, s7
	v_lshlrev_b32_e32 v3, 2, v20
	s_waitcnt vmcnt(0)
	v_fmac_f32_e32 v21, v25, v15
	v_fmac_f32_e32 v23, v25, v14
	v_cmp_gt_i32_e32 vcc_lo, s4, v0
	v_fmac_f32_e32 v22, v25, v13
	ds_read_b128 v[26:29], v3 offset:3072
	v_fmac_f32_e32 v2, v25, v12
	s_waitcnt lgkmcnt(0)
	s_and_b32 s3, s0, vcc_lo
	s_barrier
	buffer_gl0_inv
	v_fma_f32 v3, v7, v26, 0
	v_fma_f32 v4, v15, v26, 0
	v_lshlrev_b32_e32 v15, 2, v1
	v_fmac_f32_e32 v3, v8, v27
	v_fmac_f32_e32 v4, v14, v27
	v_lshl_or_b32 v14, v19, 7, v15
	v_fmac_f32_e32 v3, v9, v28
	v_fmac_f32_e32 v4, v13, v28
	v_add_nc_u32_e32 v13, 0x800, v14
	v_fmac_f32_e32 v3, v10, v29
	v_fmac_f32_e32 v4, v12, v29
	ds_write2_b32 v13, v4, v3 offset1:16
	s_waitcnt lgkmcnt(0)
	s_barrier
	buffer_gl0_inv
	s_and_saveexec_b32 s2, s3
	s_cbranch_execz .LBB80_38
; %bb.36:
	v_mad_u64_u32 v[3:4], null, s14, v0, 0
	s_lshl_b64 s[4:5], s[14:15], 7
	s_mov_b32 s3, 0
	v_mad_u64_u32 v[12:13], null, s15, v0, v[4:5]
	v_add_co_u32 v5, vcc_lo, v5, s4
	v_add_co_ci_u32_e64 v6, null, s5, v6, vcc_lo
	v_mov_b32_e32 v4, v12
	v_lshlrev_b64 v[3:4], 2, v[3:4]
	v_add_co_u32 v3, vcc_lo, v5, v3
	v_add_co_ci_u32_e64 v4, null, v6, v4, vcc_lo
	v_lshlrev_b32_e32 v5, 2, v0
	global_load_dword v6, v[3:4], off
	v_add_nc_u32_e32 v5, 0x800, v5
	ds_read2_b32 v[12:13], v5 offset1:32
	ds_read2_b32 v[14:15], v5 offset0:64 offset1:96
	ds_read2_b32 v[16:17], v5 offset0:128 offset1:160
	s_waitcnt lgkmcnt(2)
	v_add_f32_e32 v12, 0, v12
	v_add_f32_e32 v12, v12, v13
	s_waitcnt lgkmcnt(1)
	v_add_f32_e32 v14, v12, v14
	ds_read2_b32 v[12:13], v5 offset0:192 offset1:224
	v_add_f32_e32 v5, v14, v15
	s_waitcnt lgkmcnt(1)
	v_add_f32_e32 v5, v5, v16
	v_add_f32_e32 v5, v5, v17
	s_waitcnt lgkmcnt(0)
	v_add_f32_e32 v5, v5, v12
	v_add_f32_e32 v5, v5, v13
	v_mul_f32_e32 v12, s1, v5
.LBB80_37:                              ; =>This Inner Loop Header: Depth=1
	s_waitcnt vmcnt(0)
	v_add_f32_e32 v5, v6, v12
	global_atomic_cmpswap v5, v[3:4], v[5:6], off glc
	s_waitcnt vmcnt(0)
	v_cmp_eq_u32_e32 vcc_lo, v5, v6
	v_mov_b32_e32 v6, v5
	s_or_b32 s3, vcc_lo, s3
	s_andn2_b32 exec_lo, exec_lo, s3
	s_cbranch_execnz .LBB80_37
.LBB80_38:
	s_or_b32 exec_lo, exec_lo, s2
	v_fmac_f32_e32 v21, v11, v7
	v_fmac_f32_e32 v23, v11, v8
	;; [unrolled: 1-line block ×4, first 2 shown]
.LBB80_39:
	v_lshlrev_b32_e32 v3, 8, v19
	v_lshl_or_b32 v3, v1, 2, v3
	ds_write2_b32 v3, v21, v23 offset1:16
	ds_write2_b32 v3, v22, v2 offset0:32 offset1:48
	s_waitcnt lgkmcnt(0)
	s_barrier
	buffer_gl0_inv
	s_and_saveexec_b32 s2, s0
	s_cbranch_execz .LBB80_42
; %bb.40:
	v_mad_u64_u32 v[2:3], null, s14, v0, 0
	v_add_nc_u32_e32 v6, 2, v0
	v_lshlrev_b32_e32 v7, 6, v0
	v_add_nc_u32_e32 v9, 3, v0
	v_add_nc_u32_e32 v10, 4, v0
	;; [unrolled: 1-line block ×3, first 2 shown]
	v_and_b32_e32 v6, 15, v6
	v_mad_u64_u32 v[3:4], null, s15, v0, v[3:4]
	v_add_nc_u32_e32 v4, 1, v0
	v_lshl_or_b32 v8, v1, 2, v7
	v_lshl_or_b32 v6, v6, 2, v7
	v_add_nc_u32_e32 v12, 6, v0
	v_add_nc_u32_e32 v13, 7, v0
	v_and_b32_e32 v4, 15, v4
	v_lshlrev_b64 v[2:3], 2, v[2:3]
	v_and_b32_e32 v9, 15, v9
	v_and_b32_e32 v10, 15, v10
	;; [unrolled: 1-line block ×3, first 2 shown]
	v_lshl_or_b32 v4, v4, 2, v7
	v_and_b32_e32 v12, 15, v12
	v_add_co_u32 v2, vcc_lo, s26, v2
	v_add_co_ci_u32_e64 v3, null, s27, v3, vcc_lo
	v_and_b32_e32 v13, 15, v13
	v_lshl_or_b32 v9, v9, 2, v7
	v_lshl_or_b32 v10, v10, 2, v7
	global_load_dword v5, v[2:3], off
	ds_read_b32 v8, v8
	ds_read_b32 v4, v4
	;; [unrolled: 1-line block ×3, first 2 shown]
	v_lshl_or_b32 v11, v11, 2, v7
	v_lshl_or_b32 v12, v12, 2, v7
	;; [unrolled: 1-line block ×3, first 2 shown]
	ds_read_b32 v9, v9
	ds_read_b32 v10, v10
	;; [unrolled: 1-line block ×5, first 2 shown]
	v_xor_b32_e32 v1, 8, v1
	s_mov_b32 s0, 0
	v_lshl_or_b32 v1, v1, 2, v7
	s_waitcnt lgkmcnt(7)
	v_add_f32_e32 v8, 0, v8
	s_waitcnt lgkmcnt(6)
	v_add_f32_e32 v4, v8, v4
	v_add_nc_u32_e32 v8, 10, v0
	s_waitcnt lgkmcnt(5)
	v_add_f32_e32 v4, v4, v6
	v_add_nc_u32_e32 v6, 9, v0
	v_and_b32_e32 v8, 15, v8
	s_waitcnt lgkmcnt(4)
	v_add_f32_e32 v4, v4, v9
	v_and_b32_e32 v6, 15, v6
	v_lshl_or_b32 v8, v8, 2, v7
	v_add_nc_u32_e32 v9, 11, v0
	s_waitcnt lgkmcnt(3)
	v_add_f32_e32 v4, v4, v10
	v_lshl_or_b32 v6, v6, 2, v7
	v_add_nc_u32_e32 v10, 12, v0
	ds_read_b32 v1, v1
	ds_read_b32 v6, v6
	;; [unrolled: 1-line block ×3, first 2 shown]
	s_waitcnt lgkmcnt(5)
	v_add_f32_e32 v4, v4, v11
	v_add_nc_u32_e32 v11, 13, v0
	v_and_b32_e32 v9, 15, v9
	v_and_b32_e32 v10, 15, v10
	s_waitcnt lgkmcnt(4)
	v_add_f32_e32 v4, v4, v12
	v_add_nc_u32_e32 v12, 14, v0
	v_add_nc_u32_e32 v0, -1, v0
	v_and_b32_e32 v11, 15, v11
	v_lshl_or_b32 v9, v9, 2, v7
	s_waitcnt lgkmcnt(3)
	v_add_f32_e32 v4, v4, v13
	v_and_b32_e32 v12, 15, v12
	v_and_b32_e32 v0, 15, v0
	v_lshl_or_b32 v10, v10, 2, v7
	v_lshl_or_b32 v11, v11, 2, v7
	;; [unrolled: 1-line block ×4, first 2 shown]
	ds_read_b32 v7, v9
	ds_read_b32 v9, v10
	;; [unrolled: 1-line block ×5, first 2 shown]
	s_waitcnt lgkmcnt(7)
	v_add_f32_e32 v1, v4, v1
	s_waitcnt lgkmcnt(6)
	v_add_f32_e32 v1, v1, v6
	s_waitcnt lgkmcnt(5)
	v_add_f32_e32 v1, v1, v8
	s_waitcnt lgkmcnt(4)
	v_add_f32_e32 v1, v1, v7
	s_waitcnt lgkmcnt(3)
	v_add_f32_e32 v1, v1, v9
	s_waitcnt lgkmcnt(2)
	v_add_f32_e32 v1, v1, v10
	s_waitcnt lgkmcnt(1)
	v_add_f32_e32 v1, v1, v11
	s_waitcnt lgkmcnt(0)
	v_add_f32_e32 v0, v1, v0
	v_mul_f32_e32 v0, s1, v0
.LBB80_41:                              ; =>This Inner Loop Header: Depth=1
	s_waitcnt vmcnt(0)
	v_add_f32_e32 v4, v5, v0
	global_atomic_cmpswap v1, v[2:3], v[4:5], off glc
	s_waitcnt vmcnt(0)
	v_cmp_eq_u32_e32 vcc_lo, v1, v5
	v_mov_b32_e32 v5, v1
	s_or_b32 s0, vcc_lo, s0
	s_andn2_b32 exec_lo, exec_lo, s0
	s_cbranch_execnz .LBB80_41
.LBB80_42:
	s_endpgm
	.section	.rodata,"a",@progbits
	.p2align	6, 0x0
	.amdhsa_kernel _ZL62rocblas_symv_kernel_lower_double_buffered_non_diagonal_genericILi32ELi4ELi4E24rocblas_internal_val_ptrIfEPKfPfEvbiT2_lT3_lllS6_lllT4_lllii
		.amdhsa_group_segment_fixed_size 3200
		.amdhsa_private_segment_fixed_size 0
		.amdhsa_kernarg_size 384
		.amdhsa_user_sgpr_count 6
		.amdhsa_user_sgpr_private_segment_buffer 1
		.amdhsa_user_sgpr_dispatch_ptr 0
		.amdhsa_user_sgpr_queue_ptr 0
		.amdhsa_user_sgpr_kernarg_segment_ptr 1
		.amdhsa_user_sgpr_dispatch_id 0
		.amdhsa_user_sgpr_flat_scratch_init 0
		.amdhsa_user_sgpr_private_segment_size 0
		.amdhsa_wavefront_size32 1
		.amdhsa_uses_dynamic_stack 0
		.amdhsa_system_sgpr_private_segment_wavefront_offset 0
		.amdhsa_system_sgpr_workgroup_id_x 1
		.amdhsa_system_sgpr_workgroup_id_y 1
		.amdhsa_system_sgpr_workgroup_id_z 1
		.amdhsa_system_sgpr_workgroup_info 0
		.amdhsa_system_vgpr_workitem_id 1
		.amdhsa_next_free_vgpr 54
		.amdhsa_next_free_sgpr 38
		.amdhsa_reserve_vcc 1
		.amdhsa_reserve_flat_scratch 0
		.amdhsa_float_round_mode_32 0
		.amdhsa_float_round_mode_16_64 0
		.amdhsa_float_denorm_mode_32 3
		.amdhsa_float_denorm_mode_16_64 3
		.amdhsa_dx10_clamp 1
		.amdhsa_ieee_mode 1
		.amdhsa_fp16_overflow 0
		.amdhsa_workgroup_processor_mode 1
		.amdhsa_memory_ordered 1
		.amdhsa_forward_progress 1
		.amdhsa_shared_vgpr_count 0
		.amdhsa_exception_fp_ieee_invalid_op 0
		.amdhsa_exception_fp_denorm_src 0
		.amdhsa_exception_fp_ieee_div_zero 0
		.amdhsa_exception_fp_ieee_overflow 0
		.amdhsa_exception_fp_ieee_underflow 0
		.amdhsa_exception_fp_ieee_inexact 0
		.amdhsa_exception_int_div_zero 0
	.end_amdhsa_kernel
	.section	.text._ZL62rocblas_symv_kernel_lower_double_buffered_non_diagonal_genericILi32ELi4ELi4E24rocblas_internal_val_ptrIfEPKfPfEvbiT2_lT3_lllS6_lllT4_lllii,"axG",@progbits,_ZL62rocblas_symv_kernel_lower_double_buffered_non_diagonal_genericILi32ELi4ELi4E24rocblas_internal_val_ptrIfEPKfPfEvbiT2_lT3_lllS6_lllT4_lllii,comdat
.Lfunc_end80:
	.size	_ZL62rocblas_symv_kernel_lower_double_buffered_non_diagonal_genericILi32ELi4ELi4E24rocblas_internal_val_ptrIfEPKfPfEvbiT2_lT3_lllS6_lllT4_lllii, .Lfunc_end80-_ZL62rocblas_symv_kernel_lower_double_buffered_non_diagonal_genericILi32ELi4ELi4E24rocblas_internal_val_ptrIfEPKfPfEvbiT2_lT3_lllS6_lllT4_lllii
                                        ; -- End function
	.set _ZL62rocblas_symv_kernel_lower_double_buffered_non_diagonal_genericILi32ELi4ELi4E24rocblas_internal_val_ptrIfEPKfPfEvbiT2_lT3_lllS6_lllT4_lllii.num_vgpr, 54
	.set _ZL62rocblas_symv_kernel_lower_double_buffered_non_diagonal_genericILi32ELi4ELi4E24rocblas_internal_val_ptrIfEPKfPfEvbiT2_lT3_lllS6_lllT4_lllii.num_agpr, 0
	.set _ZL62rocblas_symv_kernel_lower_double_buffered_non_diagonal_genericILi32ELi4ELi4E24rocblas_internal_val_ptrIfEPKfPfEvbiT2_lT3_lllS6_lllT4_lllii.numbered_sgpr, 38
	.set _ZL62rocblas_symv_kernel_lower_double_buffered_non_diagonal_genericILi32ELi4ELi4E24rocblas_internal_val_ptrIfEPKfPfEvbiT2_lT3_lllS6_lllT4_lllii.num_named_barrier, 0
	.set _ZL62rocblas_symv_kernel_lower_double_buffered_non_diagonal_genericILi32ELi4ELi4E24rocblas_internal_val_ptrIfEPKfPfEvbiT2_lT3_lllS6_lllT4_lllii.private_seg_size, 0
	.set _ZL62rocblas_symv_kernel_lower_double_buffered_non_diagonal_genericILi32ELi4ELi4E24rocblas_internal_val_ptrIfEPKfPfEvbiT2_lT3_lllS6_lllT4_lllii.uses_vcc, 1
	.set _ZL62rocblas_symv_kernel_lower_double_buffered_non_diagonal_genericILi32ELi4ELi4E24rocblas_internal_val_ptrIfEPKfPfEvbiT2_lT3_lllS6_lllT4_lllii.uses_flat_scratch, 0
	.set _ZL62rocblas_symv_kernel_lower_double_buffered_non_diagonal_genericILi32ELi4ELi4E24rocblas_internal_val_ptrIfEPKfPfEvbiT2_lT3_lllS6_lllT4_lllii.has_dyn_sized_stack, 0
	.set _ZL62rocblas_symv_kernel_lower_double_buffered_non_diagonal_genericILi32ELi4ELi4E24rocblas_internal_val_ptrIfEPKfPfEvbiT2_lT3_lllS6_lllT4_lllii.has_recursion, 0
	.set _ZL62rocblas_symv_kernel_lower_double_buffered_non_diagonal_genericILi32ELi4ELi4E24rocblas_internal_val_ptrIfEPKfPfEvbiT2_lT3_lllS6_lllT4_lllii.has_indirect_call, 0
	.section	.AMDGPU.csdata,"",@progbits
; Kernel info:
; codeLenInByte = 3984
; TotalNumSgprs: 40
; NumVgprs: 54
; ScratchSize: 0
; MemoryBound: 0
; FloatMode: 240
; IeeeMode: 1
; LDSByteSize: 3200 bytes/workgroup (compile time only)
; SGPRBlocks: 0
; VGPRBlocks: 6
; NumSGPRsForWavesPerEU: 40
; NumVGPRsForWavesPerEU: 54
; Occupancy: 16
; WaveLimiterHint : 0
; COMPUTE_PGM_RSRC2:SCRATCH_EN: 0
; COMPUTE_PGM_RSRC2:USER_SGPR: 6
; COMPUTE_PGM_RSRC2:TRAP_HANDLER: 0
; COMPUTE_PGM_RSRC2:TGID_X_EN: 1
; COMPUTE_PGM_RSRC2:TGID_Y_EN: 1
; COMPUTE_PGM_RSRC2:TGID_Z_EN: 1
; COMPUTE_PGM_RSRC2:TIDIG_COMP_CNT: 1
	.section	.text._ZL26rocblas_hemvn_kernel_lowerILb0ELi64ELi4ELi33ELi32ELi16ElPKfS1_PfEviT6_lT7_lT5_lS4_lS5_lS3_lT8_i,"axG",@progbits,_ZL26rocblas_hemvn_kernel_lowerILb0ELi64ELi4ELi33ELi32ELi16ElPKfS1_PfEviT6_lT7_lT5_lS4_lS5_lS3_lT8_i,comdat
	.globl	_ZL26rocblas_hemvn_kernel_lowerILb0ELi64ELi4ELi33ELi32ELi16ElPKfS1_PfEviT6_lT7_lT5_lS4_lS5_lS3_lT8_i ; -- Begin function _ZL26rocblas_hemvn_kernel_lowerILb0ELi64ELi4ELi33ELi32ELi16ElPKfS1_PfEviT6_lT7_lT5_lS4_lS5_lS3_lT8_i
	.p2align	8
	.type	_ZL26rocblas_hemvn_kernel_lowerILb0ELi64ELi4ELi33ELi32ELi16ElPKfS1_PfEviT6_lT7_lT5_lS4_lS5_lS3_lT8_i,@function
_ZL26rocblas_hemvn_kernel_lowerILb0ELi64ELi4ELi33ELi32ELi16ElPKfS1_PfEviT6_lT7_lT5_lS4_lS5_lS3_lT8_i: ; @_ZL26rocblas_hemvn_kernel_lowerILb0ELi64ELi4ELi33ELi32ELi16ElPKfS1_PfEviT6_lT7_lT5_lS4_lS5_lS3_lT8_i
; %bb.0:
	s_load_dwordx2 s[2:3], s[4:5], 0x84
	s_add_u32 s0, s4, 0x78
	s_addc_u32 s1, s5, 0
	s_waitcnt lgkmcnt(0)
	s_lshr_b32 s8, s2, 16
	s_and_b32 s2, s2, 0xffff
	s_and_b32 s3, s3, 0xffff
	s_mul_i32 s2, s8, s2
	s_mul_i32 s2, s2, s3
	s_cmpk_lg_i32 s2, 0x100
	s_cbranch_scc1 .LBB81_78
; %bb.1:
	s_clause 0x1
	s_load_dwordx16 s[8:23], s[4:5], 0x8
	s_load_dwordx8 s[24:31], s[4:5], 0x48
	s_waitcnt lgkmcnt(0)
	s_mul_i32 s3, s11, s7
	s_mul_hi_u32 s11, s10, s7
	s_mul_i32 s2, s10, s7
	s_add_i32 s3, s11, s3
	s_mul_i32 s10, s31, s7
	s_lshl_b64 s[2:3], s[2:3], 2
	s_mul_hi_u32 s11, s30, s7
	s_add_u32 s2, s8, s2
	s_addc_u32 s3, s9, s3
	s_add_i32 s9, s11, s10
	s_mul_i32 s8, s30, s7
	s_lshl_b64 s[8:9], s[8:9], 2
	s_add_u32 s8, s28, s8
	s_addc_u32 s9, s29, s9
	s_load_dword s2, s[2:3], 0x0
	s_load_dword s3, s[8:9], 0x0
	s_waitcnt lgkmcnt(0)
	v_cmp_eq_f32_e64 s2, s2, 0
	v_cmp_eq_f32_e64 s3, s3, 1.0
	s_and_b32 s3, s2, s3
	s_and_b32 vcc_lo, exec_lo, s3
	s_cbranch_vccnz .LBB81_78
; %bb.2:
	s_and_b32 vcc_lo, exec_lo, s2
	s_cbranch_vccnz .LBB81_78
; %bb.3:
	s_mul_i32 s3, s27, s7
	s_mul_hi_u32 s8, s26, s7
	s_mul_i32 s2, s26, s7
	s_add_i32 s3, s8, s3
	s_clause 0x1
	s_load_dword s28, s[4:5], 0x0
	s_load_dwordx2 s[26:27], s[4:5], 0x68
	s_lshl_b64 s[2:3], s[2:3], 2
	s_load_dword s29, s[0:1], 0x0
	s_add_u32 s8, s20, s2
	s_addc_u32 s9, s21, s3
	s_lshl_b64 s[2:3], s[22:23], 2
	s_add_u32 s2, s8, s2
	s_addc_u32 s3, s9, s3
	s_lshl_b32 s20, s6, 6
	v_add_nc_u32_e32 v18, s20, v0
	v_ashrrev_i32_e32 v19, 31, v18
	v_mul_lo_u32 v4, s25, v18
	v_mad_u64_u32 v[2:3], null, s24, v18, 0
	s_waitcnt lgkmcnt(0)
	s_ashr_i32 s30, s28, 31
	v_mul_lo_u32 v5, s24, v19
	s_lshr_b32 s0, s30, 26
	s_add_i32 s4, s29, -1
	s_add_i32 s1, s28, s0
	v_cmp_ne_u32_e64 s0, 0, v1
	s_andn2_b32 s1, s1, 63
	s_sub_i32 s5, s28, s1
	v_add3_u32 v3, v3, v5, v4
	v_cmp_eq_u32_e64 s1, 0, v1
	s_cmp_eq_u32 s6, s4
	s_cselect_b32 s22, s5, 0
	v_lshlrev_b64 v[2:3], 2, v[2:3]
	v_add_co_u32 v6, vcc_lo, s2, v2
	v_add_co_ci_u32_e64 v7, null, s3, v3, vcc_lo
	s_and_saveexec_b32 s2, s1
	s_cbranch_execz .LBB81_7
; %bb.4:
	v_cmp_gt_i32_e32 vcc_lo, s22, v0
	s_cmp_eq_u32 s22, 0
	v_mov_b32_e32 v2, 0
	s_cselect_b32 s3, -1, 0
	s_or_b32 s4, s3, vcc_lo
	s_and_saveexec_b32 s3, s4
	s_cbranch_execz .LBB81_6
; %bb.5:
	global_load_dword v2, v[6:7], off
.LBB81_6:
	s_or_b32 exec_lo, exec_lo, s3
	v_lshlrev_b32_e32 v3, 2, v0
	s_waitcnt vmcnt(0)
	ds_write_b32 v3, v2 offset:4544
.LBB81_7:
	s_or_b32 exec_lo, exec_lo, s2
	v_lshl_add_u32 v16, v1, 6, v0
	v_and_b32_e32 v2, 31, v0
	v_mov_b32_e32 v3, 0
	s_mul_i32 s3, s19, s7
	s_mul_hi_u32 s4, s18, s7
	v_lshrrev_b32_e32 v5, 5, v16
	s_mul_i32 s2, s18, s7
	s_add_i32 s3, s4, s3
	s_mul_hi_u32 s8, s16, s20
	s_lshl_b64 s[2:3], s[2:3], 2
	v_mad_u64_u32 v[3:4], null, s16, v5, v[2:3]
	s_add_u32 s4, s12, s2
	s_addc_u32 s5, s13, s3
	s_lshl_b64 s[2:3], s[14:15], 2
	s_mul_i32 s9, s17, s20
	s_add_u32 s4, s4, s2
	s_addc_u32 s5, s5, s3
	v_mad_u64_u32 v[8:9], null, s17, v5, v[4:5]
	s_ashr_i32 s21, s20, 31
	s_lshl_b64 s[2:3], s[20:21], 2
	s_mul_i32 s10, s16, s21
	s_add_u32 s4, s4, s2
	s_addc_u32 s5, s5, s3
	v_mov_b32_e32 v4, v8
	s_add_i32 s3, s8, s10
	s_mul_i32 s2, s16, s20
	s_add_i32 s3, s3, s9
	s_lshl_b64 s[12:13], s[2:3], 2
	v_lshlrev_b64 v[8:9], 2, v[3:4]
	s_cmp_lg_u32 s22, 0
	s_mov_b32 s2, -1
	s_cselect_b32 s31, -1, 0
	s_cmp_eq_u32 s22, 0
	v_add_co_u32 v3, vcc_lo, s4, v8
	v_add_co_ci_u32_e64 v4, null, s5, v9, vcc_lo
	s_cselect_b32 s9, -1, 0
	v_add_co_u32 v3, vcc_lo, v3, s12
	v_add_co_ci_u32_e64 v4, null, s13, v4, vcc_lo
	s_and_b32 vcc_lo, exec_lo, s31
	s_cbranch_vccnz .LBB81_9
; %bb.8:
	s_lshl_b64 s[2:3], s[16:17], 5
	v_add_co_u32 v10, vcc_lo, v3, s2
	v_add_co_ci_u32_e64 v11, null, s3, v4, vcc_lo
	v_add_co_u32 v12, vcc_lo, v10, s2
	v_add_co_ci_u32_e64 v13, null, s3, v11, vcc_lo
	;; [unrolled: 2-line block ×3, first 2 shown]
	s_clause 0x3
	global_load_dword v17, v[3:4], off
	global_load_dword v10, v[10:11], off
	;; [unrolled: 1-line block ×4, first 2 shown]
	v_mul_u32_u24_e32 v13, 0x84, v5
	s_mov_b32 s2, 0
	v_lshl_add_u32 v13, v2, 2, v13
	s_waitcnt vmcnt(3)
	ds_write_b32 v13, v17
	s_waitcnt vmcnt(2)
	ds_write_b32 v13, v10 offset:1056
	s_waitcnt vmcnt(1)
	ds_write_b32 v13, v11 offset:2112
	;; [unrolled: 2-line block ×3, first 2 shown]
.LBB81_9:
	s_andn2_b32 vcc_lo, exec_lo, s2
	s_cbranch_vccnz .LBB81_19
; %bb.10:
	v_lshlrev_b32_e32 v12, 2, v2
	s_ashr_i32 s23, s22, 31
	v_mov_b32_e32 v14, 0
	s_lshl_b64 s[4:5], s[22:23], 2
	v_mov_b32_e32 v17, 0
	v_sub_co_u32 v10, vcc_lo, v3, v12
	v_subrev_co_ci_u32_e64 v11, null, 0, v4, vcc_lo
	s_mov_b32 s3, exec_lo
	v_add_co_u32 v10, vcc_lo, v10, s4
	v_add_co_ci_u32_e64 v11, null, s5, v11, vcc_lo
	v_add_co_u32 v10, vcc_lo, v10, -4
	v_add_co_ci_u32_e64 v11, null, -1, v11, vcc_lo
	v_cmp_gt_i32_e32 vcc_lo, s22, v2
	v_cndmask_b32_e32 v11, v11, v4, vcc_lo
	v_cndmask_b32_e32 v10, v10, v3, vcc_lo
	v_cmpx_gt_i32_e64 s22, v5
	s_cbranch_execz .LBB81_12
; %bb.11:
	global_load_dword v17, v[10:11], off
.LBB81_12:
	s_or_b32 exec_lo, exec_lo, s3
	v_lshlrev_b32_e32 v13, 2, v2
	v_add_nc_u32_e32 v20, 8, v5
	v_mul_u32_u24_e32 v15, 0x84, v5
	s_mov_b32 s3, exec_lo
	v_mad_u32_u24 v21, 0x84, v5, v13
	s_waitcnt vmcnt(0)
	ds_write_b32 v21, v17
	v_cmpx_gt_i32_e64 s22, v20
	s_cbranch_execz .LBB81_14
; %bb.13:
	s_lshl_b64 s[10:11], s[16:17], 5
	v_add_co_u32 v20, s2, v10, s10
	v_add_co_ci_u32_e64 v21, null, s11, v11, s2
	global_load_dword v14, v[20:21], off
.LBB81_14:
	s_or_b32 exec_lo, exec_lo, s3
	v_add_nc_u32_e32 v17, 16, v5
	v_add_nc_u32_e32 v13, v15, v13
	v_mov_b32_e32 v15, 0
	v_cmp_gt_i32_e64 s2, s22, v17
	v_mov_b32_e32 v17, 0
	s_waitcnt vmcnt(0)
	ds_write_b32 v13, v14 offset:1056
	s_and_saveexec_b32 s3, s2
	s_cbranch_execz .LBB81_16
; %bb.15:
	s_lshl_b64 s[10:11], s[16:17], 6
	v_add_co_u32 v20, s2, v10, s10
	v_add_co_ci_u32_e64 v21, null, s11, v11, s2
	global_load_dword v17, v[20:21], off
.LBB81_16:
	s_or_b32 exec_lo, exec_lo, s3
	v_add_nc_u32_e32 v14, 24, v5
	s_mov_b32 s3, exec_lo
	s_waitcnt vmcnt(0)
	ds_write_b32 v13, v17 offset:2112
	v_cmpx_gt_i32_e64 s22, v14
	s_cbranch_execz .LBB81_18
; %bb.17:
	v_mad_u64_u32 v[14:15], null, 0x60, s16, v[10:11]
	v_mad_u64_u32 v[20:21], null, 0x60, s17, v[15:16]
	v_mov_b32_e32 v15, v20
	global_load_dword v15, v[14:15], off
.LBB81_18:
	s_or_b32 exec_lo, exec_lo, s3
	v_add_co_u32 v10, s2, v10, v12
	v_add_co_ci_u32_e64 v11, null, 0, v11, s2
	s_waitcnt vmcnt(0)
	ds_write_b32 v13, v15 offset:3168
	v_sub_co_u32 v10, s2, v10, s4
	v_subrev_co_ci_u32_e64 v11, null, s5, v11, s2
	v_add_co_u32 v10, s2, v10, 4
	v_add_co_ci_u32_e64 v11, null, 0, v11, s2
	v_cndmask_b32_e32 v3, v10, v3, vcc_lo
	v_cndmask_b32_e32 v4, v11, v4, vcc_lo
.LBB81_19:
	v_lshlrev_b32_e32 v13, 2, v2
	v_lshlrev_b32_e32 v12, 2, v5
	s_waitcnt lgkmcnt(0)
	s_barrier
	buffer_gl0_inv
	v_lshl_or_b32 v15, v2, 7, v13
	v_cmp_lt_u32_e64 s3, v12, v2
	v_mad_u32_u24 v11, 0x210, v5, v13
	s_and_saveexec_b32 s2, s3
	s_cbranch_execz .LBB81_21
; %bb.20:
	ds_read_b32 v10, v11
	v_lshl_add_u32 v14, v12, 2, v15
	s_waitcnt lgkmcnt(0)
	ds_write_b32 v14, v10
.LBB81_21:
	s_or_b32 exec_lo, exec_lo, s2
	v_or_b32_e32 v10, 1, v12
	v_cmp_lt_u32_e64 s4, v10, v2
	v_mad_u32_u24 v14, 0x84, v10, v13
	s_and_saveexec_b32 s2, s4
	s_cbranch_execz .LBB81_23
; %bb.22:
	ds_read_b32 v17, v14
	v_lshl_add_u32 v20, v12, 2, v15
	s_waitcnt lgkmcnt(0)
	ds_write_b32 v20, v17 offset:4
.LBB81_23:
	s_or_b32 exec_lo, exec_lo, s2
	v_or_b32_e32 v17, 2, v12
	v_cmp_lt_u32_e64 s5, v17, v2
	s_and_saveexec_b32 s2, s5
	s_cbranch_execz .LBB81_25
; %bb.24:
	v_mad_u32_u24 v17, 0x84, v17, v13
	v_lshl_add_u32 v20, v12, 2, v15
	ds_read_b32 v17, v17
	s_waitcnt lgkmcnt(0)
	ds_write_b32 v20, v17 offset:8
.LBB81_25:
	s_or_b32 exec_lo, exec_lo, s2
	v_or_b32_e32 v20, 3, v12
	s_mov_b32 s2, exec_lo
                                        ; implicit-def: $vgpr17
	v_cmp_lt_u32_e64 s8, v20, v2
	v_cmpx_ge_u32_e64 v20, v2
	s_xor_b32 s2, exec_lo, s2
; %bb.26:
	v_mul_u32_u24_e32 v17, 0x84, v20
                                        ; implicit-def: $vgpr15
                                        ; implicit-def: $vgpr20
; %bb.27:
	s_andn2_saveexec_b32 s2, s2
	s_cbranch_execz .LBB81_29
; %bb.28:
	v_mad_u32_u24 v17, 0x84, v20, v13
	v_lshl_add_u32 v15, v12, 2, v15
	ds_read_b32 v21, v17
	v_mul_u32_u24_e32 v17, 0x84, v20
	s_waitcnt lgkmcnt(0)
	ds_write_b32 v15, v21 offset:12
.LBB81_29:
	s_or_b32 exec_lo, exec_lo, s2
	v_lshlrev_b32_e32 v22, 2, v12
	s_waitcnt lgkmcnt(0)
	s_barrier
	buffer_gl0_inv
	ds_read_b32 v20, v11
	ds_read_b128 v[23:26], v22 offset:4544
	ds_read2_b32 v[14:15], v14 offset1:33
	v_add_nc_u32_e32 v11, v13, v17
	v_mul_u32_u24_e32 v17, 33, v2
	v_cmp_gt_u32_e64 s2, 32, v16
	ds_read_b32 v21, v11
	v_lshlrev_b32_e32 v17, 2, v17
	s_waitcnt lgkmcnt(0)
	s_barrier
	buffer_gl0_inv
	v_fma_f32 v23, v20, v23, 0
	v_lshl_add_u32 v20, v5, 2, v17
	v_fmac_f32_e32 v23, v14, v24
	v_mov_b32_e32 v24, 0
	v_fmac_f32_e32 v23, v15, v25
	v_fmac_f32_e32 v23, v21, v26
	ds_write_b32 v20, v23
	s_waitcnt lgkmcnt(0)
	s_barrier
	buffer_gl0_inv
	s_and_saveexec_b32 s10, s2
	s_cbranch_execz .LBB81_31
; %bb.30:
	ds_read2_b32 v[14:15], v17 offset1:1
	ds_read2_b32 v[23:24], v17 offset0:2 offset1:3
	ds_read2_b32 v[25:26], v17 offset0:4 offset1:5
	ds_read2_b32 v[27:28], v17 offset0:6 offset1:7
	s_waitcnt lgkmcnt(3)
	v_add_f32_e32 v14, v14, v15
	s_waitcnt lgkmcnt(2)
	v_add_f32_e32 v14, v14, v23
	v_add_f32_e32 v14, v14, v24
	s_waitcnt lgkmcnt(1)
	v_add_f32_e32 v14, v14, v25
	;; [unrolled: 3-line block ×3, first 2 shown]
	v_add_f32_e32 v24, v14, v28
.LBB81_31:
	s_or_b32 exec_lo, exec_lo, s10
	s_lshl_b64 s[10:11], s[16:17], 7
	v_cndmask_b32_e64 v14, 0, 1, s9
	v_add_co_u32 v3, vcc_lo, v3, s10
	v_add_co_ci_u32_e64 v4, null, s11, v4, vcc_lo
	s_lshl_b64 s[14:15], s[16:17], 5
	v_add_co_u32 v15, vcc_lo, 0x80, v3
	v_add_co_ci_u32_e64 v21, null, 0, v4, vcc_lo
	s_andn2_b32 vcc_lo, exec_lo, s9
	s_mov_b32 s9, -1
	s_barrier
	buffer_gl0_inv
	s_cbranch_vccnz .LBB81_33
; %bb.32:
	v_add_co_u32 v25, vcc_lo, v3, s14
	v_add_co_ci_u32_e64 v26, null, s15, v4, vcc_lo
	s_mov_b32 s9, 0
	v_add_co_u32 v27, vcc_lo, v25, s14
	v_add_co_ci_u32_e64 v28, null, s15, v26, vcc_lo
	v_add_co_u32 v29, vcc_lo, v27, s14
	v_add_co_ci_u32_e64 v30, null, s15, v28, vcc_lo
	s_clause 0x3
	global_load_dword v23, v[3:4], off offset:128
	global_load_dword v25, v[25:26], off offset:128
	;; [unrolled: 1-line block ×4, first 2 shown]
	v_mad_u32_u24 v28, 0x84, v5, v13
	s_waitcnt vmcnt(3)
	ds_write_b32 v28, v23
	s_waitcnt vmcnt(2)
	ds_write_b32 v28, v25 offset:1056
	s_waitcnt vmcnt(1)
	ds_write_b32 v28, v26 offset:2112
	;; [unrolled: 2-line block ×3, first 2 shown]
.LBB81_33:
	s_andn2_b32 vcc_lo, exec_lo, s9
	s_cbranch_vccnz .LBB81_43
; %bb.34:
	v_lshlrev_b32_e32 v23, 2, v2
	s_ashr_i32 s23, s22, 31
	v_or_b32_e32 v25, 32, v2
	s_lshl_b64 s[18:19], s[22:23], 2
	v_mov_b32_e32 v26, 0
	v_sub_co_u32 v3, vcc_lo, v3, v23
	v_subrev_co_ci_u32_e64 v4, null, 0, v4, vcc_lo
	v_mov_b32_e32 v27, 0
	v_add_co_u32 v3, vcc_lo, v3, s18
	v_add_co_ci_u32_e64 v4, null, s19, v4, vcc_lo
	s_sub_i32 s23, s22, 32
	v_add_co_u32 v3, vcc_lo, v3, -4
	v_add_co_ci_u32_e64 v4, null, -1, v4, vcc_lo
	v_cmp_gt_i32_e32 vcc_lo, s22, v25
	s_mov_b32 s33, exec_lo
	v_cndmask_b32_e32 v4, v4, v21, vcc_lo
	v_cndmask_b32_e32 v3, v3, v15, vcc_lo
	v_cmpx_gt_i32_e64 s23, v5
	s_cbranch_execz .LBB81_36
; %bb.35:
	global_load_dword v27, v[3:4], off
.LBB81_36:
	s_or_b32 exec_lo, exec_lo, s33
	v_add_nc_u32_e32 v28, 8, v5
	v_mul_u32_u24_e32 v25, 0x84, v5
	v_mad_u32_u24 v29, 0x84, v5, v13
	s_mov_b32 s33, exec_lo
	s_waitcnt vmcnt(0)
	ds_write_b32 v29, v27
	v_cmpx_gt_i32_e64 s23, v28
	s_cbranch_execz .LBB81_38
; %bb.37:
	v_add_co_u32 v26, s9, v3, s14
	v_add_co_ci_u32_e64 v27, null, s15, v4, s9
	global_load_dword v26, v[26:27], off
.LBB81_38:
	s_or_b32 exec_lo, exec_lo, s33
	v_add_nc_u32_e32 v28, 16, v5
	v_add_nc_u32_e32 v25, v25, v13
	v_mov_b32_e32 v27, 0
	v_cmp_gt_i32_e64 s9, s23, v28
	v_mov_b32_e32 v28, 0
	s_waitcnt vmcnt(0)
	ds_write_b32 v25, v26 offset:1056
	s_and_saveexec_b32 s33, s9
	s_cbranch_execz .LBB81_40
; %bb.39:
	s_lshl_b64 s[34:35], s[16:17], 6
	v_add_co_u32 v28, s9, v3, s34
	v_add_co_ci_u32_e64 v29, null, s35, v4, s9
	global_load_dword v28, v[28:29], off
.LBB81_40:
	s_or_b32 exec_lo, exec_lo, s33
	v_add_nc_u32_e32 v26, 24, v5
	s_waitcnt vmcnt(0)
	ds_write_b32 v25, v28 offset:2112
	v_cmp_gt_i32_e64 s9, s23, v26
	s_and_saveexec_b32 s23, s9
	s_cbranch_execz .LBB81_42
; %bb.41:
	v_mad_u64_u32 v[26:27], null, 0x60, s16, v[3:4]
	v_mad_u64_u32 v[27:28], null, 0x60, s17, v[27:28]
	global_load_dword v27, v[26:27], off
.LBB81_42:
	s_or_b32 exec_lo, exec_lo, s23
	v_add_co_u32 v3, s9, v3, v23
	v_add_co_ci_u32_e64 v4, null, 0, v4, s9
	s_waitcnt vmcnt(0)
	ds_write_b32 v25, v27 offset:3168
	v_sub_co_u32 v3, s9, v3, s18
	v_subrev_co_ci_u32_e64 v4, null, s19, v4, s9
	v_add_co_u32 v3, s9, 0x84, v3
	v_add_co_ci_u32_e64 v4, null, 0, v4, s9
	v_cndmask_b32_e32 v15, v3, v15, vcc_lo
	v_cndmask_b32_e32 v21, v4, v21, vcc_lo
.LBB81_43:
	v_mul_u32_u24_e32 v3, 0x210, v5
	v_add_nc_u32_e32 v4, 0x11c0, v22
	v_mul_u32_u24_e32 v10, 0x84, v10
	s_waitcnt lgkmcnt(0)
	s_barrier
	v_add_nc_u32_e32 v3, v13, v3
	buffer_gl0_inv
	s_and_saveexec_b32 s9, s3
	s_cbranch_execnz .LBB81_52
; %bb.44:
	s_or_b32 exec_lo, exec_lo, s9
	v_add_nc_u32_e32 v10, v13, v10
	s_and_saveexec_b32 s3, s4
	s_cbranch_execnz .LBB81_53
.LBB81_45:
	s_or_b32 exec_lo, exec_lo, s3
	s_and_saveexec_b32 s3, s5
	s_cbranch_execnz .LBB81_54
.LBB81_46:
	s_or_b32 exec_lo, exec_lo, s3
	s_and_saveexec_b32 s3, s8
	s_cbranch_execz .LBB81_48
.LBB81_47:
	ds_read_b32 v22, v11
	v_lshl_add_u32 v23, v12, 2, v17
	s_waitcnt lgkmcnt(0)
	ds_write_b32 v23, v22 offset:12
.LBB81_48:
	s_or_b32 exec_lo, exec_lo, s3
	s_waitcnt lgkmcnt(0)
	s_barrier
	buffer_gl0_inv
	ds_read_b32 v3, v3
	ds_read_b128 v[25:28], v4 offset:128
	ds_read2_b32 v[22:23], v10 offset1:33
	ds_read_b32 v10, v11
	v_cmp_eq_u32_e64 s3, 1, v5
	s_waitcnt lgkmcnt(0)
	s_barrier
	buffer_gl0_inv
	v_fma_f32 v3, v3, v25, 0
	v_fmac_f32_e32 v3, v22, v26
	v_fmac_f32_e32 v3, v23, v27
	;; [unrolled: 1-line block ×3, first 2 shown]
	ds_write_b32 v20, v3
	s_waitcnt lgkmcnt(0)
	s_barrier
	buffer_gl0_inv
	s_and_saveexec_b32 s4, s3
	s_cbranch_execz .LBB81_50
; %bb.49:
	ds_read2_b32 v[10:11], v17 offset1:1
	ds_read2_b32 v[22:23], v17 offset0:2 offset1:3
	ds_read2_b32 v[24:25], v17 offset0:4 offset1:5
	;; [unrolled: 1-line block ×3, first 2 shown]
	s_waitcnt lgkmcnt(3)
	v_add_f32_e32 v3, v10, v11
	s_waitcnt lgkmcnt(2)
	v_add_f32_e32 v3, v3, v22
	v_add_f32_e32 v3, v3, v23
	s_waitcnt lgkmcnt(1)
	v_add_f32_e32 v3, v3, v24
	;; [unrolled: 3-line block ×3, first 2 shown]
	v_add_f32_e32 v24, v3, v27
.LBB81_50:
	s_or_b32 exec_lo, exec_lo, s4
	s_lshl_b64 s[4:5], s[14:15], 2
	v_cmp_ne_u32_e32 vcc_lo, 1, v14
	v_sub_co_u32 v10, s4, v15, s4
	v_subrev_co_ci_u32_e64 v11, null, s5, v21, s4
	s_barrier
	buffer_gl0_inv
	s_cbranch_vccnz .LBB81_55
; %bb.51:
	v_add_co_u32 v14, vcc_lo, v10, s14
	v_add_co_ci_u32_e64 v15, null, s15, v11, vcc_lo
	global_load_dword v3, v[10:11], off
	v_add_co_u32 v21, vcc_lo, v14, s14
	v_add_co_ci_u32_e64 v22, null, s15, v15, vcc_lo
	s_movk_i32 s4, 0x420
	v_add_co_u32 v25, vcc_lo, v21, s14
	v_add_co_ci_u32_e64 v26, null, s15, v22, vcc_lo
	s_movk_i32 s5, 0x840
	s_clause 0x2
	global_load_dword v27, v[14:15], off
	global_load_dword v28, v[21:22], off
	;; [unrolled: 1-line block ×3, first 2 shown]
	v_mad_u32_u24 v15, 0x84, v5, v13
	v_mad_u32_u24 v21, 0x84, v5, s4
	s_movk_i32 s4, 0xc60
	v_mad_u32_u24 v23, 0x84, v5, s5
	v_mul_u32_u24_e32 v14, 0x84, v5
	v_add_nc_u32_e32 v22, 16, v5
	v_add_nc_u32_e32 v29, v13, v21
	;; [unrolled: 1-line block ×4, first 2 shown]
	s_waitcnt vmcnt(3)
	ds_write_b32 v15, v3
	v_mad_u32_u24 v3, 0x84, v5, s4
	v_add_nc_u32_e32 v15, 8, v5
	s_waitcnt vmcnt(2)
	ds_write_b32 v29, v27
	s_waitcnt vmcnt(1)
	ds_write_b32 v30, v28
	v_add_nc_u32_e32 v31, v13, v3
	s_waitcnt vmcnt(0)
	ds_write_b32 v31, v26
	s_cbranch_execz .LBB81_56
	s_branch .LBB81_65
.LBB81_52:
	ds_read_b32 v22, v3
	v_lshl_add_u32 v23, v12, 2, v17
	s_waitcnt lgkmcnt(0)
	ds_write_b32 v23, v22
	s_or_b32 exec_lo, exec_lo, s9
	v_add_nc_u32_e32 v10, v13, v10
	s_and_saveexec_b32 s3, s4
	s_cbranch_execz .LBB81_45
.LBB81_53:
	ds_read_b32 v22, v10
	v_lshl_add_u32 v23, v12, 2, v17
	s_waitcnt lgkmcnt(0)
	ds_write_b32 v23, v22 offset:4
	s_or_b32 exec_lo, exec_lo, s3
	s_and_saveexec_b32 s3, s5
	s_cbranch_execz .LBB81_46
.LBB81_54:
	ds_read_b32 v22, v10 offset:132
	v_lshl_add_u32 v23, v12, 2, v17
	s_waitcnt lgkmcnt(0)
	ds_write_b32 v23, v22 offset:8
	s_or_b32 exec_lo, exec_lo, s3
	s_and_saveexec_b32 s3, s8
	s_cbranch_execnz .LBB81_47
	s_branch .LBB81_48
.LBB81_55:
                                        ; implicit-def: $vgpr14
                                        ; implicit-def: $vgpr15
                                        ; implicit-def: $vgpr21
                                        ; implicit-def: $vgpr22
                                        ; implicit-def: $vgpr23
                                        ; implicit-def: $vgpr25
                                        ; implicit-def: $vgpr3
.LBB81_56:
	v_lshlrev_b32_e32 v26, 2, v2
	s_ashr_i32 s23, s22, 31
	v_or_b32_e32 v2, 32, v2
	s_lshl_b64 s[8:9], s[22:23], 2
	v_mov_b32_e32 v23, 0
	v_sub_co_u32 v3, vcc_lo, v10, v26
	v_subrev_co_ci_u32_e64 v14, null, 0, v11, vcc_lo
	v_mov_b32_e32 v21, 0
	v_add_co_u32 v3, vcc_lo, v3, s8
	v_add_co_ci_u32_e64 v14, null, s9, v14, vcc_lo
	s_mov_b32 s5, exec_lo
	v_add_co_u32 v15, vcc_lo, 0xffffff7c, v3
	v_add_co_ci_u32_e64 v3, null, -1, v14, vcc_lo
	v_cmp_gt_i32_e32 vcc_lo, s22, v2
	v_cndmask_b32_e32 v3, v3, v11, vcc_lo
	v_cndmask_b32_e32 v2, v15, v10, vcc_lo
	v_cmpx_gt_i32_e64 s22, v5
	s_cbranch_execz .LBB81_58
; %bb.57:
	global_load_dword v21, v[2:3], off
.LBB81_58:
	s_or_b32 exec_lo, exec_lo, s5
	v_add_nc_u32_e32 v15, 8, v5
	v_mul_u32_u24_e32 v14, 0x84, v5
	v_mad_u32_u24 v22, 0x84, v5, v13
	s_mov_b32 s5, exec_lo
	s_waitcnt vmcnt(0)
	ds_write_b32 v22, v21
	v_cmpx_gt_i32_e64 s22, v15
	s_cbranch_execz .LBB81_60
; %bb.59:
	v_add_co_u32 v21, s4, v2, s14
	v_add_co_ci_u32_e64 v22, null, s15, v3, s4
	global_load_dword v23, v[21:22], off
.LBB81_60:
	s_or_b32 exec_lo, exec_lo, s5
	v_add_nc_u32_e32 v21, 0x420, v14
	v_add_nc_u32_e32 v22, 16, v5
	v_mov_b32_e32 v27, 0
	v_mov_b32_e32 v28, 0
	s_mov_b32 s5, exec_lo
	v_add_nc_u32_e32 v25, v13, v21
	s_waitcnt vmcnt(0)
	ds_write_b32 v25, v23
	v_cmpx_gt_i32_e64 s22, v22
	s_cbranch_execz .LBB81_62
; %bb.61:
	s_lshl_b64 s[14:15], s[16:17], 6
	v_add_co_u32 v28, s4, v2, s14
	v_add_co_ci_u32_e64 v29, null, s15, v3, s4
	global_load_dword v28, v[28:29], off
.LBB81_62:
	s_or_b32 exec_lo, exec_lo, s5
	v_add_nc_u32_e32 v23, 0x420, v21
	v_add_nc_u32_e32 v25, 24, v5
	s_mov_b32 s5, exec_lo
	v_add_nc_u32_e32 v5, v13, v23
	s_waitcnt vmcnt(0)
	ds_write_b32 v5, v28
	v_cmpx_gt_i32_e64 s22, v25
	s_cbranch_execz .LBB81_64
; %bb.63:
	v_mad_u64_u32 v[27:28], null, 0x60, s16, v[2:3]
	v_mov_b32_e32 v5, v28
	v_mad_u64_u32 v[28:29], null, 0x60, s17, v[5:6]
	global_load_dword v27, v[27:28], off
.LBB81_64:
	s_or_b32 exec_lo, exec_lo, s5
	v_add_co_u32 v2, s4, v2, v26
	v_add_co_ci_u32_e64 v3, null, 0, v3, s4
	v_sub_co_u32 v2, s4, v2, s8
	v_subrev_co_ci_u32_e64 v5, null, s9, v3, s4
	v_add_nc_u32_e32 v3, 0x420, v23
	v_add_co_u32 v2, s4, 0x84, v2
	v_add_co_ci_u32_e64 v5, null, 0, v5, s4
	v_add_nc_u32_e32 v26, v13, v3
	v_cndmask_b32_e32 v10, v2, v10, vcc_lo
	v_cndmask_b32_e32 v11, v5, v11, vcc_lo
	s_waitcnt vmcnt(0)
	ds_write_b32 v26, v27
.LBB81_65:
	v_add_nc_u32_e32 v2, v13, v14
	v_add_nc_u32_e32 v5, v13, v21
	v_lshlrev_b32_e32 v14, 2, v15
	s_waitcnt lgkmcnt(0)
	s_barrier
	buffer_gl0_inv
	ds_read_b32 v15, v2
	ds_read_b32 v21, v12 offset:4544
	ds_read_b32 v26, v5
	v_lshlrev_b32_e32 v5, 2, v22
	ds_read_b32 v22, v14 offset:4544
	v_add_nc_u32_e32 v2, v13, v23
	v_add_nc_u32_e32 v3, v13, v3
	v_lshlrev_b32_e32 v13, 2, v25
	ds_read_b32 v23, v2
	ds_read_b32 v25, v5 offset:4544
	ds_read_b32 v27, v3
	ds_read_b32 v28, v13 offset:4544
	v_lshl_add_u32 v12, v12, 2, v17
	ds_read_b128 v[2:5], v4 offset:128
	s_waitcnt lgkmcnt(7)
	v_fma_f32 v21, v15, v21, 0
	ds_read2_b32 v[14:15], v12 offset1:1
	ds_read2_b32 v[12:13], v12 offset0:2 offset1:3
	s_waitcnt lgkmcnt(0)
	s_barrier
	buffer_gl0_inv
	v_fmac_f32_e32 v21, v26, v22
	v_fmac_f32_e32 v21, v23, v25
	;; [unrolled: 1-line block ×3, first 2 shown]
	ds_write_b32 v20, v21
	s_waitcnt lgkmcnt(0)
	s_barrier
	buffer_gl0_inv
	s_and_saveexec_b32 s4, s3
	s_cbranch_execz .LBB81_67
; %bb.66:
	ds_read2_b32 v[21:22], v17 offset1:1
	ds_read2_b32 v[25:26], v17 offset0:2 offset1:3
	ds_read2_b32 v[27:28], v17 offset0:4 offset1:5
	;; [unrolled: 1-line block ×3, first 2 shown]
	s_waitcnt lgkmcnt(3)
	v_add_f32_e32 v21, v24, v21
	v_add_f32_e32 v21, v21, v22
	s_waitcnt lgkmcnt(2)
	v_add_f32_e32 v21, v21, v25
	v_add_f32_e32 v21, v21, v26
	;; [unrolled: 3-line block ×4, first 2 shown]
.LBB81_67:
	s_or_b32 exec_lo, exec_lo, s4
	v_fma_f32 v2, v14, v2, 0
	s_barrier
	buffer_gl0_inv
	v_fmac_f32_e32 v2, v15, v3
	v_fmac_f32_e32 v2, v12, v4
	;; [unrolled: 1-line block ×3, first 2 shown]
	ds_write_b32 v20, v2
	s_waitcnt lgkmcnt(0)
	s_barrier
	buffer_gl0_inv
	s_and_saveexec_b32 s3, s2
	s_cbranch_execz .LBB81_69
; %bb.68:
	ds_read2_b32 v[2:3], v17 offset1:1
	ds_read2_b32 v[4:5], v17 offset0:2 offset1:3
	ds_read2_b32 v[12:13], v17 offset0:4 offset1:5
	;; [unrolled: 1-line block ×3, first 2 shown]
	s_waitcnt lgkmcnt(3)
	v_add_f32_e32 v2, v24, v2
	v_add_f32_e32 v2, v2, v3
	s_waitcnt lgkmcnt(2)
	v_add_f32_e32 v2, v2, v4
	v_add_f32_e32 v2, v2, v5
	s_waitcnt lgkmcnt(1)
	v_add_f32_e32 v2, v2, v12
	v_add_f32_e32 v2, v2, v13
	s_waitcnt lgkmcnt(0)
	v_add_f32_e32 v2, v2, v14
	v_add_f32_e32 v24, v2, v15
.LBB81_69:
	s_or_b32 exec_lo, exec_lo, s3
	s_mul_hi_u32 s2, s28, s7
	s_mul_i32 s30, s30, s7
	s_mul_i32 s3, s28, s7
	s_add_i32 s2, s2, s30
	s_mul_hi_u32 s5, s3, s29
	s_mul_i32 s4, s2, s29
	s_mul_i32 s2, s3, s29
	s_add_i32 s3, s5, s4
	s_mul_i32 s4, s28, s6
	s_lshl_b64 s[2:3], s[2:3], 2
	v_cmp_le_i32_e32 vcc_lo, s22, v0
	s_add_u32 s7, s26, s2
	s_addc_u32 s8, s27, s3
	s_ashr_i32 s5, s4, 31
	v_lshlrev_b32_e32 v25, 2, v0
	s_lshl_b64 s[2:3], s[4:5], 2
	s_add_u32 s7, s7, s2
	s_addc_u32 s18, s8, s3
	s_and_b32 vcc_lo, s31, vcc_lo
	s_cmp_lt_i32 s6, 1
	s_barrier
	buffer_gl0_inv
	s_cbranch_scc1 .LBB81_76
; %bb.70:
	v_lshlrev_b32_e32 v4, 2, v1
	v_sub_co_u32 v5, s2, v10, s12
	v_subrev_co_ci_u32_e64 v10, null, s13, v11, s2
	v_mad_u64_u32 v[2:3], null, s16, v4, 0
	v_sub_co_u32 v5, s2, v5, v8
	v_sub_co_ci_u32_e64 v8, null, v10, v9, s2
	s_ashr_i32 s23, s22, 31
	s_mul_i32 s3, s24, s21
	v_mad_u64_u32 v[3:4], null, s17, v4, v[3:4]
	s_lshl_b64 s[8:9], s[22:23], 2
	s_mul_hi_u32 s5, s24, s20
	s_mul_i32 s14, s25, s20
	s_add_i32 s3, s5, s3
	s_mul_i32 s4, s24, s20
	s_add_i32 s5, s3, s14
	v_lshlrev_b64 v[2:3], 2, v[2:3]
	s_mul_i32 s3, s17, 12
	s_mul_hi_u32 s14, s16, 12
	v_and_b32_e32 v4, 15, v0
	s_add_i32 s19, s14, s3
	s_mul_i32 s3, s17, 0x48
	v_add_co_u32 v2, s2, v5, v2
	v_add_co_ci_u32_e64 v3, null, v8, v3, s2
	s_mul_hi_u32 s14, s16, 0x48
	v_add_co_u32 v5, s2, v2, s8
	v_add_co_ci_u32_e64 v8, null, s9, v3, s2
	v_add_co_u32 v2, s2, v2, v25
	v_add_co_ci_u32_e64 v3, null, 0, v3, s2
	v_add_co_u32 v5, s2, 0xffffff7c, v5
	v_add_co_ci_u32_e64 v8, null, -1, v8, s2
	v_add_co_u32 v2, s2, 0xffffff80, v2
	v_add_co_ci_u32_e64 v3, null, -1, v3, s2
	s_add_i32 s21, s14, s3
	s_mul_i32 s3, s17, 0x4c
	s_mul_hi_u32 s14, s16, 0x4c
	v_cndmask_b32_e32 v23, v3, v8, vcc_lo
	s_add_i32 s23, s14, s3
	s_mul_i32 s3, s17, 0x88
	s_mul_hi_u32 s14, s16, 0x88
	v_cndmask_b32_e32 v22, v2, v5, vcc_lo
	s_add_i32 s27, s14, s3
	s_mul_i32 s3, s17, 0x8c
	s_mul_hi_u32 s14, s16, 0x8c
	v_lshrrev_b32_e32 v2, 2, v16
	v_and_b32_e32 v3, 48, v0
	s_lshl_b64 s[4:5], s[4:5], 2
	s_add_i32 s29, s14, s3
	s_mul_i32 s3, s17, 0xc8
	s_mul_hi_u32 s14, s16, 0xc8
	v_sub_co_u32 v26, s2, v6, s4
	s_add_i32 s31, s14, s3
	s_mul_i32 s3, s17, 0xcc
	s_mul_hi_u32 s14, s16, 0xcc
	v_subrev_co_ci_u32_e64 v27, null, s5, v7, s2
	v_and_b32_e32 v2, 0x1ffc, v2
	v_mul_u32_u24_e32 v5, 0x10c, v4
	v_lshlrev_b32_e32 v3, 2, v3
	v_or_b32_e32 v6, 60, v25
	v_and_b32_e32 v7, 0x7ff0, v16
	s_add_i32 s34, s14, s3
	s_mul_i32 s3, s17, 0xc4
	s_mul_hi_u32 s14, s16, 0xc4
	v_mov_b32_e32 v21, 0
	s_add_i32 s36, s14, s3
	s_mul_i32 s3, s17, 0xc0
	s_mul_hi_u32 s14, s16, 0xc0
	v_add_nc_u32_e32 v28, 0x10c0, v25
	s_add_i32 s38, s14, s3
	s_mul_i32 s3, s17, 0x84
	s_mul_hi_u32 s14, s16, 0x84
	v_lshl_add_u32 v29, v1, 4, 0x10c0
	v_add_nc_u32_e32 v30, 0x11c0, v25
	v_mad_u32_u24 v31, 0x430, v1, v25
	v_mad_u32_u24 v32, 0x10c, v4, v2
	v_cmp_gt_u32_e64 s2, 64, v16
	v_mad_u32_u24 v33, 0x10c, v4, v3
	v_mad_u32_u24 v34, 0x10c, v4, v6
	v_add_nc_u32_e32 v35, v5, v7
	s_add_i32 s40, s14, s3
	s_mul_i32 s3, s17, 0x44
	s_mul_hi_u32 s14, s16, 0x44
	s_lshl_b64 s[4:5], s[16:17], 2
	s_lshl_b64 s[8:9], s[16:17], 8
	;; [unrolled: 1-line block ×3, first 2 shown]
	s_mul_i32 s20, s16, 12
	s_mul_i32 s22, s16, 0x48
	;; [unrolled: 1-line block ×10, first 2 shown]
	s_add_i32 s42, s14, s3
	s_mul_i32 s43, s16, 0x44
	s_lshl_b64 s[14:15], s[16:17], 6
	s_mov_b32 s16, 0
	s_branch .LBB81_72
.LBB81_71:                              ;   in Loop: Header=BB81_72 Depth=1
	s_or_b32 exec_lo, exec_lo, s17
	v_fmac_f32_e32 v24, v36, v2
	v_add_co_u32 v22, s3, v22, s8
	v_add_co_ci_u32_e64 v23, null, s9, v23, s3
	v_fmac_f32_e32 v24, v37, v3
	s_add_i32 s6, s6, -1
	s_add_i32 s16, s16, 64
	s_cmp_eq_u32 s6, 0
	s_waitcnt_vscnt null, 0x0
	v_fmac_f32_e32 v24, v38, v4
	s_barrier
	buffer_gl0_inv
	v_fmac_f32_e32 v24, v39, v5
	v_fmac_f32_e32 v24, v40, v6
	;; [unrolled: 1-line block ×13, first 2 shown]
	s_cbranch_scc1 .LBB81_76
.LBB81_72:                              ; =>This Inner Loop Header: Depth=1
	s_and_saveexec_b32 s17, s1
	s_cbranch_execz .LBB81_74
; %bb.73:                               ;   in Loop: Header=BB81_72 Depth=1
	s_mul_i32 s3, s25, s16
	s_mul_hi_u32 s45, s24, s16
	s_mul_i32 s44, s24, s16
	s_add_i32 s45, s45, s3
	s_lshl_b64 s[44:45], s[44:45], 2
	v_add_co_u32 v2, s3, v26, s44
	v_add_co_ci_u32_e64 v3, null, s45, v27, s3
	global_load_dword v2, v[2:3], off
	s_waitcnt vmcnt(0)
	ds_write_b32 v28, v2
.LBB81_74:                              ;   in Loop: Header=BB81_72 Depth=1
	s_or_b32 exec_lo, exec_lo, s17
	v_add_co_u32 v2, s3, v22, s4
	v_add_co_ci_u32_e64 v3, null, s5, v23, s3
	s_waitcnt lgkmcnt(0)
	s_barrier
	buffer_gl0_inv
	s_clause 0x1
	global_load_dword v36, v[22:23], off
	global_load_dword v37, v[2:3], off
	v_add_co_u32 v2, s3, v22, s12
	v_add_co_ci_u32_e64 v3, null, s13, v23, s3
	global_load_dword v38, v[2:3], off
	v_add_co_u32 v2, s3, v22, s20
	v_add_co_ci_u32_e64 v3, null, s19, v23, s3
	global_load_dword v39, v[2:3], off
	ds_read_b32 v6, v30
	ds_read_b128 v[2:5], v29
	s_waitcnt vmcnt(3) lgkmcnt(1)
	v_mul_f32_e32 v7, v36, v6
	s_waitcnt vmcnt(2)
	v_mul_f32_e32 v8, v37, v6
	ds_write2_b32 v31, v7, v8 offset1:67
	s_waitcnt vmcnt(1)
	v_mul_f32_e32 v7, v38, v6
	s_waitcnt vmcnt(0)
	v_mul_f32_e32 v6, v39, v6
	ds_write2_b32 v31, v7, v6 offset0:134 offset1:201
	s_waitcnt lgkmcnt(0)
	s_barrier
	buffer_gl0_inv
	ds_read2_b32 v[6:7], v35 offset1:1
	s_waitcnt lgkmcnt(0)
	v_add_f32_e32 v6, 0, v6
	v_add_f32_e32 v8, v6, v7
	ds_read2_b32 v[6:7], v35 offset0:2 offset1:3
	s_waitcnt lgkmcnt(0)
	s_barrier
	buffer_gl0_inv
	v_add_f32_e32 v6, v8, v6
	v_add_f32_e32 v20, v6, v7
	v_add_co_u32 v6, s3, v22, s14
	v_add_co_ci_u32_e64 v7, null, s15, v23, s3
	global_load_dword v40, v[6:7], off
	v_add_co_u32 v6, s3, v22, s43
	v_add_co_ci_u32_e64 v7, null, s42, v23, s3
	global_load_dword v41, v[6:7], off
	v_add_co_u32 v6, s3, v22, s22
	v_add_co_ci_u32_e64 v7, null, s21, v23, s3
	global_load_dword v42, v[6:7], off
	v_add_co_u32 v6, s3, v22, s26
	v_add_co_ci_u32_e64 v7, null, s23, v23, s3
	global_load_dword v43, v[6:7], off
	ds_read_b32 v10, v30
	ds_read_b128 v[6:9], v29 offset:64
	s_waitcnt vmcnt(3) lgkmcnt(1)
	v_mul_f32_e32 v11, v40, v10
	s_waitcnt vmcnt(2)
	v_mul_f32_e32 v12, v41, v10
	ds_write2_b32 v31, v11, v12 offset1:67
	s_waitcnt vmcnt(1)
	v_mul_f32_e32 v11, v42, v10
	s_waitcnt vmcnt(0)
	v_mul_f32_e32 v10, v43, v10
	ds_write2_b32 v31, v11, v10 offset0:134 offset1:201
	s_waitcnt lgkmcnt(0)
	s_barrier
	buffer_gl0_inv
	ds_read2_b32 v[10:11], v35 offset1:1
	s_waitcnt lgkmcnt(0)
	v_add_f32_e32 v10, 0, v10
	v_add_f32_e32 v12, v10, v11
	ds_read2_b32 v[10:11], v35 offset0:2 offset1:3
	s_waitcnt lgkmcnt(0)
	s_barrier
	buffer_gl0_inv
	v_add_f32_e32 v10, v12, v10
	v_add_f32_e32 v54, v10, v11
	v_add_co_u32 v10, s3, v22, s10
	v_add_co_ci_u32_e64 v11, null, s11, v23, s3
	global_load_dword v44, v[10:11], off
	v_add_co_u32 v10, s3, v22, s41
	v_add_co_ci_u32_e64 v11, null, s40, v23, s3
	global_load_dword v45, v[10:11], off
	v_add_co_u32 v10, s3, v22, s28
	v_add_co_ci_u32_e64 v11, null, s27, v23, s3
	global_load_dword v46, v[10:11], off
	v_add_co_u32 v10, s3, v22, s30
	v_add_co_ci_u32_e64 v11, null, s29, v23, s3
	global_load_dword v47, v[10:11], off
	ds_read_b32 v14, v30
	ds_read_b128 v[10:13], v29 offset:128
	s_waitcnt vmcnt(3) lgkmcnt(1)
	v_mul_f32_e32 v15, v44, v14
	s_waitcnt vmcnt(2)
	v_mul_f32_e32 v16, v45, v14
	ds_write2_b32 v31, v15, v16 offset1:67
	s_waitcnt vmcnt(1)
	v_mul_f32_e32 v15, v46, v14
	s_waitcnt vmcnt(0)
	v_mul_f32_e32 v14, v47, v14
	ds_write2_b32 v31, v15, v14 offset0:134 offset1:201
	s_waitcnt lgkmcnt(0)
	s_barrier
	buffer_gl0_inv
	ds_read2_b32 v[14:15], v35 offset1:1
	s_waitcnt lgkmcnt(0)
	v_add_f32_e32 v14, 0, v14
	v_add_f32_e32 v16, v14, v15
	ds_read2_b32 v[14:15], v35 offset0:2 offset1:3
	s_waitcnt lgkmcnt(0)
	s_barrier
	buffer_gl0_inv
	v_add_f32_e32 v14, v16, v14
	v_add_f32_e32 v55, v14, v15
	v_add_co_u32 v14, s3, v22, s39
	v_add_co_ci_u32_e64 v15, null, s38, v23, s3
	global_load_dword v48, v[14:15], off
	v_add_co_u32 v14, s3, v22, s37
	v_add_co_ci_u32_e64 v15, null, s36, v23, s3
	global_load_dword v49, v[14:15], off
	v_add_co_u32 v14, s3, v22, s33
	v_add_co_ci_u32_e64 v15, null, s31, v23, s3
	global_load_dword v50, v[14:15], off
	v_add_co_u32 v14, s3, v22, s35
	v_add_co_ci_u32_e64 v15, null, s34, v23, s3
	global_load_dword v51, v[14:15], off
	ds_read_b32 v52, v30
	ds_read_b128 v[14:17], v29 offset:192
	s_waitcnt vmcnt(3) lgkmcnt(1)
	v_mul_f32_e32 v53, v48, v52
	s_waitcnt vmcnt(2)
	v_mul_f32_e32 v56, v49, v52
	ds_write2_b32 v31, v53, v56 offset1:67
	s_waitcnt vmcnt(1)
	v_mul_f32_e32 v53, v50, v52
	s_waitcnt vmcnt(0)
	v_mul_f32_e32 v52, v51, v52
	ds_write2_b32 v31, v53, v52 offset0:134 offset1:201
	s_waitcnt lgkmcnt(0)
	s_barrier
	buffer_gl0_inv
	ds_read2_b32 v[52:53], v35 offset1:1
	s_waitcnt lgkmcnt(0)
	v_add_f32_e32 v52, 0, v52
	v_add_f32_e32 v56, v52, v53
	ds_read2_b32 v[52:53], v35 offset0:2 offset1:3
	s_waitcnt lgkmcnt(0)
	s_barrier
	buffer_gl0_inv
	v_add_f32_e32 v52, v56, v52
	v_add_f32_e32 v52, v52, v53
	ds_write2_b32 v32, v20, v54 offset1:16
	ds_write2_b32 v32, v55, v52 offset0:32 offset1:48
	s_waitcnt lgkmcnt(0)
	s_barrier
	buffer_gl0_inv
	s_and_saveexec_b32 s17, s2
	s_cbranch_execz .LBB81_71
; %bb.75:                               ;   in Loop: Header=BB81_72 Depth=1
	ds_read2_b32 v[52:53], v33 offset1:1
	ds_read2_b32 v[54:55], v33 offset0:2 offset1:3
	ds_read2_b32 v[56:57], v33 offset0:4 offset1:5
	;; [unrolled: 1-line block ×3, first 2 shown]
	s_waitcnt lgkmcnt(3)
	v_add_f32_e32 v20, v52, v53
	ds_read2_b32 v[52:53], v33 offset0:8 offset1:9
	s_waitcnt lgkmcnt(3)
	v_add_f32_e32 v20, v20, v54
	v_add_f32_e32 v20, v20, v55
	ds_read2_b32 v[54:55], v33 offset0:10 offset1:11
	s_waitcnt lgkmcnt(3)
	v_add_f32_e32 v20, v20, v56
	v_add_f32_e32 v20, v20, v57
	s_waitcnt lgkmcnt(2)
	v_add_f32_e32 v20, v20, v58
	ds_read2_b32 v[56:57], v33 offset0:12 offset1:13
	ds_read_b32 v58, v33 offset:56
	v_add_f32_e32 v20, v20, v59
	s_waitcnt lgkmcnt(3)
	v_add_f32_e32 v20, v20, v52
	v_add_f32_e32 v20, v20, v53
	s_waitcnt lgkmcnt(2)
	v_add_f32_e32 v20, v20, v54
	ds_read_b32 v54, v34
	v_add_f32_e32 v20, v20, v55
	s_waitcnt lgkmcnt(2)
	v_add_f32_e32 v20, v20, v56
	v_add_f32_e32 v52, v20, v57
	v_add_nc_u32_e32 v20, s16, v0
	s_waitcnt lgkmcnt(1)
	v_add_f32_e32 v55, v52, v58
	v_lshlrev_b64 v[52:53], 2, v[20:21]
	s_waitcnt lgkmcnt(0)
	v_add_f32_e32 v20, v55, v54
	v_add_co_u32 v52, s3, s7, v52
	v_add_co_ci_u32_e64 v53, null, s18, v53, s3
	global_store_dword v[52:53], v20, off
	s_branch .LBB81_71
.LBB81_76:
	v_mad_u32_u24 v0, 0x10c, v1, v25
	s_nor_b32 s0, s0, vcc_lo
	ds_write_b32 v0, v24
	s_waitcnt lgkmcnt(0)
	s_barrier
	buffer_gl0_inv
	s_and_saveexec_b32 s1, s0
	s_cbranch_execz .LBB81_78
; %bb.77:
	ds_read2_b32 v[0:1], v25 offset1:67
	ds_read2_b32 v[2:3], v25 offset0:134 offset1:201
	s_waitcnt lgkmcnt(1)
	v_add_f32_e32 v0, v0, v1
	s_waitcnt lgkmcnt(0)
	v_add_f32_e32 v2, v0, v2
	v_lshlrev_b64 v[0:1], 2, v[18:19]
	v_add_f32_e32 v2, v2, v3
	v_add_co_u32 v0, vcc_lo, s7, v0
	v_add_co_ci_u32_e64 v1, null, s18, v1, vcc_lo
	global_store_dword v[0:1], v2, off
.LBB81_78:
	s_endpgm
	.section	.rodata,"a",@progbits
	.p2align	6, 0x0
	.amdhsa_kernel _ZL26rocblas_hemvn_kernel_lowerILb0ELi64ELi4ELi33ELi32ELi16ElPKfS1_PfEviT6_lT7_lT5_lS4_lS5_lS3_lT8_i
		.amdhsa_group_segment_fixed_size 4800
		.amdhsa_private_segment_fixed_size 0
		.amdhsa_kernarg_size 376
		.amdhsa_user_sgpr_count 6
		.amdhsa_user_sgpr_private_segment_buffer 1
		.amdhsa_user_sgpr_dispatch_ptr 0
		.amdhsa_user_sgpr_queue_ptr 0
		.amdhsa_user_sgpr_kernarg_segment_ptr 1
		.amdhsa_user_sgpr_dispatch_id 0
		.amdhsa_user_sgpr_flat_scratch_init 0
		.amdhsa_user_sgpr_private_segment_size 0
		.amdhsa_wavefront_size32 1
		.amdhsa_uses_dynamic_stack 0
		.amdhsa_system_sgpr_private_segment_wavefront_offset 0
		.amdhsa_system_sgpr_workgroup_id_x 1
		.amdhsa_system_sgpr_workgroup_id_y 0
		.amdhsa_system_sgpr_workgroup_id_z 1
		.amdhsa_system_sgpr_workgroup_info 0
		.amdhsa_system_vgpr_workitem_id 1
		.amdhsa_next_free_vgpr 60
		.amdhsa_next_free_sgpr 46
		.amdhsa_reserve_vcc 1
		.amdhsa_reserve_flat_scratch 0
		.amdhsa_float_round_mode_32 0
		.amdhsa_float_round_mode_16_64 0
		.amdhsa_float_denorm_mode_32 3
		.amdhsa_float_denorm_mode_16_64 3
		.amdhsa_dx10_clamp 1
		.amdhsa_ieee_mode 1
		.amdhsa_fp16_overflow 0
		.amdhsa_workgroup_processor_mode 1
		.amdhsa_memory_ordered 1
		.amdhsa_forward_progress 1
		.amdhsa_shared_vgpr_count 0
		.amdhsa_exception_fp_ieee_invalid_op 0
		.amdhsa_exception_fp_denorm_src 0
		.amdhsa_exception_fp_ieee_div_zero 0
		.amdhsa_exception_fp_ieee_overflow 0
		.amdhsa_exception_fp_ieee_underflow 0
		.amdhsa_exception_fp_ieee_inexact 0
		.amdhsa_exception_int_div_zero 0
	.end_amdhsa_kernel
	.section	.text._ZL26rocblas_hemvn_kernel_lowerILb0ELi64ELi4ELi33ELi32ELi16ElPKfS1_PfEviT6_lT7_lT5_lS4_lS5_lS3_lT8_i,"axG",@progbits,_ZL26rocblas_hemvn_kernel_lowerILb0ELi64ELi4ELi33ELi32ELi16ElPKfS1_PfEviT6_lT7_lT5_lS4_lS5_lS3_lT8_i,comdat
.Lfunc_end81:
	.size	_ZL26rocblas_hemvn_kernel_lowerILb0ELi64ELi4ELi33ELi32ELi16ElPKfS1_PfEviT6_lT7_lT5_lS4_lS5_lS3_lT8_i, .Lfunc_end81-_ZL26rocblas_hemvn_kernel_lowerILb0ELi64ELi4ELi33ELi32ELi16ElPKfS1_PfEviT6_lT7_lT5_lS4_lS5_lS3_lT8_i
                                        ; -- End function
	.set _ZL26rocblas_hemvn_kernel_lowerILb0ELi64ELi4ELi33ELi32ELi16ElPKfS1_PfEviT6_lT7_lT5_lS4_lS5_lS3_lT8_i.num_vgpr, 60
	.set _ZL26rocblas_hemvn_kernel_lowerILb0ELi64ELi4ELi33ELi32ELi16ElPKfS1_PfEviT6_lT7_lT5_lS4_lS5_lS3_lT8_i.num_agpr, 0
	.set _ZL26rocblas_hemvn_kernel_lowerILb0ELi64ELi4ELi33ELi32ELi16ElPKfS1_PfEviT6_lT7_lT5_lS4_lS5_lS3_lT8_i.numbered_sgpr, 46
	.set _ZL26rocblas_hemvn_kernel_lowerILb0ELi64ELi4ELi33ELi32ELi16ElPKfS1_PfEviT6_lT7_lT5_lS4_lS5_lS3_lT8_i.num_named_barrier, 0
	.set _ZL26rocblas_hemvn_kernel_lowerILb0ELi64ELi4ELi33ELi32ELi16ElPKfS1_PfEviT6_lT7_lT5_lS4_lS5_lS3_lT8_i.private_seg_size, 0
	.set _ZL26rocblas_hemvn_kernel_lowerILb0ELi64ELi4ELi33ELi32ELi16ElPKfS1_PfEviT6_lT7_lT5_lS4_lS5_lS3_lT8_i.uses_vcc, 1
	.set _ZL26rocblas_hemvn_kernel_lowerILb0ELi64ELi4ELi33ELi32ELi16ElPKfS1_PfEviT6_lT7_lT5_lS4_lS5_lS3_lT8_i.uses_flat_scratch, 0
	.set _ZL26rocblas_hemvn_kernel_lowerILb0ELi64ELi4ELi33ELi32ELi16ElPKfS1_PfEviT6_lT7_lT5_lS4_lS5_lS3_lT8_i.has_dyn_sized_stack, 0
	.set _ZL26rocblas_hemvn_kernel_lowerILb0ELi64ELi4ELi33ELi32ELi16ElPKfS1_PfEviT6_lT7_lT5_lS4_lS5_lS3_lT8_i.has_recursion, 0
	.set _ZL26rocblas_hemvn_kernel_lowerILb0ELi64ELi4ELi33ELi32ELi16ElPKfS1_PfEviT6_lT7_lT5_lS4_lS5_lS3_lT8_i.has_indirect_call, 0
	.section	.AMDGPU.csdata,"",@progbits
; Kernel info:
; codeLenInByte = 6260
; TotalNumSgprs: 48
; NumVgprs: 60
; ScratchSize: 0
; MemoryBound: 0
; FloatMode: 240
; IeeeMode: 1
; LDSByteSize: 4800 bytes/workgroup (compile time only)
; SGPRBlocks: 0
; VGPRBlocks: 7
; NumSGPRsForWavesPerEU: 48
; NumVGPRsForWavesPerEU: 60
; Occupancy: 16
; WaveLimiterHint : 0
; COMPUTE_PGM_RSRC2:SCRATCH_EN: 0
; COMPUTE_PGM_RSRC2:USER_SGPR: 6
; COMPUTE_PGM_RSRC2:TRAP_HANDLER: 0
; COMPUTE_PGM_RSRC2:TGID_X_EN: 1
; COMPUTE_PGM_RSRC2:TGID_Y_EN: 0
; COMPUTE_PGM_RSRC2:TGID_Z_EN: 1
; COMPUTE_PGM_RSRC2:TIDIG_COMP_CNT: 1
	.section	.text._ZL36rocblas_hemvn_kernel_lower_block_sumILi64ElPKfPffEviT1_lS3_lT2_lT0_lPT3_i,"axG",@progbits,_ZL36rocblas_hemvn_kernel_lower_block_sumILi64ElPKfPffEviT1_lS3_lT2_lT0_lPT3_i,comdat
	.globl	_ZL36rocblas_hemvn_kernel_lower_block_sumILi64ElPKfPffEviT1_lS3_lT2_lT0_lPT3_i ; -- Begin function _ZL36rocblas_hemvn_kernel_lower_block_sumILi64ElPKfPffEviT1_lS3_lT2_lT0_lPT3_i
	.p2align	8
	.type	_ZL36rocblas_hemvn_kernel_lower_block_sumILi64ElPKfPffEviT1_lS3_lT2_lT0_lPT3_i,@function
_ZL36rocblas_hemvn_kernel_lower_block_sumILi64ElPKfPffEviT1_lS3_lT2_lT0_lPT3_i: ; @_ZL36rocblas_hemvn_kernel_lower_block_sumILi64ElPKfPffEviT1_lS3_lT2_lT0_lPT3_i
; %bb.0:
	s_load_dwordx8 s[8:15], s[4:5], 0x8
	s_waitcnt lgkmcnt(0)
	s_mul_i32 s1, s11, s7
	s_mul_hi_u32 s2, s10, s7
	s_mul_i32 s0, s10, s7
	s_add_i32 s1, s2, s1
	s_mul_i32 s2, s15, s7
	s_lshl_b64 s[0:1], s[0:1], 2
	s_mul_hi_u32 s3, s14, s7
	s_add_u32 s0, s8, s0
	s_addc_u32 s1, s9, s1
	s_add_i32 s3, s3, s2
	s_mul_i32 s2, s14, s7
	s_mov_b32 s14, 0
	s_lshl_b64 s[2:3], s[2:3], 2
	s_add_u32 s2, s12, s2
	s_addc_u32 s3, s13, s3
	s_load_dword s10, s[0:1], 0x0
	s_load_dword s11, s[2:3], 0x0
	s_waitcnt lgkmcnt(0)
	v_cmp_eq_f32_e64 s0, s10, 0
	v_cmp_eq_f32_e64 s1, s11, 1.0
	s_and_b32 s0, s0, s1
	s_and_b32 vcc_lo, exec_lo, s0
	s_cbranch_vccnz .LBB82_19
; %bb.1:
	s_clause 0x3
	s_load_dwordx2 s[12:13], s[4:5], 0x40
	s_load_dwordx2 s[16:17], s[4:5], 0x28
	s_load_dwordx4 s[0:3], s[4:5], 0x30
	s_load_dword s8, s[4:5], 0x0
	v_lshl_or_b32 v0, s6, 6, v0
	s_waitcnt lgkmcnt(0)
	s_mul_i32 s9, s13, s7
	s_mul_hi_u32 s13, s12, s7
	s_mul_i32 s12, s12, s7
	s_add_i32 s13, s13, s9
	v_cmp_neq_f32_e64 s9, s10, 0
	s_lshl_b64 s[12:13], s[12:13], 2
	s_add_u32 s12, s16, s12
	s_addc_u32 s13, s17, s13
	s_lshl_b64 s[0:1], s[0:1], 2
	s_add_u32 s12, s12, s0
	v_cmp_gt_i32_e64 s0, s8, v0
	s_addc_u32 s13, s13, s1
	s_and_b32 vcc_lo, exec_lo, s9
	s_cbranch_vccnz .LBB82_6
; %bb.2:
	s_mov_b32 s1, 0
                                        ; implicit-def: $vgpr3
                                        ; implicit-def: $vgpr1_vgpr2
	s_and_saveexec_b32 s9, s0
	s_cbranch_execz .LBB82_7
; %bb.3:
	v_ashrrev_i32_e32 v3, 31, v0
	v_mul_lo_u32 v4, s3, v0
	v_mad_u64_u32 v[1:2], null, s2, v0, 0
	v_cmp_eq_f32_e64 s0, s11, 0
	v_mul_lo_u32 v5, s2, v3
	v_mov_b32_e32 v3, 0
	s_and_b32 vcc_lo, exec_lo, s0
	v_add3_u32 v2, v2, v5, v4
	s_cbranch_vccnz .LBB82_5
; %bb.4:
	v_lshlrev_b64 v[3:4], 2, v[1:2]
	v_add_co_u32 v3, vcc_lo, s12, v3
	v_add_co_ci_u32_e64 v4, null, s13, v4, vcc_lo
	global_load_dword v3, v[3:4], off
	s_waitcnt vmcnt(0)
	v_mul_f32_e32 v3, s11, v3
.LBB82_5:
	s_mov_b32 s14, exec_lo
	s_or_b32 exec_lo, exec_lo, s9
	s_and_b32 vcc_lo, exec_lo, s1
	s_cbranch_vccnz .LBB82_8
	s_branch .LBB82_17
.LBB82_6:
                                        ; implicit-def: $vgpr3
                                        ; implicit-def: $vgpr1_vgpr2
	s_cbranch_execnz .LBB82_8
	s_branch .LBB82_17
.LBB82_7:
	s_or_b32 exec_lo, exec_lo, s9
	s_and_b32 vcc_lo, exec_lo, s1
	s_cbranch_vccz .LBB82_17
.LBB82_8:
	s_mov_b32 s15, exec_lo
                                        ; implicit-def: $vgpr3
                                        ; implicit-def: $vgpr1_vgpr2
	v_cmpx_gt_i32_e64 s8, v0
	s_cbranch_execz .LBB82_16
; %bb.9:
	s_load_dword s16, s[4:5], 0x58
	v_mov_b32_e32 v4, 0
	s_waitcnt lgkmcnt(0)
	s_cmp_ge_i32 s6, s16
	s_cbranch_scc1 .LBB82_12
; %bb.10:
	s_load_dwordx2 s[0:1], s[4:5], 0x48
	v_mad_u64_u32 v[1:2], null, s8, s6, v[0:1]
	s_ashr_i32 s9, s8, 31
	s_mul_hi_u32 s4, s8, s7
	s_mul_i32 s5, s9, s7
	s_mul_i32 s7, s8, s7
	s_add_i32 s4, s4, s5
	s_mul_hi_u32 s5, s7, s16
	v_ashrrev_i32_e32 v2, 31, v1
	s_mul_i32 s17, s4, s16
	s_mul_i32 s4, s7, s16
	s_add_i32 s5, s5, s17
	v_mov_b32_e32 v4, 0
	v_lshlrev_b64 v[1:2], 2, v[1:2]
	s_lshl_b64 s[4:5], s[4:5], 2
	s_waitcnt lgkmcnt(0)
	s_add_u32 s0, s0, s4
	s_addc_u32 s1, s1, s5
	v_add_co_u32 v1, vcc_lo, s0, v1
	v_add_co_ci_u32_e64 v2, null, s1, v2, vcc_lo
	s_lshl_b64 s[0:1], s[8:9], 2
.LBB82_11:                              ; =>This Inner Loop Header: Depth=1
	global_load_dword v3, v[1:2], off
	v_add_co_u32 v1, vcc_lo, v1, s0
	v_add_co_ci_u32_e64 v2, null, s1, v2, vcc_lo
	s_add_i32 s6, s6, 1
	s_cmp_ge_i32 s6, s16
	s_waitcnt vmcnt(0)
	v_add_f32_e32 v4, v4, v3
	s_cbranch_scc0 .LBB82_11
.LBB82_12:
	v_ashrrev_i32_e32 v1, 31, v0
	v_mul_lo_u32 v5, s3, v0
	v_cmp_eq_f32_e64 s0, s11, 0
	v_mul_lo_u32 v6, s2, v1
	s_and_b32 vcc_lo, exec_lo, s0
	s_mov_b32 s0, 0
	s_cbranch_vccz .LBB82_20
; %bb.13:
	v_mad_u64_u32 v[1:2], null, s2, v0, 0
	v_mul_f32_e32 v3, s10, v4
	v_add3_u32 v2, v2, v6, v5
	s_andn2_b32 vcc_lo, exec_lo, s0
	s_cbranch_vccnz .LBB82_15
.LBB82_14:
	v_mad_u64_u32 v[1:2], null, s2, v0, 0
	v_add3_u32 v2, v2, v6, v5
	v_lshlrev_b64 v[5:6], 2, v[1:2]
	v_add_co_u32 v5, vcc_lo, s12, v5
	v_add_co_ci_u32_e64 v6, null, s13, v6, vcc_lo
	global_load_dword v0, v[5:6], off
	s_waitcnt vmcnt(0)
	v_mul_f32_e32 v3, s11, v0
	v_fmac_f32_e32 v3, s10, v4
.LBB82_15:
	s_or_b32 s14, s14, exec_lo
.LBB82_16:
	s_or_b32 exec_lo, exec_lo, s15
.LBB82_17:
	s_and_saveexec_b32 s0, s14
	s_cbranch_execz .LBB82_19
; %bb.18:
	v_lshlrev_b64 v[0:1], 2, v[1:2]
	v_add_co_u32 v0, vcc_lo, s12, v0
	v_add_co_ci_u32_e64 v1, null, s13, v1, vcc_lo
	global_store_dword v[0:1], v3, off
.LBB82_19:
	s_endpgm
.LBB82_20:
                                        ; implicit-def: $vgpr3
                                        ; implicit-def: $vgpr1_vgpr2
	s_branch .LBB82_14
	.section	.rodata,"a",@progbits
	.p2align	6, 0x0
	.amdhsa_kernel _ZL36rocblas_hemvn_kernel_lower_block_sumILi64ElPKfPffEviT1_lS3_lT2_lT0_lPT3_i
		.amdhsa_group_segment_fixed_size 0
		.amdhsa_private_segment_fixed_size 0
		.amdhsa_kernarg_size 344
		.amdhsa_user_sgpr_count 6
		.amdhsa_user_sgpr_private_segment_buffer 1
		.amdhsa_user_sgpr_dispatch_ptr 0
		.amdhsa_user_sgpr_queue_ptr 0
		.amdhsa_user_sgpr_kernarg_segment_ptr 1
		.amdhsa_user_sgpr_dispatch_id 0
		.amdhsa_user_sgpr_flat_scratch_init 0
		.amdhsa_user_sgpr_private_segment_size 0
		.amdhsa_wavefront_size32 1
		.amdhsa_uses_dynamic_stack 0
		.amdhsa_system_sgpr_private_segment_wavefront_offset 0
		.amdhsa_system_sgpr_workgroup_id_x 1
		.amdhsa_system_sgpr_workgroup_id_y 0
		.amdhsa_system_sgpr_workgroup_id_z 1
		.amdhsa_system_sgpr_workgroup_info 0
		.amdhsa_system_vgpr_workitem_id 0
		.amdhsa_next_free_vgpr 7
		.amdhsa_next_free_sgpr 18
		.amdhsa_reserve_vcc 1
		.amdhsa_reserve_flat_scratch 0
		.amdhsa_float_round_mode_32 0
		.amdhsa_float_round_mode_16_64 0
		.amdhsa_float_denorm_mode_32 3
		.amdhsa_float_denorm_mode_16_64 3
		.amdhsa_dx10_clamp 1
		.amdhsa_ieee_mode 1
		.amdhsa_fp16_overflow 0
		.amdhsa_workgroup_processor_mode 1
		.amdhsa_memory_ordered 1
		.amdhsa_forward_progress 1
		.amdhsa_shared_vgpr_count 0
		.amdhsa_exception_fp_ieee_invalid_op 0
		.amdhsa_exception_fp_denorm_src 0
		.amdhsa_exception_fp_ieee_div_zero 0
		.amdhsa_exception_fp_ieee_overflow 0
		.amdhsa_exception_fp_ieee_underflow 0
		.amdhsa_exception_fp_ieee_inexact 0
		.amdhsa_exception_int_div_zero 0
	.end_amdhsa_kernel
	.section	.text._ZL36rocblas_hemvn_kernel_lower_block_sumILi64ElPKfPffEviT1_lS3_lT2_lT0_lPT3_i,"axG",@progbits,_ZL36rocblas_hemvn_kernel_lower_block_sumILi64ElPKfPffEviT1_lS3_lT2_lT0_lPT3_i,comdat
.Lfunc_end82:
	.size	_ZL36rocblas_hemvn_kernel_lower_block_sumILi64ElPKfPffEviT1_lS3_lT2_lT0_lPT3_i, .Lfunc_end82-_ZL36rocblas_hemvn_kernel_lower_block_sumILi64ElPKfPffEviT1_lS3_lT2_lT0_lPT3_i
                                        ; -- End function
	.set _ZL36rocblas_hemvn_kernel_lower_block_sumILi64ElPKfPffEviT1_lS3_lT2_lT0_lPT3_i.num_vgpr, 7
	.set _ZL36rocblas_hemvn_kernel_lower_block_sumILi64ElPKfPffEviT1_lS3_lT2_lT0_lPT3_i.num_agpr, 0
	.set _ZL36rocblas_hemvn_kernel_lower_block_sumILi64ElPKfPffEviT1_lS3_lT2_lT0_lPT3_i.numbered_sgpr, 18
	.set _ZL36rocblas_hemvn_kernel_lower_block_sumILi64ElPKfPffEviT1_lS3_lT2_lT0_lPT3_i.num_named_barrier, 0
	.set _ZL36rocblas_hemvn_kernel_lower_block_sumILi64ElPKfPffEviT1_lS3_lT2_lT0_lPT3_i.private_seg_size, 0
	.set _ZL36rocblas_hemvn_kernel_lower_block_sumILi64ElPKfPffEviT1_lS3_lT2_lT0_lPT3_i.uses_vcc, 1
	.set _ZL36rocblas_hemvn_kernel_lower_block_sumILi64ElPKfPffEviT1_lS3_lT2_lT0_lPT3_i.uses_flat_scratch, 0
	.set _ZL36rocblas_hemvn_kernel_lower_block_sumILi64ElPKfPffEviT1_lS3_lT2_lT0_lPT3_i.has_dyn_sized_stack, 0
	.set _ZL36rocblas_hemvn_kernel_lower_block_sumILi64ElPKfPffEviT1_lS3_lT2_lT0_lPT3_i.has_recursion, 0
	.set _ZL36rocblas_hemvn_kernel_lower_block_sumILi64ElPKfPffEviT1_lS3_lT2_lT0_lPT3_i.has_indirect_call, 0
	.section	.AMDGPU.csdata,"",@progbits
; Kernel info:
; codeLenInByte = 752
; TotalNumSgprs: 20
; NumVgprs: 7
; ScratchSize: 0
; MemoryBound: 0
; FloatMode: 240
; IeeeMode: 1
; LDSByteSize: 0 bytes/workgroup (compile time only)
; SGPRBlocks: 0
; VGPRBlocks: 0
; NumSGPRsForWavesPerEU: 20
; NumVGPRsForWavesPerEU: 7
; Occupancy: 16
; WaveLimiterHint : 0
; COMPUTE_PGM_RSRC2:SCRATCH_EN: 0
; COMPUTE_PGM_RSRC2:USER_SGPR: 6
; COMPUTE_PGM_RSRC2:TRAP_HANDLER: 0
; COMPUTE_PGM_RSRC2:TGID_X_EN: 1
; COMPUTE_PGM_RSRC2:TGID_Y_EN: 0
; COMPUTE_PGM_RSRC2:TGID_Z_EN: 1
; COMPUTE_PGM_RSRC2:TIDIG_COMP_CNT: 0
	.section	.text._ZL26rocblas_hemvn_kernel_lowerILb0ELi64ELi4ELi33ELi32ELi16EiPKfS1_PfEviT6_lT7_lT5_lS4_lS5_lS3_lT8_i,"axG",@progbits,_ZL26rocblas_hemvn_kernel_lowerILb0ELi64ELi4ELi33ELi32ELi16EiPKfS1_PfEviT6_lT7_lT5_lS4_lS5_lS3_lT8_i,comdat
	.globl	_ZL26rocblas_hemvn_kernel_lowerILb0ELi64ELi4ELi33ELi32ELi16EiPKfS1_PfEviT6_lT7_lT5_lS4_lS5_lS3_lT8_i ; -- Begin function _ZL26rocblas_hemvn_kernel_lowerILb0ELi64ELi4ELi33ELi32ELi16EiPKfS1_PfEviT6_lT7_lT5_lS4_lS5_lS3_lT8_i
	.p2align	8
	.type	_ZL26rocblas_hemvn_kernel_lowerILb0ELi64ELi4ELi33ELi32ELi16EiPKfS1_PfEviT6_lT7_lT5_lS4_lS5_lS3_lT8_i,@function
_ZL26rocblas_hemvn_kernel_lowerILb0ELi64ELi4ELi33ELi32ELi16EiPKfS1_PfEviT6_lT7_lT5_lS4_lS5_lS3_lT8_i: ; @_ZL26rocblas_hemvn_kernel_lowerILb0ELi64ELi4ELi33ELi32ELi16EiPKfS1_PfEviT6_lT7_lT5_lS4_lS5_lS3_lT8_i
; %bb.0:
	s_load_dwordx2 s[2:3], s[4:5], 0x84
	s_add_u32 s0, s4, 0x78
	s_addc_u32 s1, s5, 0
	s_waitcnt lgkmcnt(0)
	s_lshr_b32 s8, s2, 16
	s_and_b32 s2, s2, 0xffff
	s_and_b32 s3, s3, 0xffff
	s_mul_i32 s2, s8, s2
	s_mul_i32 s2, s2, s3
	s_cmpk_lg_i32 s2, 0x100
	s_cbranch_scc1 .LBB83_78
; %bb.1:
	s_clause 0x1
	s_load_dwordx8 s[16:23], s[4:5], 0x8
	s_load_dwordx8 s[8:15], s[4:5], 0x50
	s_waitcnt lgkmcnt(0)
	s_mul_i32 s3, s19, s7
	s_mul_hi_u32 s19, s18, s7
	s_mul_i32 s2, s18, s7
	s_add_i32 s3, s19, s3
	s_mul_i32 s13, s13, s7
	s_lshl_b64 s[2:3], s[2:3], 2
	s_mul_hi_u32 s18, s12, s7
	s_add_u32 s2, s16, s2
	s_addc_u32 s3, s17, s3
	s_add_i32 s13, s18, s13
	s_mul_i32 s12, s12, s7
	s_lshl_b64 s[12:13], s[12:13], 2
	s_add_u32 s10, s10, s12
	s_addc_u32 s11, s11, s13
	s_load_dword s2, s[2:3], 0x0
	s_load_dword s3, s[10:11], 0x0
	s_waitcnt lgkmcnt(0)
	v_cmp_eq_f32_e64 s2, s2, 0
	v_cmp_eq_f32_e64 s3, s3, 1.0
	s_and_b32 s3, s2, s3
	s_and_b32 vcc_lo, exec_lo, s3
	s_cbranch_vccnz .LBB83_78
; %bb.2:
	s_and_b32 vcc_lo, exec_lo, s2
	s_cbranch_vccnz .LBB83_78
; %bb.3:
	s_clause 0x2
	s_load_dwordx4 s[16:19], s[4:5], 0x30
	s_load_dwordx2 s[2:3], s[4:5], 0x40
	s_load_dword s24, s[4:5], 0x48
	s_mul_i32 s9, s9, s7
	s_mul_hi_u32 s10, s8, s7
	s_mul_i32 s8, s8, s7
	s_add_i32 s9, s10, s9
	s_load_dword s25, s[4:5], 0x0
	s_lshl_b64 s[8:9], s[8:9], 2
	s_load_dword s26, s[0:1], 0x0
	v_mov_b32_e32 v2, v1
	s_waitcnt lgkmcnt(0)
	s_add_u32 s8, s18, s8
	s_addc_u32 s9, s19, s9
	s_lshl_b64 s[2:3], s[2:3], 2
	s_add_u32 s2, s8, s2
	s_addc_u32 s3, s9, s3
	s_lshl_b32 s12, s6, 6
	s_ashr_i32 s27, s25, 31
	v_add_nc_u32_e32 v19, s12, v0
	s_lshr_b32 s0, s27, 26
	s_add_i32 s8, s26, -1
	s_add_i32 s1, s25, s0
	v_cmp_ne_u32_e64 s0, 0, v2
	v_mul_lo_u32 v3, s24, v19
	s_andn2_b32 s1, s1, 63
	s_sub_i32 s9, s25, s1
	v_cmp_eq_u32_e64 s1, 0, v2
	s_cmp_eq_u32 s6, s8
	s_cselect_b32 s18, s9, 0
	v_ashrrev_i32_e32 v4, 31, v3
	v_lshlrev_b64 v[3:4], 2, v[3:4]
	v_add_co_u32 v7, vcc_lo, s2, v3
	v_add_co_ci_u32_e64 v8, null, s3, v4, vcc_lo
	s_and_saveexec_b32 s2, s1
	s_cbranch_execz .LBB83_7
; %bb.4:
	v_cmp_gt_i32_e32 vcc_lo, s18, v0
	s_cmp_eq_u32 s18, 0
	v_mov_b32_e32 v1, 0
	s_cselect_b32 s3, -1, 0
	s_or_b32 s8, s3, vcc_lo
	s_and_saveexec_b32 s3, s8
	s_cbranch_execz .LBB83_6
; %bb.5:
	global_load_dword v1, v[7:8], off
.LBB83_6:
	s_or_b32 exec_lo, exec_lo, s3
	v_lshlrev_b32_e32 v3, 2, v0
	s_waitcnt vmcnt(0)
	ds_write_b32 v3, v1 offset:4544
.LBB83_7:
	s_or_b32 exec_lo, exec_lo, s2
	s_load_dword s10, s[4:5], 0x28
	v_lshl_add_u32 v17, v2, 6, v0
	v_and_b32_e32 v1, 31, v0
	s_mul_i32 s3, s17, s7
	s_mul_hi_u32 s4, s16, s7
	s_mul_i32 s2, s16, s7
	v_lshrrev_b32_e32 v13, 5, v17
	s_add_i32 s3, s4, s3
	s_lshl_b64 s[2:3], s[2:3], 2
	s_add_u32 s4, s20, s2
	s_addc_u32 s5, s21, s3
	s_lshl_b64 s[2:3], s[22:23], 2
	s_add_u32 s4, s4, s2
	s_addc_u32 s5, s5, s3
	s_ashr_i32 s13, s12, 31
	s_lshl_b64 s[2:3], s[12:13], 2
	s_waitcnt lgkmcnt(0)
	v_mad_u64_u32 v[3:4], null, s10, v13, v[1:2]
	s_add_u32 s4, s4, s2
	s_mul_i32 s2, s10, s12
	s_addc_u32 s5, s5, s3
	s_ashr_i32 s3, s2, 31
	s_lshl_b64 s[16:17], s[2:3], 2
	v_ashrrev_i32_e32 v4, 31, v3
	s_cmp_lg_u32 s18, 0
	s_mov_b32 s2, -1
	s_cselect_b32 s13, -1, 0
	s_cmp_eq_u32 s18, 0
	v_lshlrev_b64 v[9:10], 2, v[3:4]
	s_cselect_b32 s9, -1, 0
	v_add_co_u32 v3, vcc_lo, s4, v9
	v_add_co_ci_u32_e64 v4, null, s5, v10, vcc_lo
	v_add_co_u32 v3, vcc_lo, v3, s16
	v_add_co_ci_u32_e64 v4, null, s17, v4, vcc_lo
	s_and_b32 vcc_lo, exec_lo, s13
	s_cbranch_vccnz .LBB83_9
; %bb.8:
	s_lshl_b32 s2, s10, 3
	s_ashr_i32 s11, s10, 31
	s_ashr_i32 s3, s2, 31
	s_lshl_b64 s[2:3], s[2:3], 2
	v_add_co_u32 v5, vcc_lo, v3, s2
	v_add_co_ci_u32_e64 v6, null, s3, v4, vcc_lo
	s_lshl_b64 s[2:3], s[10:11], 5
	v_add_co_u32 v11, vcc_lo, v5, s2
	v_add_co_ci_u32_e64 v12, null, s3, v6, vcc_lo
	v_add_co_u32 v14, vcc_lo, v11, s2
	v_add_co_ci_u32_e64 v15, null, s3, v12, vcc_lo
	s_clause 0x3
	global_load_dword v16, v[3:4], off
	global_load_dword v5, v[5:6], off
	;; [unrolled: 1-line block ×4, first 2 shown]
	v_mul_u32_u24_e32 v12, 0x84, v13
	s_mov_b32 s2, 0
	v_lshl_add_u32 v12, v1, 2, v12
	s_waitcnt vmcnt(3)
	ds_write_b32 v12, v16
	s_waitcnt vmcnt(2)
	ds_write_b32 v12, v5 offset:1056
	s_waitcnt vmcnt(1)
	ds_write_b32 v12, v6 offset:2112
	;; [unrolled: 2-line block ×3, first 2 shown]
.LBB83_9:
	v_lshlrev_b32_e32 v14, 2, v1
	s_andn2_b32 vcc_lo, exec_lo, s2
	s_cbranch_vccnz .LBB83_19
; %bb.10:
	v_sub_co_u32 v5, vcc_lo, v3, v14
	s_ashr_i32 s19, s18, 31
	v_subrev_co_ci_u32_e64 v6, null, 0, v4, vcc_lo
	s_lshl_b64 s[4:5], s[18:19], 2
	v_mov_b32_e32 v15, 0
	v_add_co_u32 v5, vcc_lo, v5, s4
	v_add_co_ci_u32_e64 v6, null, s5, v6, vcc_lo
	v_mov_b32_e32 v12, 0
	v_add_co_u32 v5, vcc_lo, v5, -4
	v_add_co_ci_u32_e64 v6, null, -1, v6, vcc_lo
	v_cmp_gt_i32_e32 vcc_lo, s18, v1
	s_mov_b32 s3, exec_lo
	v_cndmask_b32_e32 v6, v6, v4, vcc_lo
	v_cndmask_b32_e32 v5, v5, v3, vcc_lo
	v_cmpx_gt_i32_e64 s18, v13
	s_cbranch_execz .LBB83_12
; %bb.11:
	global_load_dword v12, v[5:6], off
.LBB83_12:
	s_or_b32 exec_lo, exec_lo, s3
	v_add_nc_u32_e32 v16, 8, v13
	v_mul_u32_u24_e32 v11, 0x84, v13
	v_mad_u32_u24 v18, 0x84, v13, v14
	s_mov_b32 s3, exec_lo
	s_waitcnt vmcnt(0)
	ds_write_b32 v18, v12
	v_cmpx_gt_i32_e64 s18, v16
	s_cbranch_execz .LBB83_14
; %bb.13:
	s_lshl_b32 s20, s10, 3
	s_ashr_i32 s21, s20, 31
	s_lshl_b64 s[20:21], s[20:21], 2
	v_add_co_u32 v15, s2, v5, s20
	v_add_co_ci_u32_e64 v16, null, s21, v6, s2
	global_load_dword v15, v[15:16], off
.LBB83_14:
	s_or_b32 exec_lo, exec_lo, s3
	v_add_nc_u32_e32 v16, 16, v13
	v_add_nc_u32_e32 v11, v11, v14
	v_mov_b32_e32 v12, 0
	v_cmp_gt_i32_e64 s2, s18, v16
	v_mov_b32_e32 v16, 0
	s_waitcnt vmcnt(0)
	ds_write_b32 v11, v15 offset:1056
	s_and_saveexec_b32 s3, s2
	s_cbranch_execz .LBB83_16
; %bb.15:
	s_lshl_b32 s20, s10, 4
	s_ashr_i32 s21, s20, 31
	s_lshl_b64 s[20:21], s[20:21], 2
	v_add_co_u32 v15, s2, v5, s20
	v_add_co_ci_u32_e64 v16, null, s21, v6, s2
	global_load_dword v16, v[15:16], off
.LBB83_16:
	s_or_b32 exec_lo, exec_lo, s3
	v_add_nc_u32_e32 v15, 24, v13
	s_mov_b32 s3, exec_lo
	s_waitcnt vmcnt(0)
	ds_write_b32 v11, v16 offset:2112
	v_cmpx_gt_i32_e64 s18, v15
	s_cbranch_execz .LBB83_18
; %bb.17:
	s_mul_i32 s20, s10, 24
	s_ashr_i32 s21, s20, 31
	s_lshl_b64 s[20:21], s[20:21], 2
	v_add_co_u32 v15, s2, v5, s20
	v_add_co_ci_u32_e64 v16, null, s21, v6, s2
	global_load_dword v12, v[15:16], off
.LBB83_18:
	s_or_b32 exec_lo, exec_lo, s3
	v_add_co_u32 v5, s2, v5, v14
	v_add_co_ci_u32_e64 v6, null, 0, v6, s2
	s_waitcnt vmcnt(0)
	ds_write_b32 v11, v12 offset:3168
	v_sub_co_u32 v5, s2, v5, s4
	v_subrev_co_ci_u32_e64 v6, null, s5, v6, s2
	v_add_co_u32 v5, s2, v5, 4
	v_add_co_ci_u32_e64 v6, null, 0, v6, s2
	v_cndmask_b32_e32 v3, v5, v3, vcc_lo
	v_cndmask_b32_e32 v4, v6, v4, vcc_lo
.LBB83_19:
	v_lshlrev_b32_e32 v5, 2, v13
	v_lshl_or_b32 v6, v1, 7, v14
	v_mad_u32_u24 v12, 0x210, v13, v14
	s_waitcnt lgkmcnt(0)
	s_barrier
	v_cmp_lt_u32_e64 s3, v5, v1
	buffer_gl0_inv
	s_and_saveexec_b32 s2, s3
	s_cbranch_execz .LBB83_21
; %bb.20:
	ds_read_b32 v11, v12
	v_lshl_add_u32 v15, v5, 2, v6
	s_waitcnt lgkmcnt(0)
	ds_write_b32 v15, v11
.LBB83_21:
	s_or_b32 exec_lo, exec_lo, s2
	v_or_b32_e32 v11, 1, v5
	v_cmp_lt_u32_e64 s4, v11, v1
	v_mad_u32_u24 v15, 0x84, v11, v14
	s_and_saveexec_b32 s2, s4
	s_cbranch_execz .LBB83_23
; %bb.22:
	ds_read_b32 v16, v15
	v_lshl_add_u32 v18, v5, 2, v6
	s_waitcnt lgkmcnt(0)
	ds_write_b32 v18, v16 offset:4
.LBB83_23:
	s_or_b32 exec_lo, exec_lo, s2
	v_or_b32_e32 v16, 2, v5
	v_cmp_lt_u32_e64 s5, v16, v1
	s_and_saveexec_b32 s2, s5
	s_cbranch_execz .LBB83_25
; %bb.24:
	v_mad_u32_u24 v16, 0x84, v16, v14
	v_lshl_add_u32 v18, v5, 2, v6
	ds_read_b32 v16, v16
	s_waitcnt lgkmcnt(0)
	ds_write_b32 v18, v16 offset:8
.LBB83_25:
	s_or_b32 exec_lo, exec_lo, s2
	v_or_b32_e32 v18, 3, v5
	s_mov_b32 s2, exec_lo
                                        ; implicit-def: $vgpr16
	v_cmp_lt_u32_e64 s8, v18, v1
	v_cmpx_ge_u32_e64 v18, v1
	s_xor_b32 s2, exec_lo, s2
; %bb.26:
	v_mul_u32_u24_e32 v16, 0x84, v18
                                        ; implicit-def: $vgpr6
                                        ; implicit-def: $vgpr18
; %bb.27:
	s_andn2_saveexec_b32 s2, s2
	s_cbranch_execz .LBB83_29
; %bb.28:
	v_mad_u32_u24 v16, 0x84, v18, v14
	v_lshl_add_u32 v6, v5, 2, v6
	ds_read_b32 v20, v16
	v_mul_u32_u24_e32 v16, 0x84, v18
	s_waitcnt lgkmcnt(0)
	ds_write_b32 v6, v20 offset:12
.LBB83_29:
	s_or_b32 exec_lo, exec_lo, s2
	v_lshlrev_b32_e32 v6, 2, v5
	s_waitcnt lgkmcnt(0)
	s_barrier
	buffer_gl0_inv
	ds_read_b32 v18, v12
	ds_read_b128 v[20:23], v6 offset:4544
	ds_read2_b32 v[24:25], v15 offset1:33
	v_add_nc_u32_e32 v12, v14, v16
	v_cmp_gt_u32_e64 s2, 32, v17
	ds_read_b32 v15, v12
	s_waitcnt lgkmcnt(0)
	s_barrier
	buffer_gl0_inv
	v_fma_f32 v16, v18, v20, 0
	v_mul_u32_u24_e32 v18, 33, v1
	v_fmac_f32_e32 v16, v24, v21
	v_lshlrev_b32_e32 v18, 2, v18
	v_fmac_f32_e32 v16, v25, v22
	v_mov_b32_e32 v22, 0
	v_lshl_add_u32 v20, v13, 2, v18
	v_fmac_f32_e32 v16, v15, v23
	ds_write_b32 v20, v16
	s_waitcnt lgkmcnt(0)
	s_barrier
	buffer_gl0_inv
	s_and_saveexec_b32 s11, s2
	s_cbranch_execz .LBB83_31
; %bb.30:
	ds_read2_b32 v[15:16], v18 offset1:1
	ds_read2_b32 v[21:22], v18 offset0:2 offset1:3
	ds_read2_b32 v[23:24], v18 offset0:4 offset1:5
	;; [unrolled: 1-line block ×3, first 2 shown]
	s_waitcnt lgkmcnt(3)
	v_add_f32_e32 v15, v15, v16
	s_waitcnt lgkmcnt(2)
	v_add_f32_e32 v15, v15, v21
	v_add_f32_e32 v15, v15, v22
	s_waitcnt lgkmcnt(1)
	v_add_f32_e32 v15, v15, v23
	;; [unrolled: 3-line block ×3, first 2 shown]
	v_add_f32_e32 v22, v15, v26
.LBB83_31:
	s_or_b32 exec_lo, exec_lo, s11
	s_lshl_b32 s20, s10, 5
	v_cndmask_b32_e64 v15, 0, 1, s9
	s_ashr_i32 s21, s20, 31
	s_lshl_b64 s[20:21], s[20:21], 2
	s_barrier
	v_add_co_u32 v3, vcc_lo, v3, s20
	v_add_co_ci_u32_e64 v4, null, s21, v4, vcc_lo
	buffer_gl0_inv
	v_add_co_u32 v16, vcc_lo, 0x80, v3
	v_add_co_ci_u32_e64 v21, null, 0, v4, vcc_lo
	s_andn2_b32 vcc_lo, exec_lo, s9
	s_mov_b32 s9, -1
	s_cbranch_vccnz .LBB83_33
; %bb.32:
	s_lshl_b32 s22, s10, 3
	s_ashr_i32 s11, s10, 31
	s_ashr_i32 s23, s22, 31
	s_mov_b32 s9, 0
	s_lshl_b64 s[22:23], s[22:23], 2
	v_add_co_u32 v23, vcc_lo, v3, s22
	v_add_co_ci_u32_e64 v24, null, s23, v4, vcc_lo
	s_lshl_b64 s[22:23], s[10:11], 5
	v_add_co_u32 v25, vcc_lo, v23, s22
	v_add_co_ci_u32_e64 v26, null, s23, v24, vcc_lo
	v_add_co_u32 v27, vcc_lo, v25, s22
	v_add_co_ci_u32_e64 v28, null, s23, v26, vcc_lo
	s_clause 0x3
	global_load_dword v29, v[3:4], off offset:128
	global_load_dword v23, v[23:24], off offset:128
	;; [unrolled: 1-line block ×4, first 2 shown]
	v_mad_u32_u24 v26, 0x84, v13, v14
	s_waitcnt vmcnt(3)
	ds_write_b32 v26, v29
	s_waitcnt vmcnt(2)
	ds_write_b32 v26, v23 offset:1056
	s_waitcnt vmcnt(1)
	ds_write_b32 v26, v24 offset:2112
	;; [unrolled: 2-line block ×3, first 2 shown]
.LBB83_33:
	s_andn2_b32 vcc_lo, exec_lo, s9
	s_cbranch_vccnz .LBB83_43
; %bb.34:
	v_sub_co_u32 v3, vcc_lo, v3, v14
	s_ashr_i32 s19, s18, 31
	v_subrev_co_ci_u32_e64 v4, null, 0, v4, vcc_lo
	s_lshl_b64 s[22:23], s[18:19], 2
	v_or_b32_e32 v23, 32, v1
	v_add_co_u32 v3, vcc_lo, v3, s22
	v_add_co_ci_u32_e64 v4, null, s23, v4, vcc_lo
	v_mov_b32_e32 v24, 0
	v_add_co_u32 v3, vcc_lo, v3, -4
	v_add_co_ci_u32_e64 v4, null, -1, v4, vcc_lo
	v_cmp_gt_i32_e32 vcc_lo, s18, v23
	v_mov_b32_e32 v25, 0
	s_sub_i32 s11, s18, 32
	s_mov_b32 s19, exec_lo
	v_cndmask_b32_e32 v4, v4, v21, vcc_lo
	v_cndmask_b32_e32 v3, v3, v16, vcc_lo
	v_cmpx_gt_i32_e64 s11, v13
	s_cbranch_execz .LBB83_36
; %bb.35:
	global_load_dword v25, v[3:4], off
.LBB83_36:
	s_or_b32 exec_lo, exec_lo, s19
	v_add_nc_u32_e32 v26, 8, v13
	v_mul_u32_u24_e32 v23, 0x84, v13
	v_mad_u32_u24 v27, 0x84, v13, v14
	s_mov_b32 s19, exec_lo
	s_waitcnt vmcnt(0)
	ds_write_b32 v27, v25
	v_cmpx_gt_i32_e64 s11, v26
	s_cbranch_execz .LBB83_38
; %bb.37:
	s_lshl_b32 s28, s10, 3
	s_ashr_i32 s29, s28, 31
	s_lshl_b64 s[28:29], s[28:29], 2
	v_add_co_u32 v24, s9, v3, s28
	v_add_co_ci_u32_e64 v25, null, s29, v4, s9
	global_load_dword v24, v[24:25], off
.LBB83_38:
	s_or_b32 exec_lo, exec_lo, s19
	v_add_nc_u32_e32 v26, 16, v13
	v_add_nc_u32_e32 v23, v23, v14
	v_mov_b32_e32 v25, 0
	v_cmp_gt_i32_e64 s9, s11, v26
	v_mov_b32_e32 v26, 0
	s_waitcnt vmcnt(0)
	ds_write_b32 v23, v24 offset:1056
	s_and_saveexec_b32 s19, s9
	s_cbranch_execz .LBB83_40
; %bb.39:
	s_lshl_b32 s28, s10, 4
	s_ashr_i32 s29, s28, 31
	s_lshl_b64 s[28:29], s[28:29], 2
	v_add_co_u32 v26, s9, v3, s28
	v_add_co_ci_u32_e64 v27, null, s29, v4, s9
	global_load_dword v26, v[26:27], off
.LBB83_40:
	s_or_b32 exec_lo, exec_lo, s19
	v_add_nc_u32_e32 v24, 24, v13
	s_waitcnt vmcnt(0)
	ds_write_b32 v23, v26 offset:2112
	v_cmp_gt_i32_e64 s9, s11, v24
	s_and_saveexec_b32 s11, s9
	s_cbranch_execz .LBB83_42
; %bb.41:
	s_mul_i32 s28, s10, 24
	s_ashr_i32 s29, s28, 31
	s_lshl_b64 s[28:29], s[28:29], 2
	v_add_co_u32 v24, s9, v3, s28
	v_add_co_ci_u32_e64 v25, null, s29, v4, s9
	global_load_dword v25, v[24:25], off
.LBB83_42:
	s_or_b32 exec_lo, exec_lo, s11
	v_add_co_u32 v3, s9, v3, v14
	v_add_co_ci_u32_e64 v4, null, 0, v4, s9
	s_waitcnt vmcnt(0)
	ds_write_b32 v23, v25 offset:3168
	v_sub_co_u32 v3, s9, v3, s22
	v_subrev_co_ci_u32_e64 v4, null, s23, v4, s9
	v_add_co_u32 v3, s9, 0x84, v3
	v_add_co_ci_u32_e64 v4, null, 0, v4, s9
	v_cndmask_b32_e32 v16, v3, v16, vcc_lo
	v_cndmask_b32_e32 v21, v4, v21, vcc_lo
.LBB83_43:
	v_mul_u32_u24_e32 v3, 0x210, v13
	v_add_nc_u32_e32 v6, 0x11c0, v6
	v_mul_u32_u24_e32 v4, 0x84, v11
	s_waitcnt lgkmcnt(0)
	s_barrier
	v_add_nc_u32_e32 v3, v14, v3
	buffer_gl0_inv
	s_and_saveexec_b32 s9, s3
	s_cbranch_execnz .LBB83_52
; %bb.44:
	s_or_b32 exec_lo, exec_lo, s9
	v_add_nc_u32_e32 v4, v14, v4
	s_and_saveexec_b32 s3, s4
	s_cbranch_execnz .LBB83_53
.LBB83_45:
	s_or_b32 exec_lo, exec_lo, s3
	s_and_saveexec_b32 s3, s5
	s_cbranch_execnz .LBB83_54
.LBB83_46:
	s_or_b32 exec_lo, exec_lo, s3
	s_and_saveexec_b32 s3, s8
	s_cbranch_execz .LBB83_48
.LBB83_47:
	ds_read_b32 v11, v12
	v_lshl_add_u32 v23, v5, 2, v18
	s_waitcnt lgkmcnt(0)
	ds_write_b32 v23, v11 offset:12
.LBB83_48:
	s_or_b32 exec_lo, exec_lo, s3
	s_waitcnt lgkmcnt(0)
	s_barrier
	buffer_gl0_inv
	ds_read_b32 v11, v3
	ds_read_b128 v[23:26], v6 offset:128
	ds_read2_b32 v[3:4], v4 offset1:33
	ds_read_b32 v12, v12
	v_cmp_eq_u32_e64 s3, 1, v13
	s_waitcnt lgkmcnt(0)
	s_barrier
	buffer_gl0_inv
	v_fma_f32 v11, v11, v23, 0
	v_fmac_f32_e32 v11, v3, v24
	v_fmac_f32_e32 v11, v4, v25
	;; [unrolled: 1-line block ×3, first 2 shown]
	ds_write_b32 v20, v11
	s_waitcnt lgkmcnt(0)
	s_barrier
	buffer_gl0_inv
	s_and_saveexec_b32 s4, s3
	s_cbranch_execz .LBB83_50
; %bb.49:
	ds_read2_b32 v[3:4], v18 offset1:1
	ds_read2_b32 v[11:12], v18 offset0:2 offset1:3
	ds_read2_b32 v[22:23], v18 offset0:4 offset1:5
	;; [unrolled: 1-line block ×3, first 2 shown]
	s_waitcnt lgkmcnt(3)
	v_add_f32_e32 v3, v3, v4
	s_waitcnt lgkmcnt(2)
	v_add_f32_e32 v3, v3, v11
	v_add_f32_e32 v3, v3, v12
	s_waitcnt lgkmcnt(1)
	v_add_f32_e32 v3, v3, v22
	v_add_f32_e32 v3, v3, v23
	s_waitcnt lgkmcnt(0)
	v_add_f32_e32 v3, v3, v24
	v_add_f32_e32 v22, v3, v25
.LBB83_50:
	s_or_b32 exec_lo, exec_lo, s4
	v_cmp_ne_u32_e32 vcc_lo, 1, v15
	v_sub_co_u32 v11, s4, v16, s20
	v_subrev_co_ci_u32_e64 v12, null, s21, v21, s4
	s_barrier
	buffer_gl0_inv
	s_cbranch_vccnz .LBB83_55
; %bb.51:
	s_lshl_b32 s4, s10, 3
	s_ashr_i32 s11, s10, 31
	s_ashr_i32 s5, s4, 31
	global_load_dword v25, v[11:12], off
	s_lshl_b64 s[4:5], s[4:5], 2
	v_add_co_u32 v3, vcc_lo, v11, s4
	v_add_co_ci_u32_e64 v4, null, s5, v12, vcc_lo
	s_lshl_b64 s[4:5], s[10:11], 5
	v_add_co_u32 v15, vcc_lo, v3, s4
	v_add_co_ci_u32_e64 v16, null, s5, v4, vcc_lo
	v_add_co_u32 v23, vcc_lo, v15, s4
	v_add_co_ci_u32_e64 v24, null, s5, v16, vcc_lo
	s_clause 0x2
	global_load_dword v4, v[3:4], off
	global_load_dword v26, v[15:16], off
	;; [unrolled: 1-line block ×3, first 2 shown]
	v_mad_u32_u24 v3, 0x84, v13, v14
	s_movk_i32 s4, 0x420
	s_movk_i32 s5, 0x840
	v_mad_u32_u24 v21, 0x84, v13, s4
	s_movk_i32 s4, 0xc60
	v_mad_u32_u24 v24, 0x84, v13, s5
	v_mul_u32_u24_e32 v15, 0x84, v13
	v_add_nc_u32_e32 v16, 8, v13
	v_add_nc_u32_e32 v28, v14, v21
	;; [unrolled: 1-line block ×4, first 2 shown]
	s_waitcnt vmcnt(3)
	ds_write_b32 v3, v25
	v_mad_u32_u24 v3, 0x84, v13, s4
	v_add_nc_u32_e32 v25, 24, v13
	s_waitcnt vmcnt(2)
	ds_write_b32 v28, v4
	s_waitcnt vmcnt(1)
	ds_write_b32 v29, v26
	v_add_nc_u32_e32 v30, v14, v3
	s_waitcnt vmcnt(0)
	ds_write_b32 v30, v27
	s_cbranch_execz .LBB83_56
	s_branch .LBB83_65
.LBB83_52:
	ds_read_b32 v11, v3
	v_lshl_add_u32 v23, v5, 2, v18
	s_waitcnt lgkmcnt(0)
	ds_write_b32 v23, v11
	s_or_b32 exec_lo, exec_lo, s9
	v_add_nc_u32_e32 v4, v14, v4
	s_and_saveexec_b32 s3, s4
	s_cbranch_execz .LBB83_45
.LBB83_53:
	ds_read_b32 v11, v4
	v_lshl_add_u32 v23, v5, 2, v18
	s_waitcnt lgkmcnt(0)
	ds_write_b32 v23, v11 offset:4
	s_or_b32 exec_lo, exec_lo, s3
	s_and_saveexec_b32 s3, s5
	s_cbranch_execz .LBB83_46
.LBB83_54:
	ds_read_b32 v11, v4 offset:132
	v_lshl_add_u32 v23, v5, 2, v18
	s_waitcnt lgkmcnt(0)
	ds_write_b32 v23, v11 offset:8
	s_or_b32 exec_lo, exec_lo, s3
	s_and_saveexec_b32 s3, s8
	s_cbranch_execnz .LBB83_47
	s_branch .LBB83_48
.LBB83_55:
                                        ; implicit-def: $vgpr15
                                        ; implicit-def: $vgpr16
                                        ; implicit-def: $vgpr21
                                        ; implicit-def: $vgpr23
                                        ; implicit-def: $vgpr24
                                        ; implicit-def: $vgpr25
                                        ; implicit-def: $vgpr3
.LBB83_56:
	v_sub_co_u32 v3, vcc_lo, v11, v14
	s_ashr_i32 s19, s18, 31
	v_subrev_co_ci_u32_e64 v4, null, 0, v12, vcc_lo
	s_lshl_b64 s[8:9], s[18:19], 2
	v_or_b32_e32 v1, 32, v1
	v_add_co_u32 v3, vcc_lo, v3, s8
	v_add_co_ci_u32_e64 v4, null, s9, v4, vcc_lo
	v_mov_b32_e32 v24, 0
	v_add_co_u32 v3, vcc_lo, 0xffffff7c, v3
	v_add_co_ci_u32_e64 v4, null, -1, v4, vcc_lo
	v_cmp_gt_i32_e32 vcc_lo, s18, v1
	v_mov_b32_e32 v1, 0
	s_mov_b32 s5, exec_lo
	v_cndmask_b32_e32 v4, v4, v12, vcc_lo
	v_cndmask_b32_e32 v3, v3, v11, vcc_lo
	v_cmpx_gt_i32_e64 s18, v13
	s_cbranch_execz .LBB83_58
; %bb.57:
	global_load_dword v1, v[3:4], off
.LBB83_58:
	s_or_b32 exec_lo, exec_lo, s5
	v_add_nc_u32_e32 v16, 8, v13
	v_mul_u32_u24_e32 v15, 0x84, v13
	v_mad_u32_u24 v21, 0x84, v13, v14
	s_mov_b32 s5, exec_lo
	s_waitcnt vmcnt(0)
	ds_write_b32 v21, v1
	v_cmpx_gt_i32_e64 s18, v16
	s_cbranch_execz .LBB83_60
; %bb.59:
	s_lshl_b32 s20, s10, 3
	s_ashr_i32 s21, s20, 31
	s_lshl_b64 s[20:21], s[20:21], 2
	v_add_co_u32 v23, s4, v3, s20
	v_add_co_ci_u32_e64 v24, null, s21, v4, s4
	global_load_dword v24, v[23:24], off
.LBB83_60:
	s_or_b32 exec_lo, exec_lo, s5
	v_add_nc_u32_e32 v21, 0x420, v15
	v_add_nc_u32_e32 v23, 16, v13
	v_mov_b32_e32 v1, 0
	v_mov_b32_e32 v26, 0
	s_mov_b32 s5, exec_lo
	v_add_nc_u32_e32 v25, v14, v21
	s_waitcnt vmcnt(0)
	ds_write_b32 v25, v24
	v_cmpx_gt_i32_e64 s18, v23
	s_cbranch_execz .LBB83_62
; %bb.61:
	s_lshl_b32 s20, s10, 4
	s_ashr_i32 s21, s20, 31
	s_lshl_b64 s[20:21], s[20:21], 2
	v_add_co_u32 v24, s4, v3, s20
	v_add_co_ci_u32_e64 v25, null, s21, v4, s4
	global_load_dword v26, v[24:25], off
.LBB83_62:
	s_or_b32 exec_lo, exec_lo, s5
	v_add_nc_u32_e32 v24, 0x420, v21
	v_add_nc_u32_e32 v25, 24, v13
	s_mov_b32 s5, exec_lo
	v_add_nc_u32_e32 v13, v14, v24
	s_waitcnt vmcnt(0)
	ds_write_b32 v13, v26
	v_cmpx_gt_i32_e64 s18, v25
	s_cbranch_execz .LBB83_64
; %bb.63:
	s_mul_i32 s20, s10, 24
	s_ashr_i32 s21, s20, 31
	s_lshl_b64 s[20:21], s[20:21], 2
	v_add_co_u32 v26, s4, v3, s20
	v_add_co_ci_u32_e64 v27, null, s21, v4, s4
	global_load_dword v1, v[26:27], off
.LBB83_64:
	s_or_b32 exec_lo, exec_lo, s5
	v_add_co_u32 v3, s4, v3, v14
	v_add_co_ci_u32_e64 v4, null, 0, v4, s4
	v_sub_co_u32 v13, s4, v3, s8
	v_subrev_co_ci_u32_e64 v4, null, s9, v4, s4
	v_add_nc_u32_e32 v3, 0x420, v24
	v_add_co_u32 v13, s4, 0x84, v13
	v_add_co_ci_u32_e64 v4, null, 0, v4, s4
	v_add_nc_u32_e32 v26, v14, v3
	v_cndmask_b32_e32 v11, v13, v11, vcc_lo
	v_cndmask_b32_e32 v12, v4, v12, vcc_lo
	s_waitcnt vmcnt(0)
	ds_write_b32 v26, v1
.LBB83_65:
	v_add_nc_u32_e32 v1, v14, v15
	v_add_nc_u32_e32 v4, v14, v21
	v_lshlrev_b32_e32 v13, 2, v16
	s_waitcnt lgkmcnt(0)
	s_barrier
	buffer_gl0_inv
	ds_read_b32 v1, v1
	ds_read_b32 v15, v5 offset:4544
	ds_read_b32 v21, v4
	v_lshlrev_b32_e32 v16, 2, v23
	ds_read_b32 v23, v13 offset:4544
	v_add_nc_u32_e32 v4, v14, v24
	v_add_nc_u32_e32 v3, v14, v3
	v_lshlrev_b32_e32 v13, 2, v25
	ds_read_b32 v24, v4
	ds_read_b32 v25, v16 offset:4544
	ds_read_b32 v26, v3
	ds_read_b32 v27, v13 offset:4544
	v_lshl_add_u32 v13, v5, 2, v18
	ds_read_b128 v[3:6], v6 offset:128
	s_waitcnt lgkmcnt(7)
	v_fma_f32 v1, v1, v15, 0
	ds_read2_b32 v[15:16], v13 offset1:1
	ds_read2_b32 v[13:14], v13 offset0:2 offset1:3
	s_waitcnt lgkmcnt(0)
	s_barrier
	buffer_gl0_inv
	v_fmac_f32_e32 v1, v21, v23
	v_fmac_f32_e32 v1, v24, v25
	;; [unrolled: 1-line block ×3, first 2 shown]
	ds_write_b32 v20, v1
	s_waitcnt lgkmcnt(0)
	s_barrier
	buffer_gl0_inv
	s_and_saveexec_b32 s4, s3
	s_cbranch_execz .LBB83_67
; %bb.66:
	ds_read2_b32 v[23:24], v18 offset1:1
	ds_read2_b32 v[25:26], v18 offset0:2 offset1:3
	ds_read2_b32 v[27:28], v18 offset0:4 offset1:5
	;; [unrolled: 1-line block ×3, first 2 shown]
	s_waitcnt lgkmcnt(3)
	v_add_f32_e32 v1, v22, v23
	v_add_f32_e32 v1, v1, v24
	s_waitcnt lgkmcnt(2)
	v_add_f32_e32 v1, v1, v25
	v_add_f32_e32 v1, v1, v26
	;; [unrolled: 3-line block ×4, first 2 shown]
.LBB83_67:
	s_or_b32 exec_lo, exec_lo, s4
	v_fma_f32 v1, v15, v3, 0
	s_barrier
	buffer_gl0_inv
	v_fmac_f32_e32 v1, v16, v4
	v_fmac_f32_e32 v1, v13, v5
	v_fmac_f32_e32 v1, v14, v6
	ds_write_b32 v20, v1
	s_waitcnt lgkmcnt(0)
	s_barrier
	buffer_gl0_inv
	s_and_saveexec_b32 s3, s2
	s_cbranch_execz .LBB83_69
; %bb.68:
	ds_read2_b32 v[3:4], v18 offset1:1
	ds_read2_b32 v[5:6], v18 offset0:2 offset1:3
	ds_read2_b32 v[13:14], v18 offset0:4 offset1:5
	;; [unrolled: 1-line block ×3, first 2 shown]
	s_waitcnt lgkmcnt(3)
	v_add_f32_e32 v1, v22, v3
	v_add_f32_e32 v1, v1, v4
	s_waitcnt lgkmcnt(2)
	v_add_f32_e32 v1, v1, v5
	v_add_f32_e32 v1, v1, v6
	;; [unrolled: 3-line block ×4, first 2 shown]
.LBB83_69:
	s_or_b32 exec_lo, exec_lo, s3
	s_mul_hi_u32 s2, s25, s7
	s_mul_i32 s27, s27, s7
	s_mul_i32 s3, s25, s7
	s_add_i32 s2, s2, s27
	s_mul_hi_u32 s5, s3, s26
	s_mul_i32 s4, s2, s26
	s_mul_i32 s2, s3, s26
	s_add_i32 s3, s5, s4
	s_mul_i32 s4, s25, s6
	s_lshl_b64 s[2:3], s[2:3], 2
	v_cmp_le_i32_e32 vcc_lo, s18, v0
	s_add_u32 s7, s14, s2
	s_addc_u32 s8, s15, s3
	s_ashr_i32 s5, s4, 31
	v_lshlrev_b32_e32 v23, 2, v0
	s_lshl_b64 s[2:3], s[4:5], 2
	s_add_u32 s7, s7, s2
	s_addc_u32 s20, s8, s3
	s_and_b32 vcc_lo, s13, vcc_lo
	s_cmp_lt_i32 s6, 1
	s_barrier
	buffer_gl0_inv
	s_cbranch_scc1 .LBB83_76
; %bb.70:
	v_mul_lo_u32 v1, v2, s10
	v_sub_co_u32 v6, s2, v11, s16
	v_subrev_co_ci_u32_e64 v11, null, s17, v12, s2
	s_ashr_i32 s19, s18, 31
	v_sub_co_u32 v6, s2, v6, v9
	v_lshl_add_u32 v3, v1, 2, v0
	v_sub_co_ci_u32_e64 v9, null, v11, v10, s2
	s_lshl_b64 s[8:9], s[18:19], 2
	s_mul_i32 s4, s24, s12
	v_ashrrev_i32_e32 v4, 31, v3
	s_ashr_i32 s5, s4, 31
	v_and_b32_e32 v5, 15, v0
	s_lshl_b64 s[4:5], s[4:5], 2
	v_mov_b32_e32 v1, 0
	v_lshlrev_b64 v[3:4], 2, v[3:4]
	v_add_nc_u32_e32 v26, 0x10c0, v23
	v_lshl_add_u32 v27, v2, 4, 0x10c0
	v_add_nc_u32_e32 v28, 0x11c0, v23
	v_mad_u32_u24 v29, 0x430, v2, v23
	s_ashr_i32 s11, s10, 31
	v_add_co_u32 v3, s2, v6, v3
	v_add_co_ci_u32_e64 v4, null, v9, v4, s2
	s_lshl_b32 s18, s24, 6
	v_sub_co_u32 v6, s2, v3, v23
	v_subrev_co_ci_u32_e64 v9, null, 0, v4, s2
	s_lshl_b64 s[12:13], s[10:11], 3
	v_add_co_u32 v6, s2, v6, s8
	v_add_co_ci_u32_e64 v9, null, s9, v9, s2
	v_add_co_u32 v3, s2, 0xffffff80, v3
	v_add_co_ci_u32_e64 v4, null, -1, v4, s2
	v_add_co_u32 v6, s2, 0xffffff7c, v6
	v_add_co_ci_u32_e64 v9, null, -1, v9, s2
	v_sub_co_u32 v24, s2, v7, s4
	v_cndmask_b32_e32 v20, v3, v6, vcc_lo
	v_cndmask_b32_e32 v21, v4, v9, vcc_lo
	v_lshrrev_b32_e32 v3, 2, v17
	v_and_b32_e32 v4, 48, v0
	v_subrev_co_ci_u32_e64 v25, null, s5, v8, s2
	v_mul_u32_u24_e32 v6, 0x10c, v5
	v_and_b32_e32 v3, 0x1ffc, v3
	v_lshlrev_b32_e32 v4, 2, v4
	v_and_b32_e32 v7, 0x7ff0, v17
	v_or_b32_e32 v8, 60, v23
	v_cmp_gt_u32_e64 s2, 64, v17
	v_mad_u32_u24 v30, 0x10c, v5, v3
	v_mad_u32_u24 v31, 0x10c, v5, v4
	v_add_nc_u32_e32 v33, v6, v7
	v_mad_u32_u24 v32, 0x10c, v5, v8
	s_lshl_b64 s[4:5], s[10:11], 2
	s_lshl_b64 s[8:9], s[10:11], 8
	s_mul_hi_i32 s19, s10, 12
	s_mul_i32 s21, s10, 12
	s_mul_hi_i32 s22, s10, 0x48
	s_mul_i32 s23, s10, 0x48
	;; [unrolled: 2-line block ×10, first 2 shown]
	s_lshl_b64 s[14:15], s[10:11], 7
	s_mul_hi_i32 s41, s10, 0x44
	s_mul_i32 s42, s10, 0x44
	s_lshl_b64 s[10:11], s[10:11], 6
	s_mov_b32 s16, 0
	s_branch .LBB83_72
.LBB83_71:                              ;   in Loop: Header=BB83_72 Depth=1
	s_or_b32 exec_lo, exec_lo, s17
	v_fmac_f32_e32 v22, v37, v3
	v_add_co_u32 v20, s3, v20, s8
	v_add_co_ci_u32_e64 v21, null, s9, v21, s3
	v_fmac_f32_e32 v22, v35, v4
	v_add_nc_u32_e32 v0, 64, v0
	s_add_i32 s6, s6, -1
	s_add_i32 s16, s16, s18
	s_cmp_eq_u32 s6, 0
	v_fmac_f32_e32 v22, v34, v5
	s_waitcnt_vscnt null, 0x0
	s_barrier
	buffer_gl0_inv
	v_fmac_f32_e32 v22, v36, v6
	v_fmac_f32_e32 v22, v41, v7
	;; [unrolled: 1-line block ×13, first 2 shown]
	s_cbranch_scc1 .LBB83_76
.LBB83_72:                              ; =>This Inner Loop Header: Depth=1
	s_and_saveexec_b32 s43, s1
	s_cbranch_execz .LBB83_74
; %bb.73:                               ;   in Loop: Header=BB83_72 Depth=1
	s_ashr_i32 s17, s16, 31
	s_lshl_b64 s[44:45], s[16:17], 2
	v_add_co_u32 v3, s3, v24, s44
	v_add_co_ci_u32_e64 v4, null, s45, v25, s3
	global_load_dword v3, v[3:4], off
	s_waitcnt vmcnt(0)
	ds_write_b32 v26, v3
.LBB83_74:                              ;   in Loop: Header=BB83_72 Depth=1
	s_or_b32 exec_lo, exec_lo, s43
	v_add_co_u32 v3, s3, v20, s4
	v_add_co_ci_u32_e64 v4, null, s5, v21, s3
	v_add_co_u32 v5, s3, v20, s12
	v_add_co_ci_u32_e64 v6, null, s13, v21, s3
	;; [unrolled: 2-line block ×3, first 2 shown]
	s_waitcnt lgkmcnt(0)
	s_barrier
	buffer_gl0_inv
	s_clause 0x3
	global_load_dword v37, v[20:21], off
	global_load_dword v35, v[3:4], off
	global_load_dword v34, v[5:6], off
	global_load_dword v36, v[7:8], off
	ds_read_b32 v13, v28
	ds_read_b128 v[3:6], v27
	v_add_co_u32 v7, s3, v20, s10
	v_add_co_ci_u32_e64 v8, null, s11, v21, s3
	v_add_co_u32 v9, s3, v20, s42
	v_add_co_ci_u32_e64 v10, null, s41, v21, s3
	v_add_co_u32 v11, s3, v20, s23
	v_add_co_ci_u32_e64 v12, null, s22, v21, s3
	s_waitcnt vmcnt(3) lgkmcnt(1)
	v_mul_f32_e32 v15, v37, v13
	s_waitcnt vmcnt(2)
	v_mul_f32_e32 v16, v35, v13
	s_waitcnt vmcnt(1)
	;; [unrolled: 2-line block ×3, first 2 shown]
	v_mul_f32_e32 v18, v36, v13
	v_add_co_u32 v13, s3, v20, s25
	v_add_co_ci_u32_e64 v14, null, s24, v21, s3
	ds_write2_b32 v29, v15, v16 offset1:67
	ds_write2_b32 v29, v17, v18 offset0:134 offset1:201
	s_waitcnt lgkmcnt(0)
	s_barrier
	buffer_gl0_inv
	ds_read2_b32 v[50:51], v33 offset1:1
	ds_read2_b32 v[52:53], v33 offset0:2 offset1:3
	s_waitcnt lgkmcnt(0)
	s_barrier
	buffer_gl0_inv
	s_clause 0x3
	global_load_dword v41, v[7:8], off
	global_load_dword v39, v[9:10], off
	;; [unrolled: 1-line block ×4, first 2 shown]
	ds_read_b32 v17, v28
	ds_read_b128 v[7:10], v27 offset:64
	v_add_co_u32 v11, s3, v20, s14
	v_add_co_ci_u32_e64 v12, null, s15, v21, s3
	v_add_co_u32 v13, s3, v20, s40
	v_add_co_ci_u32_e64 v14, null, s39, v21, s3
	v_add_co_u32 v15, s3, v20, s27
	v_add_co_ci_u32_e64 v16, null, s26, v21, s3
	v_add_f32_e32 v50, 0, v50
	v_add_f32_e32 v50, v50, v51
	;; [unrolled: 1-line block ×4, first 2 shown]
	s_waitcnt vmcnt(3) lgkmcnt(1)
	v_mul_f32_e32 v42, v41, v17
	s_waitcnt vmcnt(2)
	v_mul_f32_e32 v43, v39, v17
	s_waitcnt vmcnt(1)
	;; [unrolled: 2-line block ×3, first 2 shown]
	v_mul_f32_e32 v45, v40, v17
	v_add_co_u32 v17, s3, v20, s29
	v_add_co_ci_u32_e64 v18, null, s28, v21, s3
	ds_write2_b32 v29, v42, v43 offset1:67
	ds_write2_b32 v29, v44, v45 offset0:134 offset1:201
	s_waitcnt lgkmcnt(0)
	s_barrier
	buffer_gl0_inv
	ds_read2_b32 v[54:55], v33 offset1:1
	ds_read2_b32 v[56:57], v33 offset0:2 offset1:3
	s_waitcnt lgkmcnt(0)
	s_barrier
	buffer_gl0_inv
	s_clause 0x3
	global_load_dword v45, v[11:12], off
	global_load_dword v43, v[13:14], off
	;; [unrolled: 1-line block ×4, first 2 shown]
	ds_read_b32 v48, v28
	ds_read_b128 v[11:14], v27 offset:128
	v_add_co_u32 v15, s3, v20, s38
	v_add_co_ci_u32_e64 v16, null, s37, v21, s3
	v_add_co_u32 v17, s3, v20, s36
	v_add_co_ci_u32_e64 v18, null, s35, v21, s3
	;; [unrolled: 2-line block ×4, first 2 shown]
	v_add_f32_e32 v54, 0, v54
	v_add_f32_e32 v51, v54, v55
	;; [unrolled: 1-line block ×4, first 2 shown]
	s_waitcnt vmcnt(3) lgkmcnt(1)
	v_mul_f32_e32 v49, v45, v48
	s_waitcnt vmcnt(2)
	v_mul_f32_e32 v60, v43, v48
	s_waitcnt vmcnt(1)
	;; [unrolled: 2-line block ×3, first 2 shown]
	v_mul_f32_e32 v48, v44, v48
	ds_write2_b32 v29, v49, v60 offset1:67
	ds_write2_b32 v29, v61, v48 offset0:134 offset1:201
	s_waitcnt lgkmcnt(0)
	s_barrier
	buffer_gl0_inv
	ds_read2_b32 v[60:61], v33 offset1:1
	ds_read2_b32 v[62:63], v33 offset0:2 offset1:3
	s_waitcnt lgkmcnt(0)
	s_barrier
	buffer_gl0_inv
	s_clause 0x3
	global_load_dword v49, v[15:16], off
	global_load_dword v48, v[17:18], off
	global_load_dword v47, v[46:47], off
	global_load_dword v46, v[58:59], off
	ds_read_b32 v58, v28
	ds_read_b128 v[15:18], v27 offset:192
	v_add_f32_e32 v60, 0, v60
	v_add_f32_e32 v54, v60, v61
	;; [unrolled: 1-line block ×4, first 2 shown]
	s_waitcnt vmcnt(3) lgkmcnt(1)
	v_mul_f32_e32 v59, v49, v58
	s_waitcnt vmcnt(2)
	v_mul_f32_e32 v64, v48, v58
	s_waitcnt vmcnt(1)
	;; [unrolled: 2-line block ×3, first 2 shown]
	v_mul_f32_e32 v58, v46, v58
	ds_write2_b32 v29, v59, v64 offset1:67
	ds_write2_b32 v29, v65, v58 offset0:134 offset1:201
	s_waitcnt lgkmcnt(0)
	s_barrier
	buffer_gl0_inv
	ds_read2_b32 v[58:59], v33 offset1:1
	ds_read2_b32 v[64:65], v33 offset0:2 offset1:3
	s_waitcnt lgkmcnt(0)
	s_barrier
	buffer_gl0_inv
	v_add_f32_e32 v58, 0, v58
	v_add_f32_e32 v55, v58, v59
	;; [unrolled: 1-line block ×4, first 2 shown]
	ds_write2_b32 v30, v50, v51 offset1:16
	ds_write2_b32 v30, v52, v53 offset0:32 offset1:48
	s_waitcnt lgkmcnt(0)
	s_barrier
	buffer_gl0_inv
	s_and_saveexec_b32 s17, s2
	s_cbranch_execz .LBB83_71
; %bb.75:                               ;   in Loop: Header=BB83_72 Depth=1
	ds_read2_b32 v[50:51], v31 offset1:1
	ds_read2_b32 v[52:53], v31 offset0:2 offset1:3
	ds_read2_b32 v[54:55], v31 offset0:4 offset1:5
	;; [unrolled: 1-line block ×3, first 2 shown]
	s_waitcnt lgkmcnt(3)
	v_add_f32_e32 v50, v50, v51
	s_waitcnt lgkmcnt(2)
	v_add_f32_e32 v50, v50, v52
	v_add_f32_e32 v52, v50, v53
	ds_read2_b32 v[50:51], v31 offset0:8 offset1:9
	s_waitcnt lgkmcnt(2)
	v_add_f32_e32 v52, v52, v54
	v_add_f32_e32 v54, v52, v55
	ds_read2_b32 v[52:53], v31 offset0:10 offset1:11
	s_waitcnt lgkmcnt(2)
	v_add_f32_e32 v54, v54, v56
	v_add_f32_e32 v56, v54, v57
	ds_read2_b32 v[54:55], v31 offset0:12 offset1:13
	ds_read_b32 v57, v31 offset:56
	s_waitcnt lgkmcnt(3)
	v_add_f32_e32 v50, v56, v50
	v_add_f32_e32 v50, v50, v51
	s_waitcnt lgkmcnt(2)
	v_add_f32_e32 v50, v50, v52
	ds_read_b32 v52, v32
	v_add_f32_e32 v50, v50, v53
	s_waitcnt lgkmcnt(2)
	v_add_f32_e32 v50, v50, v54
	v_add_f32_e32 v50, v50, v55
	s_waitcnt lgkmcnt(1)
	v_add_f32_e32 v53, v50, v57
	v_lshlrev_b64 v[50:51], 2, v[0:1]
	s_waitcnt lgkmcnt(0)
	v_add_f32_e32 v52, v53, v52
	v_add_co_u32 v50, s3, s7, v50
	v_add_co_ci_u32_e64 v51, null, s20, v51, s3
	global_store_dword v[50:51], v52, off
	s_branch .LBB83_71
.LBB83_76:
	v_mad_u32_u24 v0, 0x10c, v2, v23
	s_nor_b32 s0, s0, vcc_lo
	ds_write_b32 v0, v22
	s_waitcnt lgkmcnt(0)
	s_barrier
	buffer_gl0_inv
	s_and_saveexec_b32 s1, s0
	s_cbranch_execz .LBB83_78
; %bb.77:
	ds_read2_b32 v[0:1], v23 offset1:67
	ds_read2_b32 v[2:3], v23 offset0:134 offset1:201
	v_ashrrev_i32_e32 v20, 31, v19
	s_waitcnt lgkmcnt(1)
	v_add_f32_e32 v0, v0, v1
	s_waitcnt lgkmcnt(0)
	v_add_f32_e32 v2, v0, v2
	v_lshlrev_b64 v[0:1], 2, v[19:20]
	v_add_f32_e32 v2, v2, v3
	v_add_co_u32 v0, vcc_lo, s7, v0
	v_add_co_ci_u32_e64 v1, null, s20, v1, vcc_lo
	global_store_dword v[0:1], v2, off
.LBB83_78:
	s_endpgm
	.section	.rodata,"a",@progbits
	.p2align	6, 0x0
	.amdhsa_kernel _ZL26rocblas_hemvn_kernel_lowerILb0ELi64ELi4ELi33ELi32ELi16EiPKfS1_PfEviT6_lT7_lT5_lS4_lS5_lS3_lT8_i
		.amdhsa_group_segment_fixed_size 4800
		.amdhsa_private_segment_fixed_size 0
		.amdhsa_kernarg_size 376
		.amdhsa_user_sgpr_count 6
		.amdhsa_user_sgpr_private_segment_buffer 1
		.amdhsa_user_sgpr_dispatch_ptr 0
		.amdhsa_user_sgpr_queue_ptr 0
		.amdhsa_user_sgpr_kernarg_segment_ptr 1
		.amdhsa_user_sgpr_dispatch_id 0
		.amdhsa_user_sgpr_flat_scratch_init 0
		.amdhsa_user_sgpr_private_segment_size 0
		.amdhsa_wavefront_size32 1
		.amdhsa_uses_dynamic_stack 0
		.amdhsa_system_sgpr_private_segment_wavefront_offset 0
		.amdhsa_system_sgpr_workgroup_id_x 1
		.amdhsa_system_sgpr_workgroup_id_y 0
		.amdhsa_system_sgpr_workgroup_id_z 1
		.amdhsa_system_sgpr_workgroup_info 0
		.amdhsa_system_vgpr_workitem_id 1
		.amdhsa_next_free_vgpr 66
		.amdhsa_next_free_sgpr 46
		.amdhsa_reserve_vcc 1
		.amdhsa_reserve_flat_scratch 0
		.amdhsa_float_round_mode_32 0
		.amdhsa_float_round_mode_16_64 0
		.amdhsa_float_denorm_mode_32 3
		.amdhsa_float_denorm_mode_16_64 3
		.amdhsa_dx10_clamp 1
		.amdhsa_ieee_mode 1
		.amdhsa_fp16_overflow 0
		.amdhsa_workgroup_processor_mode 1
		.amdhsa_memory_ordered 1
		.amdhsa_forward_progress 1
		.amdhsa_shared_vgpr_count 0
		.amdhsa_exception_fp_ieee_invalid_op 0
		.amdhsa_exception_fp_denorm_src 0
		.amdhsa_exception_fp_ieee_div_zero 0
		.amdhsa_exception_fp_ieee_overflow 0
		.amdhsa_exception_fp_ieee_underflow 0
		.amdhsa_exception_fp_ieee_inexact 0
		.amdhsa_exception_int_div_zero 0
	.end_amdhsa_kernel
	.section	.text._ZL26rocblas_hemvn_kernel_lowerILb0ELi64ELi4ELi33ELi32ELi16EiPKfS1_PfEviT6_lT7_lT5_lS4_lS5_lS3_lT8_i,"axG",@progbits,_ZL26rocblas_hemvn_kernel_lowerILb0ELi64ELi4ELi33ELi32ELi16EiPKfS1_PfEviT6_lT7_lT5_lS4_lS5_lS3_lT8_i,comdat
.Lfunc_end83:
	.size	_ZL26rocblas_hemvn_kernel_lowerILb0ELi64ELi4ELi33ELi32ELi16EiPKfS1_PfEviT6_lT7_lT5_lS4_lS5_lS3_lT8_i, .Lfunc_end83-_ZL26rocblas_hemvn_kernel_lowerILb0ELi64ELi4ELi33ELi32ELi16EiPKfS1_PfEviT6_lT7_lT5_lS4_lS5_lS3_lT8_i
                                        ; -- End function
	.set _ZL26rocblas_hemvn_kernel_lowerILb0ELi64ELi4ELi33ELi32ELi16EiPKfS1_PfEviT6_lT7_lT5_lS4_lS5_lS3_lT8_i.num_vgpr, 66
	.set _ZL26rocblas_hemvn_kernel_lowerILb0ELi64ELi4ELi33ELi32ELi16EiPKfS1_PfEviT6_lT7_lT5_lS4_lS5_lS3_lT8_i.num_agpr, 0
	.set _ZL26rocblas_hemvn_kernel_lowerILb0ELi64ELi4ELi33ELi32ELi16EiPKfS1_PfEviT6_lT7_lT5_lS4_lS5_lS3_lT8_i.numbered_sgpr, 46
	.set _ZL26rocblas_hemvn_kernel_lowerILb0ELi64ELi4ELi33ELi32ELi16EiPKfS1_PfEviT6_lT7_lT5_lS4_lS5_lS3_lT8_i.num_named_barrier, 0
	.set _ZL26rocblas_hemvn_kernel_lowerILb0ELi64ELi4ELi33ELi32ELi16EiPKfS1_PfEviT6_lT7_lT5_lS4_lS5_lS3_lT8_i.private_seg_size, 0
	.set _ZL26rocblas_hemvn_kernel_lowerILb0ELi64ELi4ELi33ELi32ELi16EiPKfS1_PfEviT6_lT7_lT5_lS4_lS5_lS3_lT8_i.uses_vcc, 1
	.set _ZL26rocblas_hemvn_kernel_lowerILb0ELi64ELi4ELi33ELi32ELi16EiPKfS1_PfEviT6_lT7_lT5_lS4_lS5_lS3_lT8_i.uses_flat_scratch, 0
	.set _ZL26rocblas_hemvn_kernel_lowerILb0ELi64ELi4ELi33ELi32ELi16EiPKfS1_PfEviT6_lT7_lT5_lS4_lS5_lS3_lT8_i.has_dyn_sized_stack, 0
	.set _ZL26rocblas_hemvn_kernel_lowerILb0ELi64ELi4ELi33ELi32ELi16EiPKfS1_PfEviT6_lT7_lT5_lS4_lS5_lS3_lT8_i.has_recursion, 0
	.set _ZL26rocblas_hemvn_kernel_lowerILb0ELi64ELi4ELi33ELi32ELi16EiPKfS1_PfEviT6_lT7_lT5_lS4_lS5_lS3_lT8_i.has_indirect_call, 0
	.section	.AMDGPU.csdata,"",@progbits
; Kernel info:
; codeLenInByte = 6196
; TotalNumSgprs: 48
; NumVgprs: 66
; ScratchSize: 0
; MemoryBound: 0
; FloatMode: 240
; IeeeMode: 1
; LDSByteSize: 4800 bytes/workgroup (compile time only)
; SGPRBlocks: 0
; VGPRBlocks: 8
; NumSGPRsForWavesPerEU: 48
; NumVGPRsForWavesPerEU: 66
; Occupancy: 12
; WaveLimiterHint : 1
; COMPUTE_PGM_RSRC2:SCRATCH_EN: 0
; COMPUTE_PGM_RSRC2:USER_SGPR: 6
; COMPUTE_PGM_RSRC2:TRAP_HANDLER: 0
; COMPUTE_PGM_RSRC2:TGID_X_EN: 1
; COMPUTE_PGM_RSRC2:TGID_Y_EN: 0
; COMPUTE_PGM_RSRC2:TGID_Z_EN: 1
; COMPUTE_PGM_RSRC2:TIDIG_COMP_CNT: 1
	.section	.text._ZL36rocblas_hemvn_kernel_lower_block_sumILi64EiPKfPffEviT1_lS3_lT2_lT0_lPT3_i,"axG",@progbits,_ZL36rocblas_hemvn_kernel_lower_block_sumILi64EiPKfPffEviT1_lS3_lT2_lT0_lPT3_i,comdat
	.globl	_ZL36rocblas_hemvn_kernel_lower_block_sumILi64EiPKfPffEviT1_lS3_lT2_lT0_lPT3_i ; -- Begin function _ZL36rocblas_hemvn_kernel_lower_block_sumILi64EiPKfPffEviT1_lS3_lT2_lT0_lPT3_i
	.p2align	8
	.type	_ZL36rocblas_hemvn_kernel_lower_block_sumILi64EiPKfPffEviT1_lS3_lT2_lT0_lPT3_i,@function
_ZL36rocblas_hemvn_kernel_lower_block_sumILi64EiPKfPffEviT1_lS3_lT2_lT0_lPT3_i: ; @_ZL36rocblas_hemvn_kernel_lower_block_sumILi64EiPKfPffEviT1_lS3_lT2_lT0_lPT3_i
; %bb.0:
	s_load_dwordx8 s[8:15], s[4:5], 0x8
	s_waitcnt lgkmcnt(0)
	s_mul_i32 s1, s11, s7
	s_mul_hi_u32 s2, s10, s7
	s_mul_i32 s0, s10, s7
	s_add_i32 s1, s2, s1
	s_mul_i32 s2, s15, s7
	s_lshl_b64 s[0:1], s[0:1], 2
	s_mul_hi_u32 s3, s14, s7
	s_add_u32 s0, s8, s0
	s_addc_u32 s1, s9, s1
	s_add_i32 s3, s3, s2
	s_mul_i32 s2, s14, s7
	s_lshl_b64 s[2:3], s[2:3], 2
	s_add_u32 s2, s12, s2
	s_addc_u32 s3, s13, s3
	s_load_dword s8, s[0:1], 0x0
	s_load_dword s11, s[2:3], 0x0
	s_mov_b32 s12, 0
	s_waitcnt lgkmcnt(0)
	v_cmp_eq_f32_e64 s0, s8, 0
	v_cmp_eq_f32_e64 s1, s11, 1.0
	s_and_b32 s0, s0, s1
	s_and_b32 vcc_lo, exec_lo, s0
	s_cbranch_vccnz .LBB84_19
; %bb.1:
	s_clause 0x3
	s_load_dwordx2 s[0:1], s[4:5], 0x40
	s_load_dwordx4 s[16:19], s[4:5], 0x28
	s_load_dword s13, s[4:5], 0x38
	s_load_dword s2, s[4:5], 0x0
	v_lshl_or_b32 v0, s6, 6, v0
	s_waitcnt lgkmcnt(0)
	s_mul_i32 s1, s1, s7
	s_mul_hi_u32 s3, s0, s7
	s_mul_i32 s0, s0, s7
	s_add_i32 s1, s3, s1
	v_cmp_neq_f32_e64 s3, s8, 0
	s_lshl_b64 s[0:1], s[0:1], 2
	s_add_u32 s9, s16, s0
	s_addc_u32 s10, s17, s1
	s_lshl_b64 s[0:1], s[18:19], 2
	s_add_u32 s9, s9, s0
	v_cmp_gt_i32_e64 s0, s2, v0
	s_addc_u32 s10, s10, s1
	s_and_b32 vcc_lo, exec_lo, s3
	s_cbranch_vccnz .LBB84_6
; %bb.2:
	s_mov_b32 s1, 0
                                        ; implicit-def: $vgpr3
                                        ; implicit-def: $vgpr1_vgpr2
	s_and_saveexec_b32 s3, s0
	s_cbranch_execz .LBB84_7
; %bb.3:
	v_mul_lo_u32 v1, s13, v0
	v_cmp_eq_f32_e64 s0, s11, 0
	v_mov_b32_e32 v3, 0
	s_and_b32 vcc_lo, exec_lo, s0
	v_ashrrev_i32_e32 v2, 31, v1
	s_cbranch_vccnz .LBB84_5
; %bb.4:
	v_lshlrev_b64 v[3:4], 2, v[1:2]
	v_add_co_u32 v3, vcc_lo, s9, v3
	v_add_co_ci_u32_e64 v4, null, s10, v4, vcc_lo
	global_load_dword v3, v[3:4], off
	s_waitcnt vmcnt(0)
	v_mul_f32_e32 v3, s11, v3
.LBB84_5:
	s_mov_b32 s12, exec_lo
	s_or_b32 exec_lo, exec_lo, s3
	s_and_b32 vcc_lo, exec_lo, s1
	s_cbranch_vccnz .LBB84_8
	s_branch .LBB84_17
.LBB84_6:
                                        ; implicit-def: $vgpr3
                                        ; implicit-def: $vgpr1_vgpr2
	s_cbranch_execnz .LBB84_8
	s_branch .LBB84_17
.LBB84_7:
	s_or_b32 exec_lo, exec_lo, s3
	s_and_b32 vcc_lo, exec_lo, s1
	s_cbranch_vccz .LBB84_17
.LBB84_8:
	s_mov_b32 s14, exec_lo
                                        ; implicit-def: $vgpr3
                                        ; implicit-def: $vgpr1_vgpr2
	v_cmpx_gt_i32_e64 s2, v0
	s_cbranch_execz .LBB84_16
; %bb.9:
	s_load_dword s15, s[4:5], 0x58
	v_mov_b32_e32 v4, 0
	s_waitcnt lgkmcnt(0)
	s_cmp_ge_i32 s6, s15
	s_cbranch_scc1 .LBB84_12
; %bb.10:
	s_load_dwordx2 s[0:1], s[4:5], 0x48
	v_mad_u64_u32 v[1:2], null, s2, s6, v[0:1]
	s_ashr_i32 s3, s2, 31
	s_mul_hi_u32 s4, s2, s7
	s_mul_i32 s5, s3, s7
	s_mul_i32 s7, s2, s7
	s_add_i32 s4, s4, s5
	s_mul_hi_u32 s5, s7, s15
	v_ashrrev_i32_e32 v2, 31, v1
	s_mul_i32 s16, s4, s15
	s_mul_i32 s4, s7, s15
	s_add_i32 s5, s5, s16
	v_mov_b32_e32 v4, 0
	v_lshlrev_b64 v[1:2], 2, v[1:2]
	s_lshl_b64 s[4:5], s[4:5], 2
	s_waitcnt lgkmcnt(0)
	s_add_u32 s0, s0, s4
	s_addc_u32 s1, s1, s5
	v_add_co_u32 v1, vcc_lo, s0, v1
	v_add_co_ci_u32_e64 v2, null, s1, v2, vcc_lo
	s_lshl_b64 s[0:1], s[2:3], 2
.LBB84_11:                              ; =>This Inner Loop Header: Depth=1
	global_load_dword v3, v[1:2], off
	v_add_co_u32 v1, vcc_lo, v1, s0
	v_add_co_ci_u32_e64 v2, null, s1, v2, vcc_lo
	s_add_i32 s6, s6, 1
	s_cmp_ge_i32 s6, s15
	s_waitcnt vmcnt(0)
	v_add_f32_e32 v4, v4, v3
	s_cbranch_scc0 .LBB84_11
.LBB84_12:
	v_mul_lo_u32 v1, s13, v0
	v_cmp_eq_f32_e64 s0, s11, 0
	s_and_b32 vcc_lo, exec_lo, s0
	s_mov_b32 s0, 0
	v_ashrrev_i32_e32 v2, 31, v1
	s_cbranch_vccz .LBB84_20
; %bb.13:
	v_mul_f32_e32 v3, s8, v4
	s_andn2_b32 vcc_lo, exec_lo, s0
	s_cbranch_vccnz .LBB84_15
.LBB84_14:
	v_lshlrev_b64 v[5:6], 2, v[1:2]
	v_add_co_u32 v5, vcc_lo, s9, v5
	v_add_co_ci_u32_e64 v6, null, s10, v6, vcc_lo
	global_load_dword v0, v[5:6], off
	s_waitcnt vmcnt(0)
	v_mul_f32_e32 v3, s11, v0
	v_fmac_f32_e32 v3, s8, v4
.LBB84_15:
	s_or_b32 s12, s12, exec_lo
.LBB84_16:
	s_or_b32 exec_lo, exec_lo, s14
.LBB84_17:
	s_and_saveexec_b32 s0, s12
	s_cbranch_execz .LBB84_19
; %bb.18:
	v_lshlrev_b64 v[0:1], 2, v[1:2]
	v_add_co_u32 v0, vcc_lo, s9, v0
	v_add_co_ci_u32_e64 v1, null, s10, v1, vcc_lo
	global_store_dword v[0:1], v3, off
.LBB84_19:
	s_endpgm
.LBB84_20:
                                        ; implicit-def: $vgpr3
	s_branch .LBB84_14
	.section	.rodata,"a",@progbits
	.p2align	6, 0x0
	.amdhsa_kernel _ZL36rocblas_hemvn_kernel_lower_block_sumILi64EiPKfPffEviT1_lS3_lT2_lT0_lPT3_i
		.amdhsa_group_segment_fixed_size 0
		.amdhsa_private_segment_fixed_size 0
		.amdhsa_kernarg_size 344
		.amdhsa_user_sgpr_count 6
		.amdhsa_user_sgpr_private_segment_buffer 1
		.amdhsa_user_sgpr_dispatch_ptr 0
		.amdhsa_user_sgpr_queue_ptr 0
		.amdhsa_user_sgpr_kernarg_segment_ptr 1
		.amdhsa_user_sgpr_dispatch_id 0
		.amdhsa_user_sgpr_flat_scratch_init 0
		.amdhsa_user_sgpr_private_segment_size 0
		.amdhsa_wavefront_size32 1
		.amdhsa_uses_dynamic_stack 0
		.amdhsa_system_sgpr_private_segment_wavefront_offset 0
		.amdhsa_system_sgpr_workgroup_id_x 1
		.amdhsa_system_sgpr_workgroup_id_y 0
		.amdhsa_system_sgpr_workgroup_id_z 1
		.amdhsa_system_sgpr_workgroup_info 0
		.amdhsa_system_vgpr_workitem_id 0
		.amdhsa_next_free_vgpr 7
		.amdhsa_next_free_sgpr 20
		.amdhsa_reserve_vcc 1
		.amdhsa_reserve_flat_scratch 0
		.amdhsa_float_round_mode_32 0
		.amdhsa_float_round_mode_16_64 0
		.amdhsa_float_denorm_mode_32 3
		.amdhsa_float_denorm_mode_16_64 3
		.amdhsa_dx10_clamp 1
		.amdhsa_ieee_mode 1
		.amdhsa_fp16_overflow 0
		.amdhsa_workgroup_processor_mode 1
		.amdhsa_memory_ordered 1
		.amdhsa_forward_progress 1
		.amdhsa_shared_vgpr_count 0
		.amdhsa_exception_fp_ieee_invalid_op 0
		.amdhsa_exception_fp_denorm_src 0
		.amdhsa_exception_fp_ieee_div_zero 0
		.amdhsa_exception_fp_ieee_overflow 0
		.amdhsa_exception_fp_ieee_underflow 0
		.amdhsa_exception_fp_ieee_inexact 0
		.amdhsa_exception_int_div_zero 0
	.end_amdhsa_kernel
	.section	.text._ZL36rocblas_hemvn_kernel_lower_block_sumILi64EiPKfPffEviT1_lS3_lT2_lT0_lPT3_i,"axG",@progbits,_ZL36rocblas_hemvn_kernel_lower_block_sumILi64EiPKfPffEviT1_lS3_lT2_lT0_lPT3_i,comdat
.Lfunc_end84:
	.size	_ZL36rocblas_hemvn_kernel_lower_block_sumILi64EiPKfPffEviT1_lS3_lT2_lT0_lPT3_i, .Lfunc_end84-_ZL36rocblas_hemvn_kernel_lower_block_sumILi64EiPKfPffEviT1_lS3_lT2_lT0_lPT3_i
                                        ; -- End function
	.set _ZL36rocblas_hemvn_kernel_lower_block_sumILi64EiPKfPffEviT1_lS3_lT2_lT0_lPT3_i.num_vgpr, 7
	.set _ZL36rocblas_hemvn_kernel_lower_block_sumILi64EiPKfPffEviT1_lS3_lT2_lT0_lPT3_i.num_agpr, 0
	.set _ZL36rocblas_hemvn_kernel_lower_block_sumILi64EiPKfPffEviT1_lS3_lT2_lT0_lPT3_i.numbered_sgpr, 20
	.set _ZL36rocblas_hemvn_kernel_lower_block_sumILi64EiPKfPffEviT1_lS3_lT2_lT0_lPT3_i.num_named_barrier, 0
	.set _ZL36rocblas_hemvn_kernel_lower_block_sumILi64EiPKfPffEviT1_lS3_lT2_lT0_lPT3_i.private_seg_size, 0
	.set _ZL36rocblas_hemvn_kernel_lower_block_sumILi64EiPKfPffEviT1_lS3_lT2_lT0_lPT3_i.uses_vcc, 1
	.set _ZL36rocblas_hemvn_kernel_lower_block_sumILi64EiPKfPffEviT1_lS3_lT2_lT0_lPT3_i.uses_flat_scratch, 0
	.set _ZL36rocblas_hemvn_kernel_lower_block_sumILi64EiPKfPffEviT1_lS3_lT2_lT0_lPT3_i.has_dyn_sized_stack, 0
	.set _ZL36rocblas_hemvn_kernel_lower_block_sumILi64EiPKfPffEviT1_lS3_lT2_lT0_lPT3_i.has_recursion, 0
	.set _ZL36rocblas_hemvn_kernel_lower_block_sumILi64EiPKfPffEviT1_lS3_lT2_lT0_lPT3_i.has_indirect_call, 0
	.section	.AMDGPU.csdata,"",@progbits
; Kernel info:
; codeLenInByte = 688
; TotalNumSgprs: 22
; NumVgprs: 7
; ScratchSize: 0
; MemoryBound: 0
; FloatMode: 240
; IeeeMode: 1
; LDSByteSize: 0 bytes/workgroup (compile time only)
; SGPRBlocks: 0
; VGPRBlocks: 0
; NumSGPRsForWavesPerEU: 22
; NumVGPRsForWavesPerEU: 7
; Occupancy: 16
; WaveLimiterHint : 0
; COMPUTE_PGM_RSRC2:SCRATCH_EN: 0
; COMPUTE_PGM_RSRC2:USER_SGPR: 6
; COMPUTE_PGM_RSRC2:TRAP_HANDLER: 0
; COMPUTE_PGM_RSRC2:TGID_X_EN: 1
; COMPUTE_PGM_RSRC2:TGID_Y_EN: 0
; COMPUTE_PGM_RSRC2:TGID_Z_EN: 1
; COMPUTE_PGM_RSRC2:TIDIG_COMP_CNT: 0
	.section	.text._ZL26rocblas_hemvn_kernel_lowerILb0ELi64ELi4ELi33ELi32ELi16ElfPKfPfEviT6_lT7_lT5_lS4_lS5_lS3_lT8_i,"axG",@progbits,_ZL26rocblas_hemvn_kernel_lowerILb0ELi64ELi4ELi33ELi32ELi16ElfPKfPfEviT6_lT7_lT5_lS4_lS5_lS3_lT8_i,comdat
	.globl	_ZL26rocblas_hemvn_kernel_lowerILb0ELi64ELi4ELi33ELi32ELi16ElfPKfPfEviT6_lT7_lT5_lS4_lS5_lS3_lT8_i ; -- Begin function _ZL26rocblas_hemvn_kernel_lowerILb0ELi64ELi4ELi33ELi32ELi16ElfPKfPfEviT6_lT7_lT5_lS4_lS5_lS3_lT8_i
	.p2align	8
	.type	_ZL26rocblas_hemvn_kernel_lowerILb0ELi64ELi4ELi33ELi32ELi16ElfPKfPfEviT6_lT7_lT5_lS4_lS5_lS3_lT8_i,@function
_ZL26rocblas_hemvn_kernel_lowerILb0ELi64ELi4ELi33ELi32ELi16ElfPKfPfEviT6_lT7_lT5_lS4_lS5_lS3_lT8_i: ; @_ZL26rocblas_hemvn_kernel_lowerILb0ELi64ELi4ELi33ELi32ELi16ElfPKfPfEviT6_lT7_lT5_lS4_lS5_lS3_lT8_i
; %bb.0:
	s_load_dwordx2 s[2:3], s[4:5], 0x7c
	s_add_u32 s0, s4, 0x70
	s_addc_u32 s1, s5, 0
	s_waitcnt lgkmcnt(0)
	s_lshr_b32 s8, s2, 16
	s_and_b32 s2, s2, 0xffff
	s_and_b32 s3, s3, 0xffff
	s_mul_i32 s2, s8, s2
	s_mul_i32 s2, s2, s3
	s_cmpk_lg_i32 s2, 0x100
	s_cbranch_scc1 .LBB85_78
; %bb.1:
	s_clause 0x1
	s_load_dwordx2 s[24:25], s[4:5], 0x0
	s_load_dword s3, s[4:5], 0x50
	s_waitcnt lgkmcnt(0)
	v_cmp_eq_f32_e64 s2, s25, 0
	v_cmp_eq_f32_e64 s3, s3, 1.0
	s_and_b32 s3, s2, s3
	s_and_b32 vcc_lo, exec_lo, s3
	s_cbranch_vccnz .LBB85_78
; %bb.2:
	s_and_b32 vcc_lo, exec_lo, s2
	s_cbranch_vccnz .LBB85_78
; %bb.3:
	s_load_dwordx16 s[8:23], s[4:5], 0x10
	s_load_dword s25, s[0:1], 0x0
	s_waitcnt lgkmcnt(0)
	s_mul_i32 s3, s23, s7
	s_mul_hi_u32 s23, s22, s7
	s_mul_i32 s2, s22, s7
	s_add_i32 s3, s23, s3
	s_lshl_b64 s[2:3], s[2:3], 2
	s_add_u32 s16, s16, s2
	s_addc_u32 s17, s17, s3
	s_lshl_b64 s[2:3], s[18:19], 2
	s_add_u32 s2, s16, s2
	s_addc_u32 s3, s17, s3
	s_lshl_b32 s16, s6, 6
	s_ashr_i32 s30, s24, 31
	v_add_nc_u32_e32 v18, s16, v0
	s_lshr_b32 s0, s30, 26
	s_add_i32 s17, s25, -1
	s_add_i32 s1, s24, s0
	v_cmp_ne_u32_e64 s0, 0, v1
	v_ashrrev_i32_e32 v19, 31, v18
	v_mul_lo_u32 v4, s21, v18
	v_mad_u64_u32 v[2:3], null, s20, v18, 0
	s_andn2_b32 s1, s1, 63
	v_mul_lo_u32 v5, s20, v19
	s_sub_i32 s18, s24, s1
	v_cmp_eq_u32_e64 s1, 0, v1
	s_cmp_eq_u32 s6, s17
	s_cselect_b32 s18, s18, 0
	v_add3_u32 v3, v3, v5, v4
	v_lshlrev_b64 v[2:3], 2, v[2:3]
	v_add_co_u32 v6, vcc_lo, s2, v2
	v_add_co_ci_u32_e64 v7, null, s3, v3, vcc_lo
	s_and_saveexec_b32 s2, s1
	s_cbranch_execz .LBB85_7
; %bb.4:
	v_cmp_gt_i32_e32 vcc_lo, s18, v0
	s_cmp_eq_u32 s18, 0
	v_mov_b32_e32 v2, 0
	s_cselect_b32 s3, -1, 0
	s_or_b32 s17, s3, vcc_lo
	s_and_saveexec_b32 s3, s17
	s_cbranch_execz .LBB85_6
; %bb.5:
	global_load_dword v2, v[6:7], off
.LBB85_6:
	s_or_b32 exec_lo, exec_lo, s3
	v_lshlrev_b32_e32 v3, 2, v0
	s_waitcnt vmcnt(0)
	ds_write_b32 v3, v2 offset:4544
.LBB85_7:
	s_or_b32 exec_lo, exec_lo, s2
	v_lshl_add_u32 v16, v1, 6, v0
	v_and_b32_e32 v2, 31, v0
	v_mov_b32_e32 v3, 0
	s_mul_i32 s3, s15, s7
	s_mul_hi_u32 s15, s14, s7
	v_lshrrev_b32_e32 v5, 5, v16
	s_mul_i32 s2, s14, s7
	s_add_i32 s3, s15, s3
	s_lshl_b64 s[2:3], s[2:3], 2
	v_mad_u64_u32 v[3:4], null, s12, v5, v[2:3]
	s_add_u32 s8, s8, s2
	s_addc_u32 s9, s9, s3
	s_lshl_b64 s[2:3], s[10:11], 2
	s_mul_hi_u32 s10, s12, s16
	s_add_u32 s8, s8, s2
	s_addc_u32 s9, s9, s3
	v_mad_u64_u32 v[8:9], null, s13, v5, v[4:5]
	s_ashr_i32 s17, s16, 31
	s_mul_i32 s11, s13, s16
	s_lshl_b64 s[2:3], s[16:17], 2
	s_mul_i32 s14, s12, s17
	s_add_u32 s8, s8, s2
	s_addc_u32 s9, s9, s3
	v_mov_b32_e32 v4, v8
	s_add_i32 s3, s10, s14
	s_mul_i32 s2, s12, s16
	s_add_i32 s3, s3, s11
	s_lshl_b64 s[22:23], s[2:3], 2
	v_lshlrev_b64 v[8:9], 2, v[3:4]
	s_cmp_lg_u32 s18, 0
	s_mov_b32 s2, -1
	s_cselect_b32 s31, -1, 0
	s_cmp_eq_u32 s18, 0
	v_add_co_u32 v3, vcc_lo, s8, v8
	v_add_co_ci_u32_e64 v4, null, s9, v9, vcc_lo
	s_cselect_b32 s11, -1, 0
	v_add_co_u32 v3, vcc_lo, v3, s22
	v_add_co_ci_u32_e64 v4, null, s23, v4, vcc_lo
	s_and_b32 vcc_lo, exec_lo, s31
	s_cbranch_vccnz .LBB85_9
; %bb.8:
	s_lshl_b64 s[2:3], s[12:13], 5
	v_add_co_u32 v10, vcc_lo, v3, s2
	v_add_co_ci_u32_e64 v11, null, s3, v4, vcc_lo
	v_add_co_u32 v12, vcc_lo, v10, s2
	v_add_co_ci_u32_e64 v13, null, s3, v11, vcc_lo
	;; [unrolled: 2-line block ×3, first 2 shown]
	s_clause 0x3
	global_load_dword v17, v[3:4], off
	global_load_dword v10, v[10:11], off
	global_load_dword v11, v[12:13], off
	global_load_dword v12, v[14:15], off
	v_mul_u32_u24_e32 v13, 0x84, v5
	s_mov_b32 s2, 0
	v_lshl_add_u32 v13, v2, 2, v13
	s_waitcnt vmcnt(3)
	ds_write_b32 v13, v17
	s_waitcnt vmcnt(2)
	ds_write_b32 v13, v10 offset:1056
	s_waitcnt vmcnt(1)
	ds_write_b32 v13, v11 offset:2112
	;; [unrolled: 2-line block ×3, first 2 shown]
.LBB85_9:
	s_andn2_b32 vcc_lo, exec_lo, s2
	s_cbranch_vccnz .LBB85_19
; %bb.10:
	v_lshlrev_b32_e32 v12, 2, v2
	s_ashr_i32 s19, s18, 31
	v_mov_b32_e32 v14, 0
	s_lshl_b64 s[8:9], s[18:19], 2
	v_mov_b32_e32 v17, 0
	v_sub_co_u32 v10, vcc_lo, v3, v12
	v_subrev_co_ci_u32_e64 v11, null, 0, v4, vcc_lo
	s_mov_b32 s3, exec_lo
	v_add_co_u32 v10, vcc_lo, v10, s8
	v_add_co_ci_u32_e64 v11, null, s9, v11, vcc_lo
	v_add_co_u32 v10, vcc_lo, v10, -4
	v_add_co_ci_u32_e64 v11, null, -1, v11, vcc_lo
	v_cmp_gt_i32_e32 vcc_lo, s18, v2
	v_cndmask_b32_e32 v11, v11, v4, vcc_lo
	v_cndmask_b32_e32 v10, v10, v3, vcc_lo
	v_cmpx_gt_i32_e64 s18, v5
	s_cbranch_execz .LBB85_12
; %bb.11:
	global_load_dword v17, v[10:11], off
.LBB85_12:
	s_or_b32 exec_lo, exec_lo, s3
	v_lshlrev_b32_e32 v13, 2, v2
	v_add_nc_u32_e32 v20, 8, v5
	v_mul_u32_u24_e32 v15, 0x84, v5
	s_mov_b32 s3, exec_lo
	v_mad_u32_u24 v21, 0x84, v5, v13
	s_waitcnt vmcnt(0)
	ds_write_b32 v21, v17
	v_cmpx_gt_i32_e64 s18, v20
	s_cbranch_execz .LBB85_14
; %bb.13:
	s_lshl_b64 s[14:15], s[12:13], 5
	v_add_co_u32 v20, s2, v10, s14
	v_add_co_ci_u32_e64 v21, null, s15, v11, s2
	global_load_dword v14, v[20:21], off
.LBB85_14:
	s_or_b32 exec_lo, exec_lo, s3
	v_add_nc_u32_e32 v17, 16, v5
	v_add_nc_u32_e32 v13, v15, v13
	v_mov_b32_e32 v15, 0
	v_cmp_gt_i32_e64 s2, s18, v17
	v_mov_b32_e32 v17, 0
	s_waitcnt vmcnt(0)
	ds_write_b32 v13, v14 offset:1056
	s_and_saveexec_b32 s3, s2
	s_cbranch_execz .LBB85_16
; %bb.15:
	s_lshl_b64 s[14:15], s[12:13], 6
	v_add_co_u32 v20, s2, v10, s14
	v_add_co_ci_u32_e64 v21, null, s15, v11, s2
	global_load_dword v17, v[20:21], off
.LBB85_16:
	s_or_b32 exec_lo, exec_lo, s3
	v_add_nc_u32_e32 v14, 24, v5
	s_mov_b32 s3, exec_lo
	s_waitcnt vmcnt(0)
	ds_write_b32 v13, v17 offset:2112
	v_cmpx_gt_i32_e64 s18, v14
	s_cbranch_execz .LBB85_18
; %bb.17:
	v_mad_u64_u32 v[14:15], null, 0x60, s12, v[10:11]
	v_mad_u64_u32 v[20:21], null, 0x60, s13, v[15:16]
	v_mov_b32_e32 v15, v20
	global_load_dword v15, v[14:15], off
.LBB85_18:
	s_or_b32 exec_lo, exec_lo, s3
	v_add_co_u32 v10, s2, v10, v12
	v_add_co_ci_u32_e64 v11, null, 0, v11, s2
	s_waitcnt vmcnt(0)
	ds_write_b32 v13, v15 offset:3168
	v_sub_co_u32 v10, s2, v10, s8
	v_subrev_co_ci_u32_e64 v11, null, s9, v11, s2
	v_add_co_u32 v10, s2, v10, 4
	v_add_co_ci_u32_e64 v11, null, 0, v11, s2
	v_cndmask_b32_e32 v3, v10, v3, vcc_lo
	v_cndmask_b32_e32 v4, v11, v4, vcc_lo
.LBB85_19:
	v_lshlrev_b32_e32 v13, 2, v2
	v_lshlrev_b32_e32 v12, 2, v5
	s_waitcnt lgkmcnt(0)
	s_barrier
	buffer_gl0_inv
	v_lshl_or_b32 v15, v2, 7, v13
	v_cmp_lt_u32_e64 s3, v12, v2
	v_mad_u32_u24 v11, 0x210, v5, v13
	s_and_saveexec_b32 s2, s3
	s_cbranch_execz .LBB85_21
; %bb.20:
	ds_read_b32 v10, v11
	v_lshl_add_u32 v14, v12, 2, v15
	s_waitcnt lgkmcnt(0)
	ds_write_b32 v14, v10
.LBB85_21:
	s_or_b32 exec_lo, exec_lo, s2
	v_or_b32_e32 v10, 1, v12
	v_cmp_lt_u32_e64 s8, v10, v2
	v_mad_u32_u24 v14, 0x84, v10, v13
	s_and_saveexec_b32 s2, s8
	s_cbranch_execz .LBB85_23
; %bb.22:
	ds_read_b32 v17, v14
	v_lshl_add_u32 v20, v12, 2, v15
	s_waitcnt lgkmcnt(0)
	ds_write_b32 v20, v17 offset:4
.LBB85_23:
	s_or_b32 exec_lo, exec_lo, s2
	v_or_b32_e32 v17, 2, v12
	v_cmp_lt_u32_e64 s9, v17, v2
	s_and_saveexec_b32 s2, s9
	s_cbranch_execz .LBB85_25
; %bb.24:
	v_mad_u32_u24 v17, 0x84, v17, v13
	v_lshl_add_u32 v20, v12, 2, v15
	ds_read_b32 v17, v17
	s_waitcnt lgkmcnt(0)
	ds_write_b32 v20, v17 offset:8
.LBB85_25:
	s_or_b32 exec_lo, exec_lo, s2
	v_or_b32_e32 v20, 3, v12
	s_mov_b32 s2, exec_lo
                                        ; implicit-def: $vgpr17
	v_cmp_lt_u32_e64 s10, v20, v2
	v_cmpx_ge_u32_e64 v20, v2
	s_xor_b32 s2, exec_lo, s2
; %bb.26:
	v_mul_u32_u24_e32 v17, 0x84, v20
                                        ; implicit-def: $vgpr15
                                        ; implicit-def: $vgpr20
; %bb.27:
	s_andn2_saveexec_b32 s2, s2
	s_cbranch_execz .LBB85_29
; %bb.28:
	v_mad_u32_u24 v17, 0x84, v20, v13
	v_lshl_add_u32 v15, v12, 2, v15
	ds_read_b32 v21, v17
	v_mul_u32_u24_e32 v17, 0x84, v20
	s_waitcnt lgkmcnt(0)
	ds_write_b32 v15, v21 offset:12
.LBB85_29:
	s_or_b32 exec_lo, exec_lo, s2
	v_lshlrev_b32_e32 v22, 2, v12
	s_waitcnt lgkmcnt(0)
	s_barrier
	buffer_gl0_inv
	ds_read_b32 v20, v11
	ds_read_b128 v[23:26], v22 offset:4544
	ds_read2_b32 v[14:15], v14 offset1:33
	v_add_nc_u32_e32 v11, v13, v17
	v_mul_u32_u24_e32 v17, 33, v2
	v_cmp_gt_u32_e64 s2, 32, v16
	ds_read_b32 v21, v11
	v_lshlrev_b32_e32 v17, 2, v17
	s_waitcnt lgkmcnt(0)
	s_barrier
	buffer_gl0_inv
	v_fma_f32 v23, v20, v23, 0
	v_lshl_add_u32 v20, v5, 2, v17
	v_fmac_f32_e32 v23, v14, v24
	v_mov_b32_e32 v24, 0
	v_fmac_f32_e32 v23, v15, v25
	v_fmac_f32_e32 v23, v21, v26
	ds_write_b32 v20, v23
	s_waitcnt lgkmcnt(0)
	s_barrier
	buffer_gl0_inv
	s_and_saveexec_b32 s14, s2
	s_cbranch_execz .LBB85_31
; %bb.30:
	ds_read2_b32 v[14:15], v17 offset1:1
	ds_read2_b32 v[23:24], v17 offset0:2 offset1:3
	ds_read2_b32 v[25:26], v17 offset0:4 offset1:5
	;; [unrolled: 1-line block ×3, first 2 shown]
	s_waitcnt lgkmcnt(3)
	v_add_f32_e32 v14, v14, v15
	s_waitcnt lgkmcnt(2)
	v_add_f32_e32 v14, v14, v23
	v_add_f32_e32 v14, v14, v24
	s_waitcnt lgkmcnt(1)
	v_add_f32_e32 v14, v14, v25
	;; [unrolled: 3-line block ×3, first 2 shown]
	v_add_f32_e32 v24, v14, v28
.LBB85_31:
	s_or_b32 exec_lo, exec_lo, s14
	s_lshl_b64 s[14:15], s[12:13], 7
	v_cndmask_b32_e64 v14, 0, 1, s11
	v_add_co_u32 v3, vcc_lo, v3, s14
	v_add_co_ci_u32_e64 v4, null, s15, v4, vcc_lo
	s_lshl_b64 s[26:27], s[12:13], 5
	v_add_co_u32 v15, vcc_lo, 0x80, v3
	v_add_co_ci_u32_e64 v21, null, 0, v4, vcc_lo
	s_andn2_b32 vcc_lo, exec_lo, s11
	s_mov_b32 s11, -1
	s_barrier
	buffer_gl0_inv
	s_cbranch_vccnz .LBB85_33
; %bb.32:
	v_add_co_u32 v25, vcc_lo, v3, s26
	v_add_co_ci_u32_e64 v26, null, s27, v4, vcc_lo
	s_mov_b32 s11, 0
	v_add_co_u32 v27, vcc_lo, v25, s26
	v_add_co_ci_u32_e64 v28, null, s27, v26, vcc_lo
	v_add_co_u32 v29, vcc_lo, v27, s26
	v_add_co_ci_u32_e64 v30, null, s27, v28, vcc_lo
	s_clause 0x3
	global_load_dword v23, v[3:4], off offset:128
	global_load_dword v25, v[25:26], off offset:128
	;; [unrolled: 1-line block ×4, first 2 shown]
	v_mad_u32_u24 v28, 0x84, v5, v13
	s_waitcnt vmcnt(3)
	ds_write_b32 v28, v23
	s_waitcnt vmcnt(2)
	ds_write_b32 v28, v25 offset:1056
	s_waitcnt vmcnt(1)
	ds_write_b32 v28, v26 offset:2112
	;; [unrolled: 2-line block ×3, first 2 shown]
.LBB85_33:
	s_andn2_b32 vcc_lo, exec_lo, s11
	s_cbranch_vccnz .LBB85_43
; %bb.34:
	v_lshlrev_b32_e32 v23, 2, v2
	s_ashr_i32 s19, s18, 31
	v_or_b32_e32 v25, 32, v2
	s_lshl_b64 s[28:29], s[18:19], 2
	v_mov_b32_e32 v26, 0
	v_sub_co_u32 v3, vcc_lo, v3, v23
	v_subrev_co_ci_u32_e64 v4, null, 0, v4, vcc_lo
	v_mov_b32_e32 v27, 0
	v_add_co_u32 v3, vcc_lo, v3, s28
	v_add_co_ci_u32_e64 v4, null, s29, v4, vcc_lo
	s_sub_i32 s19, s18, 32
	v_add_co_u32 v3, vcc_lo, v3, -4
	v_add_co_ci_u32_e64 v4, null, -1, v4, vcc_lo
	v_cmp_gt_i32_e32 vcc_lo, s18, v25
	s_mov_b32 s33, exec_lo
	v_cndmask_b32_e32 v4, v4, v21, vcc_lo
	v_cndmask_b32_e32 v3, v3, v15, vcc_lo
	v_cmpx_gt_i32_e64 s19, v5
	s_cbranch_execz .LBB85_36
; %bb.35:
	global_load_dword v27, v[3:4], off
.LBB85_36:
	s_or_b32 exec_lo, exec_lo, s33
	v_add_nc_u32_e32 v28, 8, v5
	v_mul_u32_u24_e32 v25, 0x84, v5
	v_mad_u32_u24 v29, 0x84, v5, v13
	s_mov_b32 s33, exec_lo
	s_waitcnt vmcnt(0)
	ds_write_b32 v29, v27
	v_cmpx_gt_i32_e64 s19, v28
	s_cbranch_execz .LBB85_38
; %bb.37:
	v_add_co_u32 v26, s11, v3, s26
	v_add_co_ci_u32_e64 v27, null, s27, v4, s11
	global_load_dword v26, v[26:27], off
.LBB85_38:
	s_or_b32 exec_lo, exec_lo, s33
	v_add_nc_u32_e32 v28, 16, v5
	v_add_nc_u32_e32 v25, v25, v13
	v_mov_b32_e32 v27, 0
	v_cmp_gt_i32_e64 s11, s19, v28
	v_mov_b32_e32 v28, 0
	s_waitcnt vmcnt(0)
	ds_write_b32 v25, v26 offset:1056
	s_and_saveexec_b32 s33, s11
	s_cbranch_execz .LBB85_40
; %bb.39:
	s_lshl_b64 s[34:35], s[12:13], 6
	v_add_co_u32 v28, s11, v3, s34
	v_add_co_ci_u32_e64 v29, null, s35, v4, s11
	global_load_dword v28, v[28:29], off
.LBB85_40:
	s_or_b32 exec_lo, exec_lo, s33
	v_add_nc_u32_e32 v26, 24, v5
	s_waitcnt vmcnt(0)
	ds_write_b32 v25, v28 offset:2112
	v_cmp_gt_i32_e64 s11, s19, v26
	s_and_saveexec_b32 s19, s11
	s_cbranch_execz .LBB85_42
; %bb.41:
	v_mad_u64_u32 v[26:27], null, 0x60, s12, v[3:4]
	v_mad_u64_u32 v[27:28], null, 0x60, s13, v[27:28]
	global_load_dword v27, v[26:27], off
.LBB85_42:
	s_or_b32 exec_lo, exec_lo, s19
	v_add_co_u32 v3, s11, v3, v23
	v_add_co_ci_u32_e64 v4, null, 0, v4, s11
	s_waitcnt vmcnt(0)
	ds_write_b32 v25, v27 offset:3168
	v_sub_co_u32 v3, s11, v3, s28
	v_subrev_co_ci_u32_e64 v4, null, s29, v4, s11
	v_add_co_u32 v3, s11, 0x84, v3
	v_add_co_ci_u32_e64 v4, null, 0, v4, s11
	v_cndmask_b32_e32 v15, v3, v15, vcc_lo
	v_cndmask_b32_e32 v21, v4, v21, vcc_lo
.LBB85_43:
	v_mul_u32_u24_e32 v3, 0x210, v5
	v_add_nc_u32_e32 v4, 0x11c0, v22
	v_mul_u32_u24_e32 v10, 0x84, v10
	s_waitcnt lgkmcnt(0)
	s_barrier
	v_add_nc_u32_e32 v3, v13, v3
	buffer_gl0_inv
	s_and_saveexec_b32 s11, s3
	s_cbranch_execnz .LBB85_52
; %bb.44:
	s_or_b32 exec_lo, exec_lo, s11
	v_add_nc_u32_e32 v10, v13, v10
	s_and_saveexec_b32 s3, s8
	s_cbranch_execnz .LBB85_53
.LBB85_45:
	s_or_b32 exec_lo, exec_lo, s3
	s_and_saveexec_b32 s3, s9
	s_cbranch_execnz .LBB85_54
.LBB85_46:
	s_or_b32 exec_lo, exec_lo, s3
	s_and_saveexec_b32 s3, s10
	s_cbranch_execz .LBB85_48
.LBB85_47:
	ds_read_b32 v22, v11
	v_lshl_add_u32 v23, v12, 2, v17
	s_waitcnt lgkmcnt(0)
	ds_write_b32 v23, v22 offset:12
.LBB85_48:
	s_or_b32 exec_lo, exec_lo, s3
	s_waitcnt lgkmcnt(0)
	s_barrier
	buffer_gl0_inv
	ds_read_b32 v3, v3
	ds_read_b128 v[25:28], v4 offset:128
	ds_read2_b32 v[22:23], v10 offset1:33
	ds_read_b32 v10, v11
	v_cmp_eq_u32_e64 s3, 1, v5
	s_waitcnt lgkmcnt(0)
	s_barrier
	buffer_gl0_inv
	v_fma_f32 v3, v3, v25, 0
	v_fmac_f32_e32 v3, v22, v26
	v_fmac_f32_e32 v3, v23, v27
	;; [unrolled: 1-line block ×3, first 2 shown]
	ds_write_b32 v20, v3
	s_waitcnt lgkmcnt(0)
	s_barrier
	buffer_gl0_inv
	s_and_saveexec_b32 s8, s3
	s_cbranch_execz .LBB85_50
; %bb.49:
	ds_read2_b32 v[10:11], v17 offset1:1
	ds_read2_b32 v[22:23], v17 offset0:2 offset1:3
	ds_read2_b32 v[24:25], v17 offset0:4 offset1:5
	ds_read2_b32 v[26:27], v17 offset0:6 offset1:7
	s_waitcnt lgkmcnt(3)
	v_add_f32_e32 v3, v10, v11
	s_waitcnt lgkmcnt(2)
	v_add_f32_e32 v3, v3, v22
	v_add_f32_e32 v3, v3, v23
	s_waitcnt lgkmcnt(1)
	v_add_f32_e32 v3, v3, v24
	;; [unrolled: 3-line block ×3, first 2 shown]
	v_add_f32_e32 v24, v3, v27
.LBB85_50:
	s_or_b32 exec_lo, exec_lo, s8
	s_lshl_b64 s[8:9], s[26:27], 2
	v_cmp_ne_u32_e32 vcc_lo, 1, v14
	v_sub_co_u32 v10, s8, v15, s8
	v_subrev_co_ci_u32_e64 v11, null, s9, v21, s8
	s_barrier
	buffer_gl0_inv
	s_cbranch_vccnz .LBB85_55
; %bb.51:
	v_add_co_u32 v14, vcc_lo, v10, s26
	v_add_co_ci_u32_e64 v15, null, s27, v11, vcc_lo
	global_load_dword v3, v[10:11], off
	v_add_co_u32 v21, vcc_lo, v14, s26
	v_add_co_ci_u32_e64 v22, null, s27, v15, vcc_lo
	s_movk_i32 s8, 0x420
	v_add_co_u32 v25, vcc_lo, v21, s26
	v_add_co_ci_u32_e64 v26, null, s27, v22, vcc_lo
	s_movk_i32 s9, 0x840
	s_clause 0x2
	global_load_dword v27, v[14:15], off
	global_load_dword v28, v[21:22], off
	global_load_dword v26, v[25:26], off
	v_mad_u32_u24 v15, 0x84, v5, v13
	v_mad_u32_u24 v21, 0x84, v5, s8
	s_movk_i32 s8, 0xc60
	v_mad_u32_u24 v23, 0x84, v5, s9
	v_mul_u32_u24_e32 v14, 0x84, v5
	v_add_nc_u32_e32 v22, 16, v5
	v_add_nc_u32_e32 v29, v13, v21
	;; [unrolled: 1-line block ×4, first 2 shown]
	s_waitcnt vmcnt(3)
	ds_write_b32 v15, v3
	v_mad_u32_u24 v3, 0x84, v5, s8
	v_add_nc_u32_e32 v15, 8, v5
	s_waitcnt vmcnt(2)
	ds_write_b32 v29, v27
	s_waitcnt vmcnt(1)
	ds_write_b32 v30, v28
	v_add_nc_u32_e32 v31, v13, v3
	s_waitcnt vmcnt(0)
	ds_write_b32 v31, v26
	s_cbranch_execz .LBB85_56
	s_branch .LBB85_65
.LBB85_52:
	ds_read_b32 v22, v3
	v_lshl_add_u32 v23, v12, 2, v17
	s_waitcnt lgkmcnt(0)
	ds_write_b32 v23, v22
	s_or_b32 exec_lo, exec_lo, s11
	v_add_nc_u32_e32 v10, v13, v10
	s_and_saveexec_b32 s3, s8
	s_cbranch_execz .LBB85_45
.LBB85_53:
	ds_read_b32 v22, v10
	v_lshl_add_u32 v23, v12, 2, v17
	s_waitcnt lgkmcnt(0)
	ds_write_b32 v23, v22 offset:4
	s_or_b32 exec_lo, exec_lo, s3
	s_and_saveexec_b32 s3, s9
	s_cbranch_execz .LBB85_46
.LBB85_54:
	ds_read_b32 v22, v10 offset:132
	v_lshl_add_u32 v23, v12, 2, v17
	s_waitcnt lgkmcnt(0)
	ds_write_b32 v23, v22 offset:8
	s_or_b32 exec_lo, exec_lo, s3
	s_and_saveexec_b32 s3, s10
	s_cbranch_execnz .LBB85_47
	s_branch .LBB85_48
.LBB85_55:
                                        ; implicit-def: $vgpr14
                                        ; implicit-def: $vgpr15
                                        ; implicit-def: $vgpr21
                                        ; implicit-def: $vgpr22
                                        ; implicit-def: $vgpr23
                                        ; implicit-def: $vgpr25
                                        ; implicit-def: $vgpr3
.LBB85_56:
	v_lshlrev_b32_e32 v26, 2, v2
	s_ashr_i32 s19, s18, 31
	v_or_b32_e32 v2, 32, v2
	s_lshl_b64 s[10:11], s[18:19], 2
	v_mov_b32_e32 v23, 0
	v_sub_co_u32 v3, vcc_lo, v10, v26
	v_subrev_co_ci_u32_e64 v14, null, 0, v11, vcc_lo
	v_mov_b32_e32 v21, 0
	v_add_co_u32 v3, vcc_lo, v3, s10
	v_add_co_ci_u32_e64 v14, null, s11, v14, vcc_lo
	s_mov_b32 s9, exec_lo
	v_add_co_u32 v15, vcc_lo, 0xffffff7c, v3
	v_add_co_ci_u32_e64 v3, null, -1, v14, vcc_lo
	v_cmp_gt_i32_e32 vcc_lo, s18, v2
	v_cndmask_b32_e32 v3, v3, v11, vcc_lo
	v_cndmask_b32_e32 v2, v15, v10, vcc_lo
	v_cmpx_gt_i32_e64 s18, v5
	s_cbranch_execz .LBB85_58
; %bb.57:
	global_load_dword v21, v[2:3], off
.LBB85_58:
	s_or_b32 exec_lo, exec_lo, s9
	v_add_nc_u32_e32 v15, 8, v5
	v_mul_u32_u24_e32 v14, 0x84, v5
	v_mad_u32_u24 v22, 0x84, v5, v13
	s_mov_b32 s9, exec_lo
	s_waitcnt vmcnt(0)
	ds_write_b32 v22, v21
	v_cmpx_gt_i32_e64 s18, v15
	s_cbranch_execz .LBB85_60
; %bb.59:
	v_add_co_u32 v21, s8, v2, s26
	v_add_co_ci_u32_e64 v22, null, s27, v3, s8
	global_load_dword v23, v[21:22], off
.LBB85_60:
	s_or_b32 exec_lo, exec_lo, s9
	v_add_nc_u32_e32 v21, 0x420, v14
	v_add_nc_u32_e32 v22, 16, v5
	v_mov_b32_e32 v27, 0
	v_mov_b32_e32 v28, 0
	s_mov_b32 s9, exec_lo
	v_add_nc_u32_e32 v25, v13, v21
	s_waitcnt vmcnt(0)
	ds_write_b32 v25, v23
	v_cmpx_gt_i32_e64 s18, v22
	s_cbranch_execz .LBB85_62
; %bb.61:
	s_lshl_b64 s[26:27], s[12:13], 6
	v_add_co_u32 v28, s8, v2, s26
	v_add_co_ci_u32_e64 v29, null, s27, v3, s8
	global_load_dword v28, v[28:29], off
.LBB85_62:
	s_or_b32 exec_lo, exec_lo, s9
	v_add_nc_u32_e32 v23, 0x420, v21
	v_add_nc_u32_e32 v25, 24, v5
	s_mov_b32 s9, exec_lo
	v_add_nc_u32_e32 v5, v13, v23
	s_waitcnt vmcnt(0)
	ds_write_b32 v5, v28
	v_cmpx_gt_i32_e64 s18, v25
	s_cbranch_execz .LBB85_64
; %bb.63:
	v_mad_u64_u32 v[27:28], null, 0x60, s12, v[2:3]
	v_mov_b32_e32 v5, v28
	v_mad_u64_u32 v[28:29], null, 0x60, s13, v[5:6]
	global_load_dword v27, v[27:28], off
.LBB85_64:
	s_or_b32 exec_lo, exec_lo, s9
	v_add_co_u32 v2, s8, v2, v26
	v_add_co_ci_u32_e64 v3, null, 0, v3, s8
	v_sub_co_u32 v2, s8, v2, s10
	v_subrev_co_ci_u32_e64 v5, null, s11, v3, s8
	v_add_nc_u32_e32 v3, 0x420, v23
	v_add_co_u32 v2, s8, 0x84, v2
	v_add_co_ci_u32_e64 v5, null, 0, v5, s8
	v_add_nc_u32_e32 v26, v13, v3
	v_cndmask_b32_e32 v10, v2, v10, vcc_lo
	v_cndmask_b32_e32 v11, v5, v11, vcc_lo
	s_waitcnt vmcnt(0)
	ds_write_b32 v26, v27
.LBB85_65:
	v_add_nc_u32_e32 v2, v13, v14
	v_add_nc_u32_e32 v5, v13, v21
	v_lshlrev_b32_e32 v14, 2, v15
	s_waitcnt lgkmcnt(0)
	s_barrier
	buffer_gl0_inv
	ds_read_b32 v15, v2
	ds_read_b32 v21, v12 offset:4544
	ds_read_b32 v26, v5
	v_lshlrev_b32_e32 v5, 2, v22
	ds_read_b32 v22, v14 offset:4544
	v_add_nc_u32_e32 v2, v13, v23
	v_add_nc_u32_e32 v3, v13, v3
	v_lshlrev_b32_e32 v13, 2, v25
	ds_read_b32 v23, v2
	ds_read_b32 v25, v5 offset:4544
	ds_read_b32 v27, v3
	ds_read_b32 v28, v13 offset:4544
	v_lshl_add_u32 v12, v12, 2, v17
	ds_read_b128 v[2:5], v4 offset:128
	s_waitcnt lgkmcnt(7)
	v_fma_f32 v21, v15, v21, 0
	ds_read2_b32 v[14:15], v12 offset1:1
	ds_read2_b32 v[12:13], v12 offset0:2 offset1:3
	s_waitcnt lgkmcnt(0)
	s_barrier
	buffer_gl0_inv
	v_fmac_f32_e32 v21, v26, v22
	v_fmac_f32_e32 v21, v23, v25
	;; [unrolled: 1-line block ×3, first 2 shown]
	ds_write_b32 v20, v21
	s_waitcnt lgkmcnt(0)
	s_barrier
	buffer_gl0_inv
	s_and_saveexec_b32 s8, s3
	s_cbranch_execz .LBB85_67
; %bb.66:
	ds_read2_b32 v[21:22], v17 offset1:1
	ds_read2_b32 v[25:26], v17 offset0:2 offset1:3
	ds_read2_b32 v[27:28], v17 offset0:4 offset1:5
	;; [unrolled: 1-line block ×3, first 2 shown]
	s_waitcnt lgkmcnt(3)
	v_add_f32_e32 v21, v24, v21
	v_add_f32_e32 v21, v21, v22
	s_waitcnt lgkmcnt(2)
	v_add_f32_e32 v21, v21, v25
	v_add_f32_e32 v21, v21, v26
	;; [unrolled: 3-line block ×4, first 2 shown]
.LBB85_67:
	s_or_b32 exec_lo, exec_lo, s8
	v_fma_f32 v2, v14, v2, 0
	s_barrier
	buffer_gl0_inv
	v_fmac_f32_e32 v2, v15, v3
	v_fmac_f32_e32 v2, v12, v4
	;; [unrolled: 1-line block ×3, first 2 shown]
	ds_write_b32 v20, v2
	s_waitcnt lgkmcnt(0)
	s_barrier
	buffer_gl0_inv
	s_and_saveexec_b32 s3, s2
	s_cbranch_execz .LBB85_69
; %bb.68:
	ds_read2_b32 v[2:3], v17 offset1:1
	ds_read2_b32 v[4:5], v17 offset0:2 offset1:3
	ds_read2_b32 v[12:13], v17 offset0:4 offset1:5
	;; [unrolled: 1-line block ×3, first 2 shown]
	s_waitcnt lgkmcnt(3)
	v_add_f32_e32 v2, v24, v2
	v_add_f32_e32 v2, v2, v3
	s_waitcnt lgkmcnt(2)
	v_add_f32_e32 v2, v2, v4
	v_add_f32_e32 v2, v2, v5
	;; [unrolled: 3-line block ×4, first 2 shown]
.LBB85_69:
	s_or_b32 exec_lo, exec_lo, s3
	s_load_dwordx2 s[2:3], s[4:5], 0x60
	s_mul_hi_u32 s4, s24, s7
	s_mul_i32 s30, s30, s7
	s_mul_i32 s5, s24, s7
	s_add_i32 s4, s4, s30
	s_mul_hi_u32 s7, s5, s25
	s_mul_i32 s8, s4, s25
	s_mul_i32 s4, s5, s25
	s_add_i32 s5, s7, s8
	s_mul_i32 s8, s24, s6
	s_lshl_b64 s[4:5], s[4:5], 2
	v_cmp_le_i32_e32 vcc_lo, s18, v0
	v_lshlrev_b32_e32 v25, 2, v0
	s_waitcnt lgkmcnt(0)
	s_barrier
	buffer_gl0_inv
	s_add_u32 s4, s2, s4
	s_addc_u32 s5, s3, s5
	s_ashr_i32 s9, s8, 31
	s_lshl_b64 s[2:3], s[8:9], 2
	s_add_u32 s7, s4, s2
	s_addc_u32 s24, s5, s3
	s_and_b32 vcc_lo, s31, vcc_lo
	s_cmp_lt_i32 s6, 1
	s_cbranch_scc1 .LBB85_76
; %bb.70:
	v_lshlrev_b32_e32 v4, 2, v1
	v_sub_co_u32 v5, s2, v10, s22
	v_subrev_co_ci_u32_e64 v10, null, s23, v11, s2
	v_mad_u64_u32 v[2:3], null, s12, v4, 0
	v_sub_co_u32 v5, s2, v5, v8
	v_sub_co_ci_u32_e64 v8, null, v10, v9, s2
	s_ashr_i32 s19, s18, 31
	s_mul_i32 s3, s20, s17
	v_mad_u64_u32 v[3:4], null, s13, v4, v[3:4]
	s_lshl_b64 s[8:9], s[18:19], 2
	s_mul_hi_u32 s5, s20, s16
	s_mul_i32 s10, s21, s16
	s_add_i32 s3, s5, s3
	s_mul_i32 s4, s20, s16
	s_add_i32 s5, s3, s10
	v_lshlrev_b64 v[2:3], 2, v[2:3]
	s_mul_i32 s3, s13, 12
	s_mul_hi_u32 s16, s12, 12
	s_mul_hi_u32 s18, s12, 0x48
	s_add_i32 s16, s16, s3
	s_mul_i32 s3, s13, 0x48
	v_add_co_u32 v2, s2, v5, v2
	v_add_co_ci_u32_e64 v3, null, v8, v3, s2
	s_add_i32 s18, s18, s3
	v_add_co_u32 v5, s2, v2, s8
	v_add_co_ci_u32_e64 v8, null, s9, v3, s2
	v_add_co_u32 v2, s2, v2, v25
	v_add_co_ci_u32_e64 v3, null, 0, v3, s2
	v_add_co_u32 v5, s2, 0xffffff7c, v5
	v_add_co_ci_u32_e64 v8, null, -1, v8, s2
	v_add_co_u32 v2, s2, 0xffffff80, v2
	v_add_co_ci_u32_e64 v3, null, -1, v3, s2
	s_mul_i32 s3, s13, 0x4c
	s_mul_hi_u32 s22, s12, 0x4c
	s_mul_hi_u32 s25, s12, 0x88
	s_add_i32 s22, s22, s3
	s_mul_i32 s3, s13, 0x88
	s_mul_hi_u32 s27, s12, 0x8c
	s_add_i32 s25, s25, s3
	s_mul_i32 s3, s13, 0x8c
	v_and_b32_e32 v4, 15, v0
	v_cndmask_b32_e32 v23, v3, v8, vcc_lo
	v_cndmask_b32_e32 v22, v2, v5, vcc_lo
	v_lshrrev_b32_e32 v2, 2, v16
	v_and_b32_e32 v3, 48, v0
	s_lshl_b64 s[4:5], s[4:5], 2
	s_add_i32 s27, s27, s3
	s_mul_i32 s3, s13, 0xc8
	s_mul_hi_u32 s29, s12, 0xc8
	v_sub_co_u32 v26, s2, v6, s4
	s_add_i32 s29, s29, s3
	s_mul_i32 s3, s13, 0xcc
	s_mul_hi_u32 s31, s12, 0xcc
	v_subrev_co_ci_u32_e64 v27, null, s5, v7, s2
	v_and_b32_e32 v2, 0x1ffc, v2
	v_mul_u32_u24_e32 v5, 0x10c, v4
	v_lshlrev_b32_e32 v3, 2, v3
	v_or_b32_e32 v6, 60, v25
	v_and_b32_e32 v7, 0x7ff0, v16
	s_add_i32 s31, s31, s3
	s_mul_i32 s3, s13, 0xc4
	s_mul_hi_u32 s34, s12, 0xc4
	s_mul_hi_u32 s36, s12, 0xc0
	s_add_i32 s34, s34, s3
	s_mul_i32 s3, s13, 0xc0
	s_mul_hi_u32 s38, s12, 0x84
	s_add_i32 s36, s36, s3
	s_mul_i32 s3, s13, 0x84
	v_mov_b32_e32 v21, 0
	v_add_nc_u32_e32 v28, 0x10c0, v25
	v_lshl_add_u32 v29, v1, 4, 0x10c0
	v_add_nc_u32_e32 v30, 0x11c0, v25
	v_mad_u32_u24 v31, 0x430, v1, v25
	v_mad_u32_u24 v32, 0x10c, v4, v2
	v_cmp_gt_u32_e64 s2, 64, v16
	v_mad_u32_u24 v33, 0x10c, v4, v3
	v_mad_u32_u24 v34, 0x10c, v4, v6
	v_add_nc_u32_e32 v35, v5, v7
	s_add_i32 s38, s38, s3
	s_mul_i32 s3, s13, 0x44
	s_mul_hi_u32 s40, s12, 0x44
	s_lshl_b64 s[4:5], s[12:13], 2
	s_lshl_b64 s[8:9], s[12:13], 8
	;; [unrolled: 1-line block ×3, first 2 shown]
	s_mul_i32 s17, s12, 12
	s_mul_i32 s19, s12, 0x48
	;; [unrolled: 1-line block ×10, first 2 shown]
	s_add_i32 s40, s40, s3
	s_mul_i32 s41, s12, 0x44
	s_lshl_b64 s[12:13], s[12:13], 6
	s_mov_b32 s42, 0
	s_branch .LBB85_72
.LBB85_71:                              ;   in Loop: Header=BB85_72 Depth=1
	s_or_b32 exec_lo, exec_lo, s43
	v_fmac_f32_e32 v24, v39, v2
	v_add_co_u32 v22, s3, v22, s8
	v_add_co_ci_u32_e64 v23, null, s9, v23, s3
	v_fmac_f32_e32 v24, v37, v3
	s_add_i32 s6, s6, -1
	s_add_i32 s42, s42, 64
	s_cmp_eq_u32 s6, 0
	s_waitcnt_vscnt null, 0x0
	v_fmac_f32_e32 v24, v36, v4
	s_barrier
	buffer_gl0_inv
	v_fmac_f32_e32 v24, v38, v5
	v_fmac_f32_e32 v24, v43, v6
	;; [unrolled: 1-line block ×13, first 2 shown]
	s_cbranch_scc1 .LBB85_76
.LBB85_72:                              ; =>This Inner Loop Header: Depth=1
	s_and_saveexec_b32 s43, s1
	s_cbranch_execz .LBB85_74
; %bb.73:                               ;   in Loop: Header=BB85_72 Depth=1
	s_mul_i32 s3, s21, s42
	s_mul_hi_u32 s45, s20, s42
	s_mul_i32 s44, s20, s42
	s_add_i32 s45, s45, s3
	s_lshl_b64 s[44:45], s[44:45], 2
	v_add_co_u32 v2, s3, v26, s44
	v_add_co_ci_u32_e64 v3, null, s45, v27, s3
	global_load_dword v2, v[2:3], off
	s_waitcnt vmcnt(0)
	ds_write_b32 v28, v2
.LBB85_74:                              ;   in Loop: Header=BB85_72 Depth=1
	s_or_b32 exec_lo, exec_lo, s43
	v_add_co_u32 v2, s3, v22, s4
	v_add_co_ci_u32_e64 v3, null, s5, v23, s3
	v_add_co_u32 v4, s3, v22, s10
	v_add_co_ci_u32_e64 v5, null, s11, v23, s3
	;; [unrolled: 2-line block ×3, first 2 shown]
	s_waitcnt lgkmcnt(0)
	s_barrier
	buffer_gl0_inv
	s_clause 0x3
	global_load_dword v39, v[22:23], off
	global_load_dword v37, v[2:3], off
	;; [unrolled: 1-line block ×4, first 2 shown]
	ds_read_b32 v12, v30
	ds_read_b128 v[2:5], v29
	v_add_co_u32 v6, s3, v22, s12
	v_add_co_ci_u32_e64 v7, null, s13, v23, s3
	v_add_co_u32 v8, s3, v22, s41
	v_add_co_ci_u32_e64 v9, null, s40, v23, s3
	;; [unrolled: 2-line block ×3, first 2 shown]
	s_waitcnt vmcnt(3) lgkmcnt(1)
	v_mul_f32_e32 v14, v39, v12
	s_waitcnt vmcnt(2)
	v_mul_f32_e32 v15, v37, v12
	s_waitcnt vmcnt(1)
	;; [unrolled: 2-line block ×3, first 2 shown]
	v_mul_f32_e32 v17, v38, v12
	v_add_co_u32 v12, s3, v22, s23
	v_add_co_ci_u32_e64 v13, null, s22, v23, s3
	ds_write2_b32 v31, v14, v15 offset1:67
	ds_write2_b32 v31, v16, v17 offset0:134 offset1:201
	s_waitcnt lgkmcnt(0)
	s_barrier
	buffer_gl0_inv
	ds_read2_b32 v[52:53], v35 offset1:1
	ds_read2_b32 v[54:55], v35 offset0:2 offset1:3
	s_waitcnt lgkmcnt(0)
	s_barrier
	buffer_gl0_inv
	s_clause 0x3
	global_load_dword v43, v[6:7], off
	global_load_dword v41, v[8:9], off
	global_load_dword v40, v[10:11], off
	global_load_dword v42, v[12:13], off
	ds_read_b32 v16, v30
	ds_read_b128 v[6:9], v29 offset:64
	v_add_co_u32 v10, s3, v22, s14
	v_add_co_ci_u32_e64 v11, null, s15, v23, s3
	v_add_co_u32 v12, s3, v22, s39
	v_add_co_ci_u32_e64 v13, null, s38, v23, s3
	;; [unrolled: 2-line block ×3, first 2 shown]
	s_waitcnt vmcnt(3) lgkmcnt(1)
	v_mul_f32_e32 v20, v43, v16
	s_waitcnt vmcnt(2)
	v_mul_f32_e32 v44, v41, v16
	s_waitcnt vmcnt(1)
	;; [unrolled: 2-line block ×3, first 2 shown]
	v_mul_f32_e32 v46, v42, v16
	v_add_co_u32 v16, s3, v22, s28
	v_add_co_ci_u32_e64 v17, null, s27, v23, s3
	ds_write2_b32 v31, v20, v44 offset1:67
	ds_write2_b32 v31, v45, v46 offset0:134 offset1:201
	s_waitcnt lgkmcnt(0)
	s_barrier
	buffer_gl0_inv
	ds_read2_b32 v[56:57], v35 offset1:1
	ds_read2_b32 v[58:59], v35 offset0:2 offset1:3
	s_waitcnt lgkmcnt(0)
	s_barrier
	buffer_gl0_inv
	s_clause 0x3
	global_load_dword v47, v[10:11], off
	global_load_dword v45, v[12:13], off
	;; [unrolled: 1-line block ×4, first 2 shown]
	ds_read_b32 v20, v30
	ds_read_b128 v[10:13], v29 offset:128
	v_add_co_u32 v14, s3, v22, s37
	v_add_co_ci_u32_e64 v15, null, s36, v23, s3
	v_add_co_u32 v16, s3, v22, s35
	v_add_co_ci_u32_e64 v17, null, s34, v23, s3
	;; [unrolled: 2-line block ×4, first 2 shown]
	s_waitcnt vmcnt(3) lgkmcnt(1)
	v_mul_f32_e32 v50, v47, v20
	s_waitcnt vmcnt(2)
	v_mul_f32_e32 v51, v45, v20
	s_waitcnt vmcnt(1)
	;; [unrolled: 2-line block ×3, first 2 shown]
	v_mul_f32_e32 v20, v46, v20
	ds_write2_b32 v31, v50, v51 offset1:67
	ds_write2_b32 v31, v62, v20 offset0:134 offset1:201
	s_waitcnt lgkmcnt(0)
	s_barrier
	buffer_gl0_inv
	ds_read2_b32 v[62:63], v35 offset1:1
	ds_read2_b32 v[64:65], v35 offset0:2 offset1:3
	s_waitcnt lgkmcnt(0)
	s_barrier
	buffer_gl0_inv
	s_clause 0x3
	global_load_dword v51, v[14:15], off
	global_load_dword v50, v[16:17], off
	global_load_dword v49, v[48:49], off
	global_load_dword v48, v[60:61], off
	ds_read_b32 v20, v30
	ds_read_b128 v[14:17], v29 offset:192
	s_waitcnt vmcnt(3) lgkmcnt(1)
	v_mul_f32_e32 v60, v51, v20
	s_waitcnt vmcnt(2)
	v_mul_f32_e32 v61, v50, v20
	s_waitcnt vmcnt(1)
	;; [unrolled: 2-line block ×3, first 2 shown]
	v_mul_f32_e32 v20, v48, v20
	ds_write2_b32 v31, v60, v61 offset1:67
	ds_write2_b32 v31, v66, v20 offset0:134 offset1:201
	s_waitcnt lgkmcnt(0)
	s_barrier
	buffer_gl0_inv
	ds_read2_b32 v[60:61], v35 offset1:1
	ds_read2_b32 v[66:67], v35 offset0:2 offset1:3
	v_add_f32_e32 v20, 0, v52
	v_add_f32_e32 v52, 0, v56
	;; [unrolled: 1-line block ×3, first 2 shown]
	s_waitcnt lgkmcnt(0)
	s_barrier
	v_add_f32_e32 v20, v20, v53
	v_add_f32_e32 v52, v52, v57
	;; [unrolled: 1-line block ×3, first 2 shown]
	buffer_gl0_inv
	v_add_f32_e32 v20, v20, v54
	v_add_f32_e32 v52, v52, v58
	;; [unrolled: 1-line block ×10, first 2 shown]
	ds_write2_b32 v32, v20, v52 offset1:16
	ds_write2_b32 v32, v53, v54 offset0:32 offset1:48
	s_waitcnt lgkmcnt(0)
	s_barrier
	buffer_gl0_inv
	s_and_saveexec_b32 s43, s2
	s_cbranch_execz .LBB85_71
; %bb.75:                               ;   in Loop: Header=BB85_72 Depth=1
	ds_read2_b32 v[52:53], v33 offset1:1
	ds_read2_b32 v[54:55], v33 offset0:2 offset1:3
	ds_read2_b32 v[56:57], v33 offset0:4 offset1:5
	;; [unrolled: 1-line block ×3, first 2 shown]
	s_waitcnt lgkmcnt(3)
	v_add_f32_e32 v20, v52, v53
	ds_read2_b32 v[52:53], v33 offset0:8 offset1:9
	s_waitcnt lgkmcnt(3)
	v_add_f32_e32 v20, v20, v54
	v_add_f32_e32 v20, v20, v55
	ds_read2_b32 v[54:55], v33 offset0:10 offset1:11
	s_waitcnt lgkmcnt(3)
	v_add_f32_e32 v20, v20, v56
	v_add_f32_e32 v20, v20, v57
	s_waitcnt lgkmcnt(2)
	v_add_f32_e32 v20, v20, v58
	ds_read2_b32 v[56:57], v33 offset0:12 offset1:13
	ds_read_b32 v58, v33 offset:56
	v_add_f32_e32 v20, v20, v59
	s_waitcnt lgkmcnt(3)
	v_add_f32_e32 v20, v20, v52
	v_add_f32_e32 v20, v20, v53
	s_waitcnt lgkmcnt(2)
	v_add_f32_e32 v20, v20, v54
	ds_read_b32 v54, v34
	v_add_f32_e32 v20, v20, v55
	s_waitcnt lgkmcnt(2)
	v_add_f32_e32 v20, v20, v56
	v_add_f32_e32 v52, v20, v57
	v_add_nc_u32_e32 v20, s42, v0
	s_waitcnt lgkmcnt(1)
	v_add_f32_e32 v55, v52, v58
	v_lshlrev_b64 v[52:53], 2, v[20:21]
	s_waitcnt lgkmcnt(0)
	v_add_f32_e32 v20, v55, v54
	v_add_co_u32 v52, s3, s7, v52
	v_add_co_ci_u32_e64 v53, null, s24, v53, s3
	global_store_dword v[52:53], v20, off
	s_branch .LBB85_71
.LBB85_76:
	v_mad_u32_u24 v0, 0x10c, v1, v25
	s_nor_b32 s0, s0, vcc_lo
	ds_write_b32 v0, v24
	s_waitcnt lgkmcnt(0)
	s_barrier
	buffer_gl0_inv
	s_and_saveexec_b32 s1, s0
	s_cbranch_execz .LBB85_78
; %bb.77:
	ds_read2_b32 v[0:1], v25 offset1:67
	ds_read2_b32 v[2:3], v25 offset0:134 offset1:201
	s_waitcnt lgkmcnt(1)
	v_add_f32_e32 v0, v0, v1
	s_waitcnt lgkmcnt(0)
	v_add_f32_e32 v2, v0, v2
	v_lshlrev_b64 v[0:1], 2, v[18:19]
	v_add_f32_e32 v2, v2, v3
	v_add_co_u32 v0, vcc_lo, s7, v0
	v_add_co_ci_u32_e64 v1, null, s24, v1, vcc_lo
	global_store_dword v[0:1], v2, off
.LBB85_78:
	s_endpgm
	.section	.rodata,"a",@progbits
	.p2align	6, 0x0
	.amdhsa_kernel _ZL26rocblas_hemvn_kernel_lowerILb0ELi64ELi4ELi33ELi32ELi16ElfPKfPfEviT6_lT7_lT5_lS4_lS5_lS3_lT8_i
		.amdhsa_group_segment_fixed_size 4800
		.amdhsa_private_segment_fixed_size 0
		.amdhsa_kernarg_size 368
		.amdhsa_user_sgpr_count 6
		.amdhsa_user_sgpr_private_segment_buffer 1
		.amdhsa_user_sgpr_dispatch_ptr 0
		.amdhsa_user_sgpr_queue_ptr 0
		.amdhsa_user_sgpr_kernarg_segment_ptr 1
		.amdhsa_user_sgpr_dispatch_id 0
		.amdhsa_user_sgpr_flat_scratch_init 0
		.amdhsa_user_sgpr_private_segment_size 0
		.amdhsa_wavefront_size32 1
		.amdhsa_uses_dynamic_stack 0
		.amdhsa_system_sgpr_private_segment_wavefront_offset 0
		.amdhsa_system_sgpr_workgroup_id_x 1
		.amdhsa_system_sgpr_workgroup_id_y 0
		.amdhsa_system_sgpr_workgroup_id_z 1
		.amdhsa_system_sgpr_workgroup_info 0
		.amdhsa_system_vgpr_workitem_id 1
		.amdhsa_next_free_vgpr 68
		.amdhsa_next_free_sgpr 46
		.amdhsa_reserve_vcc 1
		.amdhsa_reserve_flat_scratch 0
		.amdhsa_float_round_mode_32 0
		.amdhsa_float_round_mode_16_64 0
		.amdhsa_float_denorm_mode_32 3
		.amdhsa_float_denorm_mode_16_64 3
		.amdhsa_dx10_clamp 1
		.amdhsa_ieee_mode 1
		.amdhsa_fp16_overflow 0
		.amdhsa_workgroup_processor_mode 1
		.amdhsa_memory_ordered 1
		.amdhsa_forward_progress 1
		.amdhsa_shared_vgpr_count 0
		.amdhsa_exception_fp_ieee_invalid_op 0
		.amdhsa_exception_fp_denorm_src 0
		.amdhsa_exception_fp_ieee_div_zero 0
		.amdhsa_exception_fp_ieee_overflow 0
		.amdhsa_exception_fp_ieee_underflow 0
		.amdhsa_exception_fp_ieee_inexact 0
		.amdhsa_exception_int_div_zero 0
	.end_amdhsa_kernel
	.section	.text._ZL26rocblas_hemvn_kernel_lowerILb0ELi64ELi4ELi33ELi32ELi16ElfPKfPfEviT6_lT7_lT5_lS4_lS5_lS3_lT8_i,"axG",@progbits,_ZL26rocblas_hemvn_kernel_lowerILb0ELi64ELi4ELi33ELi32ELi16ElfPKfPfEviT6_lT7_lT5_lS4_lS5_lS3_lT8_i,comdat
.Lfunc_end85:
	.size	_ZL26rocblas_hemvn_kernel_lowerILb0ELi64ELi4ELi33ELi32ELi16ElfPKfPfEviT6_lT7_lT5_lS4_lS5_lS3_lT8_i, .Lfunc_end85-_ZL26rocblas_hemvn_kernel_lowerILb0ELi64ELi4ELi33ELi32ELi16ElfPKfPfEviT6_lT7_lT5_lS4_lS5_lS3_lT8_i
                                        ; -- End function
	.set _ZL26rocblas_hemvn_kernel_lowerILb0ELi64ELi4ELi33ELi32ELi16ElfPKfPfEviT6_lT7_lT5_lS4_lS5_lS3_lT8_i.num_vgpr, 68
	.set _ZL26rocblas_hemvn_kernel_lowerILb0ELi64ELi4ELi33ELi32ELi16ElfPKfPfEviT6_lT7_lT5_lS4_lS5_lS3_lT8_i.num_agpr, 0
	.set _ZL26rocblas_hemvn_kernel_lowerILb0ELi64ELi4ELi33ELi32ELi16ElfPKfPfEviT6_lT7_lT5_lS4_lS5_lS3_lT8_i.numbered_sgpr, 46
	.set _ZL26rocblas_hemvn_kernel_lowerILb0ELi64ELi4ELi33ELi32ELi16ElfPKfPfEviT6_lT7_lT5_lS4_lS5_lS3_lT8_i.num_named_barrier, 0
	.set _ZL26rocblas_hemvn_kernel_lowerILb0ELi64ELi4ELi33ELi32ELi16ElfPKfPfEviT6_lT7_lT5_lS4_lS5_lS3_lT8_i.private_seg_size, 0
	.set _ZL26rocblas_hemvn_kernel_lowerILb0ELi64ELi4ELi33ELi32ELi16ElfPKfPfEviT6_lT7_lT5_lS4_lS5_lS3_lT8_i.uses_vcc, 1
	.set _ZL26rocblas_hemvn_kernel_lowerILb0ELi64ELi4ELi33ELi32ELi16ElfPKfPfEviT6_lT7_lT5_lS4_lS5_lS3_lT8_i.uses_flat_scratch, 0
	.set _ZL26rocblas_hemvn_kernel_lowerILb0ELi64ELi4ELi33ELi32ELi16ElfPKfPfEviT6_lT7_lT5_lS4_lS5_lS3_lT8_i.has_dyn_sized_stack, 0
	.set _ZL26rocblas_hemvn_kernel_lowerILb0ELi64ELi4ELi33ELi32ELi16ElfPKfPfEviT6_lT7_lT5_lS4_lS5_lS3_lT8_i.has_recursion, 0
	.set _ZL26rocblas_hemvn_kernel_lowerILb0ELi64ELi4ELi33ELi32ELi16ElfPKfPfEviT6_lT7_lT5_lS4_lS5_lS3_lT8_i.has_indirect_call, 0
	.section	.AMDGPU.csdata,"",@progbits
; Kernel info:
; codeLenInByte = 6180
; TotalNumSgprs: 48
; NumVgprs: 68
; ScratchSize: 0
; MemoryBound: 0
; FloatMode: 240
; IeeeMode: 1
; LDSByteSize: 4800 bytes/workgroup (compile time only)
; SGPRBlocks: 0
; VGPRBlocks: 8
; NumSGPRsForWavesPerEU: 48
; NumVGPRsForWavesPerEU: 68
; Occupancy: 12
; WaveLimiterHint : 1
; COMPUTE_PGM_RSRC2:SCRATCH_EN: 0
; COMPUTE_PGM_RSRC2:USER_SGPR: 6
; COMPUTE_PGM_RSRC2:TRAP_HANDLER: 0
; COMPUTE_PGM_RSRC2:TGID_X_EN: 1
; COMPUTE_PGM_RSRC2:TGID_Y_EN: 0
; COMPUTE_PGM_RSRC2:TGID_Z_EN: 1
; COMPUTE_PGM_RSRC2:TIDIG_COMP_CNT: 1
	.section	.text._ZL36rocblas_hemvn_kernel_lower_block_sumILi64ElfPffEviT1_lS1_lT2_lT0_lPT3_i,"axG",@progbits,_ZL36rocblas_hemvn_kernel_lower_block_sumILi64ElfPffEviT1_lS1_lT2_lT0_lPT3_i,comdat
	.globl	_ZL36rocblas_hemvn_kernel_lower_block_sumILi64ElfPffEviT1_lS1_lT2_lT0_lPT3_i ; -- Begin function _ZL36rocblas_hemvn_kernel_lower_block_sumILi64ElfPffEviT1_lS1_lT2_lT0_lPT3_i
	.p2align	8
	.type	_ZL36rocblas_hemvn_kernel_lower_block_sumILi64ElfPffEviT1_lS1_lT2_lT0_lPT3_i,@function
_ZL36rocblas_hemvn_kernel_lower_block_sumILi64ElfPffEviT1_lS1_lT2_lT0_lPT3_i: ; @_ZL36rocblas_hemvn_kernel_lower_block_sumILi64ElfPffEviT1_lS1_lT2_lT0_lPT3_i
; %bb.0:
	s_clause 0x1
	s_load_dwordx2 s[8:9], s[4:5], 0x0
	s_load_dword s12, s[4:5], 0x10
	s_mov_b32 s13, 0
	s_waitcnt lgkmcnt(0)
	v_cmp_eq_f32_e64 s0, s9, 0
	v_cmp_eq_f32_e64 s1, s12, 1.0
	s_and_b32 s0, s0, s1
	s_and_b32 vcc_lo, exec_lo, s0
	s_cbranch_vccnz .LBB86_19
; %bb.1:
	s_clause 0x2
	s_load_dwordx2 s[10:11], s[4:5], 0x38
	s_load_dwordx2 s[14:15], s[4:5], 0x20
	s_load_dwordx4 s[0:3], s[4:5], 0x28
	v_lshl_or_b32 v0, s6, 6, v0
	s_waitcnt lgkmcnt(0)
	s_mul_i32 s11, s11, s7
	s_mul_hi_u32 s16, s10, s7
	s_mul_i32 s10, s10, s7
	s_add_i32 s11, s16, s11
	v_cmp_neq_f32_e64 s16, s9, 0
	s_lshl_b64 s[10:11], s[10:11], 2
	s_add_u32 s10, s14, s10
	s_addc_u32 s11, s15, s11
	s_lshl_b64 s[0:1], s[0:1], 2
	s_add_u32 s10, s10, s0
	v_cmp_gt_i32_e64 s0, s8, v0
	s_addc_u32 s11, s11, s1
	s_and_b32 vcc_lo, exec_lo, s16
	s_cbranch_vccnz .LBB86_6
; %bb.2:
	s_mov_b32 s1, 0
                                        ; implicit-def: $vgpr3
                                        ; implicit-def: $vgpr1_vgpr2
	s_and_saveexec_b32 s14, s0
	s_cbranch_execz .LBB86_7
; %bb.3:
	v_ashrrev_i32_e32 v3, 31, v0
	v_mul_lo_u32 v4, s3, v0
	v_mad_u64_u32 v[1:2], null, s2, v0, 0
	v_cmp_eq_f32_e64 s0, s12, 0
	v_mul_lo_u32 v5, s2, v3
	v_mov_b32_e32 v3, 0
	s_and_b32 vcc_lo, exec_lo, s0
	v_add3_u32 v2, v2, v5, v4
	s_cbranch_vccnz .LBB86_5
; %bb.4:
	v_lshlrev_b64 v[3:4], 2, v[1:2]
	v_add_co_u32 v3, vcc_lo, s10, v3
	v_add_co_ci_u32_e64 v4, null, s11, v4, vcc_lo
	global_load_dword v3, v[3:4], off
	s_waitcnt vmcnt(0)
	v_mul_f32_e32 v3, s12, v3
.LBB86_5:
	s_mov_b32 s13, exec_lo
	s_or_b32 exec_lo, exec_lo, s14
	s_and_b32 vcc_lo, exec_lo, s1
	s_cbranch_vccnz .LBB86_8
	s_branch .LBB86_17
.LBB86_6:
                                        ; implicit-def: $vgpr3
                                        ; implicit-def: $vgpr1_vgpr2
	s_cbranch_execnz .LBB86_8
	s_branch .LBB86_17
.LBB86_7:
	s_or_b32 exec_lo, exec_lo, s14
	s_and_b32 vcc_lo, exec_lo, s1
	s_cbranch_vccz .LBB86_17
.LBB86_8:
	s_mov_b32 s14, exec_lo
                                        ; implicit-def: $vgpr3
                                        ; implicit-def: $vgpr1_vgpr2
	v_cmpx_gt_i32_e64 s8, v0
	s_cbranch_execz .LBB86_16
; %bb.9:
	s_load_dword s15, s[4:5], 0x50
	v_mov_b32_e32 v4, 0
	s_waitcnt lgkmcnt(0)
	s_cmp_ge_i32 s6, s15
	s_cbranch_scc1 .LBB86_12
; %bb.10:
	s_load_dwordx2 s[0:1], s[4:5], 0x40
	v_mad_u64_u32 v[1:2], null, s8, s6, v[0:1]
	s_ashr_i32 s5, s8, 31
	s_mul_hi_u32 s4, s8, s7
	s_mul_i32 s16, s5, s7
	s_mul_i32 s7, s8, s7
	s_add_i32 s4, s4, s16
	s_mul_hi_u32 s17, s7, s15
	v_ashrrev_i32_e32 v2, 31, v1
	s_mul_i32 s4, s4, s15
	s_mul_i32 s16, s7, s15
	s_add_i32 s17, s17, s4
	v_mov_b32_e32 v4, 0
	v_lshlrev_b64 v[1:2], 2, v[1:2]
	s_lshl_b64 s[16:17], s[16:17], 2
	s_mov_b32 s4, s8
	s_waitcnt lgkmcnt(0)
	s_add_u32 s0, s0, s16
	s_addc_u32 s1, s1, s17
	v_add_co_u32 v1, vcc_lo, s0, v1
	v_add_co_ci_u32_e64 v2, null, s1, v2, vcc_lo
	s_lshl_b64 s[0:1], s[4:5], 2
.LBB86_11:                              ; =>This Inner Loop Header: Depth=1
	global_load_dword v3, v[1:2], off
	v_add_co_u32 v1, vcc_lo, v1, s0
	v_add_co_ci_u32_e64 v2, null, s1, v2, vcc_lo
	s_add_i32 s6, s6, 1
	s_cmp_ge_i32 s6, s15
	s_waitcnt vmcnt(0)
	v_add_f32_e32 v4, v4, v3
	s_cbranch_scc0 .LBB86_11
.LBB86_12:
	v_ashrrev_i32_e32 v1, 31, v0
	v_mul_lo_u32 v5, s3, v0
	v_cmp_eq_f32_e64 s0, s12, 0
	v_mul_lo_u32 v6, s2, v1
	s_and_b32 vcc_lo, exec_lo, s0
	s_mov_b32 s0, 0
	s_cbranch_vccz .LBB86_20
; %bb.13:
	v_mad_u64_u32 v[1:2], null, s2, v0, 0
	v_mul_f32_e32 v3, s9, v4
	v_add3_u32 v2, v2, v6, v5
	s_andn2_b32 vcc_lo, exec_lo, s0
	s_cbranch_vccnz .LBB86_15
.LBB86_14:
	v_mad_u64_u32 v[1:2], null, s2, v0, 0
	v_add3_u32 v2, v2, v6, v5
	v_lshlrev_b64 v[5:6], 2, v[1:2]
	v_add_co_u32 v5, vcc_lo, s10, v5
	v_add_co_ci_u32_e64 v6, null, s11, v6, vcc_lo
	global_load_dword v0, v[5:6], off
	s_waitcnt vmcnt(0)
	v_mul_f32_e32 v3, s12, v0
	v_fmac_f32_e32 v3, s9, v4
.LBB86_15:
	s_or_b32 s13, s13, exec_lo
.LBB86_16:
	s_or_b32 exec_lo, exec_lo, s14
.LBB86_17:
	s_and_saveexec_b32 s0, s13
	s_cbranch_execz .LBB86_19
; %bb.18:
	v_lshlrev_b64 v[0:1], 2, v[1:2]
	v_add_co_u32 v0, vcc_lo, s10, v0
	v_add_co_ci_u32_e64 v1, null, s11, v1, vcc_lo
	global_store_dword v[0:1], v3, off
.LBB86_19:
	s_endpgm
.LBB86_20:
                                        ; implicit-def: $vgpr3
                                        ; implicit-def: $vgpr1_vgpr2
	s_branch .LBB86_14
	.section	.rodata,"a",@progbits
	.p2align	6, 0x0
	.amdhsa_kernel _ZL36rocblas_hemvn_kernel_lower_block_sumILi64ElfPffEviT1_lS1_lT2_lT0_lPT3_i
		.amdhsa_group_segment_fixed_size 0
		.amdhsa_private_segment_fixed_size 0
		.amdhsa_kernarg_size 336
		.amdhsa_user_sgpr_count 6
		.amdhsa_user_sgpr_private_segment_buffer 1
		.amdhsa_user_sgpr_dispatch_ptr 0
		.amdhsa_user_sgpr_queue_ptr 0
		.amdhsa_user_sgpr_kernarg_segment_ptr 1
		.amdhsa_user_sgpr_dispatch_id 0
		.amdhsa_user_sgpr_flat_scratch_init 0
		.amdhsa_user_sgpr_private_segment_size 0
		.amdhsa_wavefront_size32 1
		.amdhsa_uses_dynamic_stack 0
		.amdhsa_system_sgpr_private_segment_wavefront_offset 0
		.amdhsa_system_sgpr_workgroup_id_x 1
		.amdhsa_system_sgpr_workgroup_id_y 0
		.amdhsa_system_sgpr_workgroup_id_z 1
		.amdhsa_system_sgpr_workgroup_info 0
		.amdhsa_system_vgpr_workitem_id 0
		.amdhsa_next_free_vgpr 7
		.amdhsa_next_free_sgpr 18
		.amdhsa_reserve_vcc 1
		.amdhsa_reserve_flat_scratch 0
		.amdhsa_float_round_mode_32 0
		.amdhsa_float_round_mode_16_64 0
		.amdhsa_float_denorm_mode_32 3
		.amdhsa_float_denorm_mode_16_64 3
		.amdhsa_dx10_clamp 1
		.amdhsa_ieee_mode 1
		.amdhsa_fp16_overflow 0
		.amdhsa_workgroup_processor_mode 1
		.amdhsa_memory_ordered 1
		.amdhsa_forward_progress 1
		.amdhsa_shared_vgpr_count 0
		.amdhsa_exception_fp_ieee_invalid_op 0
		.amdhsa_exception_fp_denorm_src 0
		.amdhsa_exception_fp_ieee_div_zero 0
		.amdhsa_exception_fp_ieee_overflow 0
		.amdhsa_exception_fp_ieee_underflow 0
		.amdhsa_exception_fp_ieee_inexact 0
		.amdhsa_exception_int_div_zero 0
	.end_amdhsa_kernel
	.section	.text._ZL36rocblas_hemvn_kernel_lower_block_sumILi64ElfPffEviT1_lS1_lT2_lT0_lPT3_i,"axG",@progbits,_ZL36rocblas_hemvn_kernel_lower_block_sumILi64ElfPffEviT1_lS1_lT2_lT0_lPT3_i,comdat
.Lfunc_end86:
	.size	_ZL36rocblas_hemvn_kernel_lower_block_sumILi64ElfPffEviT1_lS1_lT2_lT0_lPT3_i, .Lfunc_end86-_ZL36rocblas_hemvn_kernel_lower_block_sumILi64ElfPffEviT1_lS1_lT2_lT0_lPT3_i
                                        ; -- End function
	.set _ZL36rocblas_hemvn_kernel_lower_block_sumILi64ElfPffEviT1_lS1_lT2_lT0_lPT3_i.num_vgpr, 7
	.set _ZL36rocblas_hemvn_kernel_lower_block_sumILi64ElfPffEviT1_lS1_lT2_lT0_lPT3_i.num_agpr, 0
	.set _ZL36rocblas_hemvn_kernel_lower_block_sumILi64ElfPffEviT1_lS1_lT2_lT0_lPT3_i.numbered_sgpr, 18
	.set _ZL36rocblas_hemvn_kernel_lower_block_sumILi64ElfPffEviT1_lS1_lT2_lT0_lPT3_i.num_named_barrier, 0
	.set _ZL36rocblas_hemvn_kernel_lower_block_sumILi64ElfPffEviT1_lS1_lT2_lT0_lPT3_i.private_seg_size, 0
	.set _ZL36rocblas_hemvn_kernel_lower_block_sumILi64ElfPffEviT1_lS1_lT2_lT0_lPT3_i.uses_vcc, 1
	.set _ZL36rocblas_hemvn_kernel_lower_block_sumILi64ElfPffEviT1_lS1_lT2_lT0_lPT3_i.uses_flat_scratch, 0
	.set _ZL36rocblas_hemvn_kernel_lower_block_sumILi64ElfPffEviT1_lS1_lT2_lT0_lPT3_i.has_dyn_sized_stack, 0
	.set _ZL36rocblas_hemvn_kernel_lower_block_sumILi64ElfPffEviT1_lS1_lT2_lT0_lPT3_i.has_recursion, 0
	.set _ZL36rocblas_hemvn_kernel_lower_block_sumILi64ElfPffEviT1_lS1_lT2_lT0_lPT3_i.has_indirect_call, 0
	.section	.AMDGPU.csdata,"",@progbits
; Kernel info:
; codeLenInByte = 684
; TotalNumSgprs: 20
; NumVgprs: 7
; ScratchSize: 0
; MemoryBound: 0
; FloatMode: 240
; IeeeMode: 1
; LDSByteSize: 0 bytes/workgroup (compile time only)
; SGPRBlocks: 0
; VGPRBlocks: 0
; NumSGPRsForWavesPerEU: 20
; NumVGPRsForWavesPerEU: 7
; Occupancy: 16
; WaveLimiterHint : 0
; COMPUTE_PGM_RSRC2:SCRATCH_EN: 0
; COMPUTE_PGM_RSRC2:USER_SGPR: 6
; COMPUTE_PGM_RSRC2:TRAP_HANDLER: 0
; COMPUTE_PGM_RSRC2:TGID_X_EN: 1
; COMPUTE_PGM_RSRC2:TGID_Y_EN: 0
; COMPUTE_PGM_RSRC2:TGID_Z_EN: 1
; COMPUTE_PGM_RSRC2:TIDIG_COMP_CNT: 0
	.section	.text._ZL26rocblas_hemvn_kernel_lowerILb0ELi64ELi4ELi33ELi32ELi16EifPKfPfEviT6_lT7_lT5_lS4_lS5_lS3_lT8_i,"axG",@progbits,_ZL26rocblas_hemvn_kernel_lowerILb0ELi64ELi4ELi33ELi32ELi16EifPKfPfEviT6_lT7_lT5_lS4_lS5_lS3_lT8_i,comdat
	.globl	_ZL26rocblas_hemvn_kernel_lowerILb0ELi64ELi4ELi33ELi32ELi16EifPKfPfEviT6_lT7_lT5_lS4_lS5_lS3_lT8_i ; -- Begin function _ZL26rocblas_hemvn_kernel_lowerILb0ELi64ELi4ELi33ELi32ELi16EifPKfPfEviT6_lT7_lT5_lS4_lS5_lS3_lT8_i
	.p2align	8
	.type	_ZL26rocblas_hemvn_kernel_lowerILb0ELi64ELi4ELi33ELi32ELi16EifPKfPfEviT6_lT7_lT5_lS4_lS5_lS3_lT8_i,@function
_ZL26rocblas_hemvn_kernel_lowerILb0ELi64ELi4ELi33ELi32ELi16EifPKfPfEviT6_lT7_lT5_lS4_lS5_lS3_lT8_i: ; @_ZL26rocblas_hemvn_kernel_lowerILb0ELi64ELi4ELi33ELi32ELi16EifPKfPfEviT6_lT7_lT5_lS4_lS5_lS3_lT8_i
; %bb.0:
	s_load_dwordx2 s[2:3], s[4:5], 0x7c
	s_add_u32 s0, s4, 0x70
	s_addc_u32 s1, s5, 0
	s_waitcnt lgkmcnt(0)
	s_lshr_b32 s8, s2, 16
	s_and_b32 s2, s2, 0xffff
	s_and_b32 s3, s3, 0xffff
	s_mul_i32 s2, s8, s2
	s_mul_i32 s2, s2, s3
	s_cmpk_lg_i32 s2, 0x100
	s_cbranch_scc1 .LBB87_78
; %bb.1:
	s_clause 0x1
	s_load_dwordx2 s[16:17], s[4:5], 0x0
	s_load_dword s3, s[4:5], 0x50
	s_waitcnt lgkmcnt(0)
	v_cmp_eq_f32_e64 s2, s17, 0
	v_cmp_eq_f32_e64 s3, s3, 1.0
	s_and_b32 s3, s2, s3
	s_and_b32 vcc_lo, exec_lo, s3
	s_cbranch_vccnz .LBB87_78
; %bb.2:
	s_and_b32 vcc_lo, exec_lo, s2
	s_cbranch_vccnz .LBB87_78
; %bb.3:
	s_clause 0x3
	s_load_dwordx2 s[2:3], s[4:5], 0x48
	s_load_dwordx4 s[8:11], s[4:5], 0x28
	s_load_dwordx2 s[12:13], s[4:5], 0x38
	s_load_dword s17, s[4:5], 0x40
	s_load_dword s26, s[0:1], 0x0
	v_mov_b32_e32 v2, v1
	s_waitcnt lgkmcnt(0)
	s_mul_i32 s3, s3, s7
	s_mul_hi_u32 s14, s2, s7
	s_mul_i32 s2, s2, s7
	s_add_i32 s3, s14, s3
	s_lshl_b64 s[2:3], s[2:3], 2
	s_add_u32 s10, s10, s2
	s_addc_u32 s11, s11, s3
	s_lshl_b64 s[2:3], s[12:13], 2
	s_add_u32 s2, s10, s2
	s_addc_u32 s3, s11, s3
	s_lshl_b32 s14, s6, 6
	s_ashr_i32 s27, s16, 31
	v_add_nc_u32_e32 v19, s14, v0
	s_lshr_b32 s0, s27, 26
	s_add_i32 s10, s26, -1
	s_add_i32 s1, s16, s0
	v_cmp_ne_u32_e64 s0, 0, v2
	v_mul_lo_u32 v3, s17, v19
	s_andn2_b32 s1, s1, 63
	s_sub_i32 s11, s16, s1
	v_cmp_eq_u32_e64 s1, 0, v2
	s_cmp_eq_u32 s6, s10
	s_cselect_b32 s18, s11, 0
	v_ashrrev_i32_e32 v4, 31, v3
	v_lshlrev_b64 v[3:4], 2, v[3:4]
	v_add_co_u32 v7, vcc_lo, s2, v3
	v_add_co_ci_u32_e64 v8, null, s3, v4, vcc_lo
	s_and_saveexec_b32 s2, s1
	s_cbranch_execz .LBB87_7
; %bb.4:
	v_cmp_gt_i32_e32 vcc_lo, s18, v0
	s_cmp_eq_u32 s18, 0
	v_mov_b32_e32 v1, 0
	s_cselect_b32 s3, -1, 0
	s_or_b32 s10, s3, vcc_lo
	s_and_saveexec_b32 s3, s10
	s_cbranch_execz .LBB87_6
; %bb.5:
	global_load_dword v1, v[7:8], off
.LBB87_6:
	s_or_b32 exec_lo, exec_lo, s3
	v_lshlrev_b32_e32 v3, 2, v0
	s_waitcnt vmcnt(0)
	ds_write_b32 v3, v1 offset:4544
.LBB87_7:
	s_or_b32 exec_lo, exec_lo, s2
	s_clause 0x1
	s_load_dwordx4 s[20:23], s[4:5], 0x10
	s_load_dword s12, s[4:5], 0x20
	v_lshl_add_u32 v17, v2, 6, v0
	v_and_b32_e32 v1, 31, v0
	s_mul_i32 s3, s9, s7
	s_mul_hi_u32 s9, s8, s7
	s_mul_i32 s2, s8, s7
	v_lshrrev_b32_e32 v13, 5, v17
	s_add_i32 s3, s9, s3
	s_lshl_b64 s[2:3], s[2:3], 2
	s_waitcnt lgkmcnt(0)
	s_add_u32 s8, s20, s2
	v_mad_u64_u32 v[3:4], null, s12, v13, v[1:2]
	s_addc_u32 s9, s21, s3
	s_lshl_b64 s[2:3], s[22:23], 2
	s_add_u32 s10, s8, s2
	s_addc_u32 s9, s9, s3
	s_ashr_i32 s15, s14, 31
	v_ashrrev_i32_e32 v4, 31, v3
	s_lshl_b64 s[2:3], s[14:15], 2
	s_mul_i32 s8, s12, s14
	s_add_u32 s2, s10, s2
	s_addc_u32 s3, s9, s3
	v_lshlrev_b64 v[9:10], 2, v[3:4]
	s_ashr_i32 s9, s8, 31
	s_lshl_b64 s[20:21], s[8:9], 2
	s_cmp_lg_u32 s18, 0
	s_cselect_b32 s15, -1, 0
	v_add_co_u32 v3, vcc_lo, s2, v9
	v_add_co_ci_u32_e64 v4, null, s3, v10, vcc_lo
	s_cmp_eq_u32 s18, 0
	v_add_co_u32 v3, vcc_lo, v3, s20
	v_add_co_ci_u32_e64 v4, null, s21, v4, vcc_lo
	s_cselect_b32 s11, -1, 0
	s_and_b32 vcc_lo, exec_lo, s15
	s_mov_b32 s2, -1
	s_cbranch_vccnz .LBB87_9
; %bb.8:
	s_lshl_b32 s2, s12, 3
	s_ashr_i32 s13, s12, 31
	s_ashr_i32 s3, s2, 31
	s_lshl_b64 s[2:3], s[2:3], 2
	v_add_co_u32 v5, vcc_lo, v3, s2
	v_add_co_ci_u32_e64 v6, null, s3, v4, vcc_lo
	s_lshl_b64 s[2:3], s[12:13], 5
	v_add_co_u32 v11, vcc_lo, v5, s2
	v_add_co_ci_u32_e64 v12, null, s3, v6, vcc_lo
	v_add_co_u32 v14, vcc_lo, v11, s2
	v_add_co_ci_u32_e64 v15, null, s3, v12, vcc_lo
	s_clause 0x3
	global_load_dword v16, v[3:4], off
	global_load_dword v5, v[5:6], off
	;; [unrolled: 1-line block ×4, first 2 shown]
	v_mul_u32_u24_e32 v12, 0x84, v13
	s_mov_b32 s2, 0
	v_lshl_add_u32 v12, v1, 2, v12
	s_waitcnt vmcnt(3)
	ds_write_b32 v12, v16
	s_waitcnt vmcnt(2)
	ds_write_b32 v12, v5 offset:1056
	s_waitcnt vmcnt(1)
	ds_write_b32 v12, v6 offset:2112
	;; [unrolled: 2-line block ×3, first 2 shown]
.LBB87_9:
	v_lshlrev_b32_e32 v14, 2, v1
	s_andn2_b32 vcc_lo, exec_lo, s2
	s_cbranch_vccnz .LBB87_19
; %bb.10:
	v_sub_co_u32 v5, vcc_lo, v3, v14
	s_ashr_i32 s19, s18, 31
	v_subrev_co_ci_u32_e64 v6, null, 0, v4, vcc_lo
	s_lshl_b64 s[8:9], s[18:19], 2
	v_mov_b32_e32 v15, 0
	v_add_co_u32 v5, vcc_lo, v5, s8
	v_add_co_ci_u32_e64 v6, null, s9, v6, vcc_lo
	v_mov_b32_e32 v12, 0
	v_add_co_u32 v5, vcc_lo, v5, -4
	v_add_co_ci_u32_e64 v6, null, -1, v6, vcc_lo
	v_cmp_gt_i32_e32 vcc_lo, s18, v1
	s_mov_b32 s3, exec_lo
	v_cndmask_b32_e32 v6, v6, v4, vcc_lo
	v_cndmask_b32_e32 v5, v5, v3, vcc_lo
	v_cmpx_gt_i32_e64 s18, v13
	s_cbranch_execz .LBB87_12
; %bb.11:
	global_load_dword v12, v[5:6], off
.LBB87_12:
	s_or_b32 exec_lo, exec_lo, s3
	v_add_nc_u32_e32 v16, 8, v13
	v_mul_u32_u24_e32 v11, 0x84, v13
	v_mad_u32_u24 v18, 0x84, v13, v14
	s_mov_b32 s3, exec_lo
	s_waitcnt vmcnt(0)
	ds_write_b32 v18, v12
	v_cmpx_gt_i32_e64 s18, v16
	s_cbranch_execz .LBB87_14
; %bb.13:
	s_lshl_b32 s22, s12, 3
	s_ashr_i32 s23, s22, 31
	s_lshl_b64 s[22:23], s[22:23], 2
	v_add_co_u32 v15, s2, v5, s22
	v_add_co_ci_u32_e64 v16, null, s23, v6, s2
	global_load_dword v15, v[15:16], off
.LBB87_14:
	s_or_b32 exec_lo, exec_lo, s3
	v_add_nc_u32_e32 v16, 16, v13
	v_add_nc_u32_e32 v11, v11, v14
	v_mov_b32_e32 v12, 0
	v_cmp_gt_i32_e64 s2, s18, v16
	v_mov_b32_e32 v16, 0
	s_waitcnt vmcnt(0)
	ds_write_b32 v11, v15 offset:1056
	s_and_saveexec_b32 s3, s2
	s_cbranch_execz .LBB87_16
; %bb.15:
	s_lshl_b32 s22, s12, 4
	s_ashr_i32 s23, s22, 31
	s_lshl_b64 s[22:23], s[22:23], 2
	v_add_co_u32 v15, s2, v5, s22
	v_add_co_ci_u32_e64 v16, null, s23, v6, s2
	global_load_dword v16, v[15:16], off
.LBB87_16:
	s_or_b32 exec_lo, exec_lo, s3
	v_add_nc_u32_e32 v15, 24, v13
	s_mov_b32 s3, exec_lo
	s_waitcnt vmcnt(0)
	ds_write_b32 v11, v16 offset:2112
	v_cmpx_gt_i32_e64 s18, v15
	s_cbranch_execz .LBB87_18
; %bb.17:
	s_mul_i32 s22, s12, 24
	s_ashr_i32 s23, s22, 31
	s_lshl_b64 s[22:23], s[22:23], 2
	v_add_co_u32 v15, s2, v5, s22
	v_add_co_ci_u32_e64 v16, null, s23, v6, s2
	global_load_dword v12, v[15:16], off
.LBB87_18:
	s_or_b32 exec_lo, exec_lo, s3
	v_add_co_u32 v5, s2, v5, v14
	v_add_co_ci_u32_e64 v6, null, 0, v6, s2
	s_waitcnt vmcnt(0)
	ds_write_b32 v11, v12 offset:3168
	v_sub_co_u32 v5, s2, v5, s8
	v_subrev_co_ci_u32_e64 v6, null, s9, v6, s2
	v_add_co_u32 v5, s2, v5, 4
	v_add_co_ci_u32_e64 v6, null, 0, v6, s2
	v_cndmask_b32_e32 v3, v5, v3, vcc_lo
	v_cndmask_b32_e32 v4, v6, v4, vcc_lo
.LBB87_19:
	v_lshlrev_b32_e32 v5, 2, v13
	v_lshl_or_b32 v6, v1, 7, v14
	v_mad_u32_u24 v12, 0x210, v13, v14
	s_waitcnt lgkmcnt(0)
	s_barrier
	v_cmp_lt_u32_e64 s3, v5, v1
	buffer_gl0_inv
	s_and_saveexec_b32 s2, s3
	s_cbranch_execz .LBB87_21
; %bb.20:
	ds_read_b32 v11, v12
	v_lshl_add_u32 v15, v5, 2, v6
	s_waitcnt lgkmcnt(0)
	ds_write_b32 v15, v11
.LBB87_21:
	s_or_b32 exec_lo, exec_lo, s2
	v_or_b32_e32 v11, 1, v5
	v_cmp_lt_u32_e64 s8, v11, v1
	v_mad_u32_u24 v15, 0x84, v11, v14
	s_and_saveexec_b32 s2, s8
	s_cbranch_execz .LBB87_23
; %bb.22:
	ds_read_b32 v16, v15
	v_lshl_add_u32 v18, v5, 2, v6
	s_waitcnt lgkmcnt(0)
	ds_write_b32 v18, v16 offset:4
.LBB87_23:
	s_or_b32 exec_lo, exec_lo, s2
	v_or_b32_e32 v16, 2, v5
	v_cmp_lt_u32_e64 s9, v16, v1
	s_and_saveexec_b32 s2, s9
	s_cbranch_execz .LBB87_25
; %bb.24:
	v_mad_u32_u24 v16, 0x84, v16, v14
	v_lshl_add_u32 v18, v5, 2, v6
	ds_read_b32 v16, v16
	s_waitcnt lgkmcnt(0)
	ds_write_b32 v18, v16 offset:8
.LBB87_25:
	s_or_b32 exec_lo, exec_lo, s2
	v_or_b32_e32 v18, 3, v5
	s_mov_b32 s2, exec_lo
                                        ; implicit-def: $vgpr16
	v_cmp_lt_u32_e64 s10, v18, v1
	v_cmpx_ge_u32_e64 v18, v1
	s_xor_b32 s2, exec_lo, s2
; %bb.26:
	v_mul_u32_u24_e32 v16, 0x84, v18
                                        ; implicit-def: $vgpr6
                                        ; implicit-def: $vgpr18
; %bb.27:
	s_andn2_saveexec_b32 s2, s2
	s_cbranch_execz .LBB87_29
; %bb.28:
	v_mad_u32_u24 v16, 0x84, v18, v14
	v_lshl_add_u32 v6, v5, 2, v6
	ds_read_b32 v20, v16
	v_mul_u32_u24_e32 v16, 0x84, v18
	s_waitcnt lgkmcnt(0)
	ds_write_b32 v6, v20 offset:12
.LBB87_29:
	s_or_b32 exec_lo, exec_lo, s2
	v_lshlrev_b32_e32 v6, 2, v5
	s_waitcnt lgkmcnt(0)
	s_barrier
	buffer_gl0_inv
	ds_read_b32 v18, v12
	ds_read_b128 v[20:23], v6 offset:4544
	ds_read2_b32 v[24:25], v15 offset1:33
	v_add_nc_u32_e32 v12, v14, v16
	v_cmp_gt_u32_e64 s2, 32, v17
	ds_read_b32 v15, v12
	s_waitcnt lgkmcnt(0)
	s_barrier
	buffer_gl0_inv
	v_fma_f32 v16, v18, v20, 0
	v_mul_u32_u24_e32 v18, 33, v1
	v_fmac_f32_e32 v16, v24, v21
	v_lshlrev_b32_e32 v18, 2, v18
	v_fmac_f32_e32 v16, v25, v22
	v_mov_b32_e32 v22, 0
	v_lshl_add_u32 v20, v13, 2, v18
	v_fmac_f32_e32 v16, v15, v23
	ds_write_b32 v20, v16
	s_waitcnt lgkmcnt(0)
	s_barrier
	buffer_gl0_inv
	s_and_saveexec_b32 s13, s2
	s_cbranch_execz .LBB87_31
; %bb.30:
	ds_read2_b32 v[15:16], v18 offset1:1
	ds_read2_b32 v[21:22], v18 offset0:2 offset1:3
	ds_read2_b32 v[23:24], v18 offset0:4 offset1:5
	ds_read2_b32 v[25:26], v18 offset0:6 offset1:7
	s_waitcnt lgkmcnt(3)
	v_add_f32_e32 v15, v15, v16
	s_waitcnt lgkmcnt(2)
	v_add_f32_e32 v15, v15, v21
	v_add_f32_e32 v15, v15, v22
	s_waitcnt lgkmcnt(1)
	v_add_f32_e32 v15, v15, v23
	;; [unrolled: 3-line block ×3, first 2 shown]
	v_add_f32_e32 v22, v15, v26
.LBB87_31:
	s_or_b32 exec_lo, exec_lo, s13
	s_lshl_b32 s22, s12, 5
	v_cndmask_b32_e64 v15, 0, 1, s11
	s_ashr_i32 s23, s22, 31
	s_lshl_b64 s[22:23], s[22:23], 2
	s_barrier
	v_add_co_u32 v3, vcc_lo, v3, s22
	v_add_co_ci_u32_e64 v4, null, s23, v4, vcc_lo
	buffer_gl0_inv
	v_add_co_u32 v16, vcc_lo, 0x80, v3
	v_add_co_ci_u32_e64 v21, null, 0, v4, vcc_lo
	s_andn2_b32 vcc_lo, exec_lo, s11
	s_mov_b32 s11, -1
	s_cbranch_vccnz .LBB87_33
; %bb.32:
	s_lshl_b32 s24, s12, 3
	s_ashr_i32 s13, s12, 31
	s_ashr_i32 s25, s24, 31
	s_mov_b32 s11, 0
	s_lshl_b64 s[24:25], s[24:25], 2
	v_add_co_u32 v23, vcc_lo, v3, s24
	v_add_co_ci_u32_e64 v24, null, s25, v4, vcc_lo
	s_lshl_b64 s[24:25], s[12:13], 5
	v_add_co_u32 v25, vcc_lo, v23, s24
	v_add_co_ci_u32_e64 v26, null, s25, v24, vcc_lo
	v_add_co_u32 v27, vcc_lo, v25, s24
	v_add_co_ci_u32_e64 v28, null, s25, v26, vcc_lo
	s_clause 0x3
	global_load_dword v29, v[3:4], off offset:128
	global_load_dword v23, v[23:24], off offset:128
	;; [unrolled: 1-line block ×4, first 2 shown]
	v_mad_u32_u24 v26, 0x84, v13, v14
	s_waitcnt vmcnt(3)
	ds_write_b32 v26, v29
	s_waitcnt vmcnt(2)
	ds_write_b32 v26, v23 offset:1056
	s_waitcnt vmcnt(1)
	ds_write_b32 v26, v24 offset:2112
	;; [unrolled: 2-line block ×3, first 2 shown]
.LBB87_33:
	s_andn2_b32 vcc_lo, exec_lo, s11
	s_cbranch_vccnz .LBB87_43
; %bb.34:
	v_sub_co_u32 v3, vcc_lo, v3, v14
	s_ashr_i32 s19, s18, 31
	v_subrev_co_ci_u32_e64 v4, null, 0, v4, vcc_lo
	s_lshl_b64 s[24:25], s[18:19], 2
	v_or_b32_e32 v23, 32, v1
	v_add_co_u32 v3, vcc_lo, v3, s24
	v_add_co_ci_u32_e64 v4, null, s25, v4, vcc_lo
	v_mov_b32_e32 v24, 0
	v_add_co_u32 v3, vcc_lo, v3, -4
	v_add_co_ci_u32_e64 v4, null, -1, v4, vcc_lo
	v_cmp_gt_i32_e32 vcc_lo, s18, v23
	v_mov_b32_e32 v25, 0
	s_sub_i32 s13, s18, 32
	s_mov_b32 s19, exec_lo
	v_cndmask_b32_e32 v4, v4, v21, vcc_lo
	v_cndmask_b32_e32 v3, v3, v16, vcc_lo
	v_cmpx_gt_i32_e64 s13, v13
	s_cbranch_execz .LBB87_36
; %bb.35:
	global_load_dword v25, v[3:4], off
.LBB87_36:
	s_or_b32 exec_lo, exec_lo, s19
	v_add_nc_u32_e32 v26, 8, v13
	v_mul_u32_u24_e32 v23, 0x84, v13
	v_mad_u32_u24 v27, 0x84, v13, v14
	s_mov_b32 s19, exec_lo
	s_waitcnt vmcnt(0)
	ds_write_b32 v27, v25
	v_cmpx_gt_i32_e64 s13, v26
	s_cbranch_execz .LBB87_38
; %bb.37:
	s_lshl_b32 s28, s12, 3
	s_ashr_i32 s29, s28, 31
	s_lshl_b64 s[28:29], s[28:29], 2
	v_add_co_u32 v24, s11, v3, s28
	v_add_co_ci_u32_e64 v25, null, s29, v4, s11
	global_load_dword v24, v[24:25], off
.LBB87_38:
	s_or_b32 exec_lo, exec_lo, s19
	v_add_nc_u32_e32 v26, 16, v13
	v_add_nc_u32_e32 v23, v23, v14
	v_mov_b32_e32 v25, 0
	v_cmp_gt_i32_e64 s11, s13, v26
	v_mov_b32_e32 v26, 0
	s_waitcnt vmcnt(0)
	ds_write_b32 v23, v24 offset:1056
	s_and_saveexec_b32 s19, s11
	s_cbranch_execz .LBB87_40
; %bb.39:
	s_lshl_b32 s28, s12, 4
	s_ashr_i32 s29, s28, 31
	s_lshl_b64 s[28:29], s[28:29], 2
	v_add_co_u32 v26, s11, v3, s28
	v_add_co_ci_u32_e64 v27, null, s29, v4, s11
	global_load_dword v26, v[26:27], off
.LBB87_40:
	s_or_b32 exec_lo, exec_lo, s19
	v_add_nc_u32_e32 v24, 24, v13
	s_waitcnt vmcnt(0)
	ds_write_b32 v23, v26 offset:2112
	v_cmp_gt_i32_e64 s11, s13, v24
	s_and_saveexec_b32 s13, s11
	s_cbranch_execz .LBB87_42
; %bb.41:
	s_mul_i32 s28, s12, 24
	s_ashr_i32 s29, s28, 31
	s_lshl_b64 s[28:29], s[28:29], 2
	v_add_co_u32 v24, s11, v3, s28
	v_add_co_ci_u32_e64 v25, null, s29, v4, s11
	global_load_dword v25, v[24:25], off
.LBB87_42:
	s_or_b32 exec_lo, exec_lo, s13
	v_add_co_u32 v3, s11, v3, v14
	v_add_co_ci_u32_e64 v4, null, 0, v4, s11
	s_waitcnt vmcnt(0)
	ds_write_b32 v23, v25 offset:3168
	v_sub_co_u32 v3, s11, v3, s24
	v_subrev_co_ci_u32_e64 v4, null, s25, v4, s11
	v_add_co_u32 v3, s11, 0x84, v3
	v_add_co_ci_u32_e64 v4, null, 0, v4, s11
	v_cndmask_b32_e32 v16, v3, v16, vcc_lo
	v_cndmask_b32_e32 v21, v4, v21, vcc_lo
.LBB87_43:
	v_mul_u32_u24_e32 v3, 0x210, v13
	v_add_nc_u32_e32 v6, 0x11c0, v6
	v_mul_u32_u24_e32 v4, 0x84, v11
	s_waitcnt lgkmcnt(0)
	s_barrier
	v_add_nc_u32_e32 v3, v14, v3
	buffer_gl0_inv
	s_and_saveexec_b32 s11, s3
	s_cbranch_execnz .LBB87_52
; %bb.44:
	s_or_b32 exec_lo, exec_lo, s11
	v_add_nc_u32_e32 v4, v14, v4
	s_and_saveexec_b32 s3, s8
	s_cbranch_execnz .LBB87_53
.LBB87_45:
	s_or_b32 exec_lo, exec_lo, s3
	s_and_saveexec_b32 s3, s9
	s_cbranch_execnz .LBB87_54
.LBB87_46:
	s_or_b32 exec_lo, exec_lo, s3
	s_and_saveexec_b32 s3, s10
	s_cbranch_execz .LBB87_48
.LBB87_47:
	ds_read_b32 v11, v12
	v_lshl_add_u32 v23, v5, 2, v18
	s_waitcnt lgkmcnt(0)
	ds_write_b32 v23, v11 offset:12
.LBB87_48:
	s_or_b32 exec_lo, exec_lo, s3
	s_waitcnt lgkmcnt(0)
	s_barrier
	buffer_gl0_inv
	ds_read_b32 v11, v3
	ds_read_b128 v[23:26], v6 offset:128
	ds_read2_b32 v[3:4], v4 offset1:33
	ds_read_b32 v12, v12
	v_cmp_eq_u32_e64 s3, 1, v13
	s_waitcnt lgkmcnt(0)
	s_barrier
	buffer_gl0_inv
	v_fma_f32 v11, v11, v23, 0
	v_fmac_f32_e32 v11, v3, v24
	v_fmac_f32_e32 v11, v4, v25
	;; [unrolled: 1-line block ×3, first 2 shown]
	ds_write_b32 v20, v11
	s_waitcnt lgkmcnt(0)
	s_barrier
	buffer_gl0_inv
	s_and_saveexec_b32 s8, s3
	s_cbranch_execz .LBB87_50
; %bb.49:
	ds_read2_b32 v[3:4], v18 offset1:1
	ds_read2_b32 v[11:12], v18 offset0:2 offset1:3
	ds_read2_b32 v[22:23], v18 offset0:4 offset1:5
	ds_read2_b32 v[24:25], v18 offset0:6 offset1:7
	s_waitcnt lgkmcnt(3)
	v_add_f32_e32 v3, v3, v4
	s_waitcnt lgkmcnt(2)
	v_add_f32_e32 v3, v3, v11
	v_add_f32_e32 v3, v3, v12
	s_waitcnt lgkmcnt(1)
	v_add_f32_e32 v3, v3, v22
	;; [unrolled: 3-line block ×3, first 2 shown]
	v_add_f32_e32 v22, v3, v25
.LBB87_50:
	s_or_b32 exec_lo, exec_lo, s8
	v_cmp_ne_u32_e32 vcc_lo, 1, v15
	v_sub_co_u32 v11, s8, v16, s22
	v_subrev_co_ci_u32_e64 v12, null, s23, v21, s8
	s_barrier
	buffer_gl0_inv
	s_cbranch_vccnz .LBB87_55
; %bb.51:
	s_lshl_b32 s8, s12, 3
	s_ashr_i32 s13, s12, 31
	s_ashr_i32 s9, s8, 31
	global_load_dword v25, v[11:12], off
	s_lshl_b64 s[8:9], s[8:9], 2
	v_add_co_u32 v3, vcc_lo, v11, s8
	v_add_co_ci_u32_e64 v4, null, s9, v12, vcc_lo
	s_lshl_b64 s[8:9], s[12:13], 5
	v_add_co_u32 v15, vcc_lo, v3, s8
	v_add_co_ci_u32_e64 v16, null, s9, v4, vcc_lo
	v_add_co_u32 v23, vcc_lo, v15, s8
	v_add_co_ci_u32_e64 v24, null, s9, v16, vcc_lo
	s_clause 0x2
	global_load_dword v4, v[3:4], off
	global_load_dword v26, v[15:16], off
	;; [unrolled: 1-line block ×3, first 2 shown]
	v_mad_u32_u24 v3, 0x84, v13, v14
	s_movk_i32 s8, 0x420
	s_movk_i32 s9, 0x840
	v_mad_u32_u24 v21, 0x84, v13, s8
	s_movk_i32 s8, 0xc60
	v_mad_u32_u24 v24, 0x84, v13, s9
	v_mul_u32_u24_e32 v15, 0x84, v13
	v_add_nc_u32_e32 v16, 8, v13
	v_add_nc_u32_e32 v28, v14, v21
	;; [unrolled: 1-line block ×4, first 2 shown]
	s_waitcnt vmcnt(3)
	ds_write_b32 v3, v25
	v_mad_u32_u24 v3, 0x84, v13, s8
	v_add_nc_u32_e32 v25, 24, v13
	s_waitcnt vmcnt(2)
	ds_write_b32 v28, v4
	s_waitcnt vmcnt(1)
	ds_write_b32 v29, v26
	v_add_nc_u32_e32 v30, v14, v3
	s_waitcnt vmcnt(0)
	ds_write_b32 v30, v27
	s_cbranch_execz .LBB87_56
	s_branch .LBB87_65
.LBB87_52:
	ds_read_b32 v11, v3
	v_lshl_add_u32 v23, v5, 2, v18
	s_waitcnt lgkmcnt(0)
	ds_write_b32 v23, v11
	s_or_b32 exec_lo, exec_lo, s11
	v_add_nc_u32_e32 v4, v14, v4
	s_and_saveexec_b32 s3, s8
	s_cbranch_execz .LBB87_45
.LBB87_53:
	ds_read_b32 v11, v4
	v_lshl_add_u32 v23, v5, 2, v18
	s_waitcnt lgkmcnt(0)
	ds_write_b32 v23, v11 offset:4
	s_or_b32 exec_lo, exec_lo, s3
	s_and_saveexec_b32 s3, s9
	s_cbranch_execz .LBB87_46
.LBB87_54:
	ds_read_b32 v11, v4 offset:132
	v_lshl_add_u32 v23, v5, 2, v18
	s_waitcnt lgkmcnt(0)
	ds_write_b32 v23, v11 offset:8
	s_or_b32 exec_lo, exec_lo, s3
	s_and_saveexec_b32 s3, s10
	s_cbranch_execnz .LBB87_47
	s_branch .LBB87_48
.LBB87_55:
                                        ; implicit-def: $vgpr15
                                        ; implicit-def: $vgpr16
                                        ; implicit-def: $vgpr21
                                        ; implicit-def: $vgpr23
                                        ; implicit-def: $vgpr24
                                        ; implicit-def: $vgpr25
                                        ; implicit-def: $vgpr3
.LBB87_56:
	v_sub_co_u32 v3, vcc_lo, v11, v14
	s_ashr_i32 s19, s18, 31
	v_subrev_co_ci_u32_e64 v4, null, 0, v12, vcc_lo
	s_lshl_b64 s[10:11], s[18:19], 2
	v_or_b32_e32 v1, 32, v1
	v_add_co_u32 v3, vcc_lo, v3, s10
	v_add_co_ci_u32_e64 v4, null, s11, v4, vcc_lo
	v_mov_b32_e32 v24, 0
	v_add_co_u32 v3, vcc_lo, 0xffffff7c, v3
	v_add_co_ci_u32_e64 v4, null, -1, v4, vcc_lo
	v_cmp_gt_i32_e32 vcc_lo, s18, v1
	v_mov_b32_e32 v1, 0
	s_mov_b32 s9, exec_lo
	v_cndmask_b32_e32 v4, v4, v12, vcc_lo
	v_cndmask_b32_e32 v3, v3, v11, vcc_lo
	v_cmpx_gt_i32_e64 s18, v13
	s_cbranch_execz .LBB87_58
; %bb.57:
	global_load_dword v1, v[3:4], off
.LBB87_58:
	s_or_b32 exec_lo, exec_lo, s9
	v_add_nc_u32_e32 v16, 8, v13
	v_mul_u32_u24_e32 v15, 0x84, v13
	v_mad_u32_u24 v21, 0x84, v13, v14
	s_mov_b32 s9, exec_lo
	s_waitcnt vmcnt(0)
	ds_write_b32 v21, v1
	v_cmpx_gt_i32_e64 s18, v16
	s_cbranch_execz .LBB87_60
; %bb.59:
	s_lshl_b32 s22, s12, 3
	s_ashr_i32 s23, s22, 31
	s_lshl_b64 s[22:23], s[22:23], 2
	v_add_co_u32 v23, s8, v3, s22
	v_add_co_ci_u32_e64 v24, null, s23, v4, s8
	global_load_dword v24, v[23:24], off
.LBB87_60:
	s_or_b32 exec_lo, exec_lo, s9
	v_add_nc_u32_e32 v21, 0x420, v15
	v_add_nc_u32_e32 v23, 16, v13
	v_mov_b32_e32 v1, 0
	v_mov_b32_e32 v26, 0
	s_mov_b32 s9, exec_lo
	v_add_nc_u32_e32 v25, v14, v21
	s_waitcnt vmcnt(0)
	ds_write_b32 v25, v24
	v_cmpx_gt_i32_e64 s18, v23
	s_cbranch_execz .LBB87_62
; %bb.61:
	s_lshl_b32 s22, s12, 4
	s_ashr_i32 s23, s22, 31
	s_lshl_b64 s[22:23], s[22:23], 2
	v_add_co_u32 v24, s8, v3, s22
	v_add_co_ci_u32_e64 v25, null, s23, v4, s8
	global_load_dword v26, v[24:25], off
.LBB87_62:
	s_or_b32 exec_lo, exec_lo, s9
	v_add_nc_u32_e32 v24, 0x420, v21
	v_add_nc_u32_e32 v25, 24, v13
	s_mov_b32 s9, exec_lo
	v_add_nc_u32_e32 v13, v14, v24
	s_waitcnt vmcnt(0)
	ds_write_b32 v13, v26
	v_cmpx_gt_i32_e64 s18, v25
	s_cbranch_execz .LBB87_64
; %bb.63:
	s_mul_i32 s22, s12, 24
	s_ashr_i32 s23, s22, 31
	s_lshl_b64 s[22:23], s[22:23], 2
	v_add_co_u32 v26, s8, v3, s22
	v_add_co_ci_u32_e64 v27, null, s23, v4, s8
	global_load_dword v1, v[26:27], off
.LBB87_64:
	s_or_b32 exec_lo, exec_lo, s9
	v_add_co_u32 v3, s8, v3, v14
	v_add_co_ci_u32_e64 v4, null, 0, v4, s8
	v_sub_co_u32 v13, s8, v3, s10
	v_subrev_co_ci_u32_e64 v4, null, s11, v4, s8
	v_add_nc_u32_e32 v3, 0x420, v24
	v_add_co_u32 v13, s8, 0x84, v13
	v_add_co_ci_u32_e64 v4, null, 0, v4, s8
	v_add_nc_u32_e32 v26, v14, v3
	v_cndmask_b32_e32 v11, v13, v11, vcc_lo
	v_cndmask_b32_e32 v12, v4, v12, vcc_lo
	s_waitcnt vmcnt(0)
	ds_write_b32 v26, v1
.LBB87_65:
	v_add_nc_u32_e32 v1, v14, v15
	v_add_nc_u32_e32 v4, v14, v21
	v_lshlrev_b32_e32 v13, 2, v16
	s_waitcnt lgkmcnt(0)
	s_barrier
	buffer_gl0_inv
	ds_read_b32 v1, v1
	ds_read_b32 v15, v5 offset:4544
	ds_read_b32 v21, v4
	v_lshlrev_b32_e32 v16, 2, v23
	ds_read_b32 v23, v13 offset:4544
	v_add_nc_u32_e32 v4, v14, v24
	v_add_nc_u32_e32 v3, v14, v3
	v_lshlrev_b32_e32 v13, 2, v25
	ds_read_b32 v24, v4
	ds_read_b32 v25, v16 offset:4544
	ds_read_b32 v26, v3
	ds_read_b32 v27, v13 offset:4544
	v_lshl_add_u32 v13, v5, 2, v18
	ds_read_b128 v[3:6], v6 offset:128
	s_waitcnt lgkmcnt(7)
	v_fma_f32 v1, v1, v15, 0
	ds_read2_b32 v[15:16], v13 offset1:1
	ds_read2_b32 v[13:14], v13 offset0:2 offset1:3
	s_waitcnt lgkmcnt(0)
	s_barrier
	buffer_gl0_inv
	v_fmac_f32_e32 v1, v21, v23
	v_fmac_f32_e32 v1, v24, v25
	;; [unrolled: 1-line block ×3, first 2 shown]
	ds_write_b32 v20, v1
	s_waitcnt lgkmcnt(0)
	s_barrier
	buffer_gl0_inv
	s_and_saveexec_b32 s8, s3
	s_cbranch_execz .LBB87_67
; %bb.66:
	ds_read2_b32 v[23:24], v18 offset1:1
	ds_read2_b32 v[25:26], v18 offset0:2 offset1:3
	ds_read2_b32 v[27:28], v18 offset0:4 offset1:5
	;; [unrolled: 1-line block ×3, first 2 shown]
	s_waitcnt lgkmcnt(3)
	v_add_f32_e32 v1, v22, v23
	v_add_f32_e32 v1, v1, v24
	s_waitcnt lgkmcnt(2)
	v_add_f32_e32 v1, v1, v25
	v_add_f32_e32 v1, v1, v26
	;; [unrolled: 3-line block ×4, first 2 shown]
.LBB87_67:
	s_or_b32 exec_lo, exec_lo, s8
	v_fma_f32 v1, v15, v3, 0
	s_barrier
	buffer_gl0_inv
	v_fmac_f32_e32 v1, v16, v4
	v_fmac_f32_e32 v1, v13, v5
	;; [unrolled: 1-line block ×3, first 2 shown]
	ds_write_b32 v20, v1
	s_waitcnt lgkmcnt(0)
	s_barrier
	buffer_gl0_inv
	s_and_saveexec_b32 s3, s2
	s_cbranch_execz .LBB87_69
; %bb.68:
	ds_read2_b32 v[3:4], v18 offset1:1
	ds_read2_b32 v[5:6], v18 offset0:2 offset1:3
	ds_read2_b32 v[13:14], v18 offset0:4 offset1:5
	;; [unrolled: 1-line block ×3, first 2 shown]
	s_waitcnt lgkmcnt(3)
	v_add_f32_e32 v1, v22, v3
	v_add_f32_e32 v1, v1, v4
	s_waitcnt lgkmcnt(2)
	v_add_f32_e32 v1, v1, v5
	v_add_f32_e32 v1, v1, v6
	;; [unrolled: 3-line block ×4, first 2 shown]
.LBB87_69:
	s_or_b32 exec_lo, exec_lo, s3
	s_load_dwordx2 s[2:3], s[4:5], 0x60
	s_mul_hi_u32 s4, s16, s7
	s_mul_i32 s27, s27, s7
	s_mul_i32 s5, s16, s7
	s_add_i32 s4, s4, s27
	s_mul_hi_u32 s7, s5, s26
	s_mul_i32 s8, s4, s26
	s_mul_i32 s4, s5, s26
	s_add_i32 s5, s7, s8
	s_mul_i32 s8, s16, s6
	s_lshl_b64 s[4:5], s[4:5], 2
	v_cmp_le_i32_e32 vcc_lo, s18, v0
	v_lshlrev_b32_e32 v23, 2, v0
	s_waitcnt lgkmcnt(0)
	s_barrier
	buffer_gl0_inv
	s_add_u32 s4, s2, s4
	s_addc_u32 s5, s3, s5
	s_ashr_i32 s9, s8, 31
	s_lshl_b64 s[2:3], s[8:9], 2
	s_add_u32 s7, s4, s2
	s_addc_u32 s22, s5, s3
	s_and_b32 vcc_lo, s15, vcc_lo
	s_cmp_lt_i32 s6, 1
	s_cbranch_scc1 .LBB87_76
; %bb.70:
	v_mul_lo_u32 v1, v2, s12
	v_sub_co_u32 v6, s2, v11, s20
	v_subrev_co_ci_u32_e64 v11, null, s21, v12, s2
	s_ashr_i32 s19, s18, 31
	v_sub_co_u32 v6, s2, v6, v9
	v_lshl_add_u32 v3, v1, 2, v0
	v_sub_co_ci_u32_e64 v9, null, v11, v10, s2
	s_lshl_b64 s[8:9], s[18:19], 2
	s_mul_i32 s4, s17, s14
	v_ashrrev_i32_e32 v4, 31, v3
	s_ashr_i32 s5, s4, 31
	v_and_b32_e32 v5, 15, v0
	s_lshl_b64 s[4:5], s[4:5], 2
	v_mov_b32_e32 v1, 0
	v_lshlrev_b64 v[3:4], 2, v[3:4]
	v_add_nc_u32_e32 v26, 0x10c0, v23
	v_lshl_add_u32 v27, v2, 4, 0x10c0
	v_add_nc_u32_e32 v28, 0x11c0, v23
	v_mad_u32_u24 v29, 0x430, v2, v23
	s_ashr_i32 s13, s12, 31
	v_add_co_u32 v3, s2, v6, v3
	v_add_co_ci_u32_e64 v4, null, v9, v4, s2
	s_lshl_b32 s18, s17, 6
	v_sub_co_u32 v6, s2, v3, v23
	v_subrev_co_ci_u32_e64 v9, null, 0, v4, s2
	s_lshl_b64 s[10:11], s[12:13], 3
	v_add_co_u32 v6, s2, v6, s8
	v_add_co_ci_u32_e64 v9, null, s9, v9, s2
	v_add_co_u32 v3, s2, 0xffffff80, v3
	v_add_co_ci_u32_e64 v4, null, -1, v4, s2
	v_add_co_u32 v6, s2, 0xffffff7c, v6
	v_add_co_ci_u32_e64 v9, null, -1, v9, s2
	v_sub_co_u32 v24, s2, v7, s4
	v_cndmask_b32_e32 v20, v3, v6, vcc_lo
	v_cndmask_b32_e32 v21, v4, v9, vcc_lo
	v_lshrrev_b32_e32 v3, 2, v17
	v_and_b32_e32 v4, 48, v0
	v_subrev_co_ci_u32_e64 v25, null, s5, v8, s2
	v_mul_u32_u24_e32 v6, 0x10c, v5
	v_and_b32_e32 v3, 0x1ffc, v3
	v_lshlrev_b32_e32 v4, 2, v4
	v_and_b32_e32 v7, 0x7ff0, v17
	v_or_b32_e32 v8, 60, v23
	v_cmp_gt_u32_e64 s2, 64, v17
	v_mad_u32_u24 v30, 0x10c, v5, v3
	v_mad_u32_u24 v31, 0x10c, v5, v4
	v_add_nc_u32_e32 v33, v6, v7
	v_mad_u32_u24 v32, 0x10c, v5, v8
	s_lshl_b64 s[4:5], s[12:13], 2
	s_lshl_b64 s[8:9], s[12:13], 8
	s_mul_hi_i32 s19, s12, 12
	s_mul_i32 s20, s12, 12
	s_mul_hi_i32 s21, s12, 0x48
	s_mul_i32 s23, s12, 0x48
	;; [unrolled: 2-line block ×10, first 2 shown]
	s_lshl_b64 s[14:15], s[12:13], 7
	s_mul_hi_i32 s41, s12, 0x44
	s_mul_i32 s42, s12, 0x44
	s_lshl_b64 s[12:13], s[12:13], 6
	s_mov_b32 s16, 0
	s_branch .LBB87_72
.LBB87_71:                              ;   in Loop: Header=BB87_72 Depth=1
	s_or_b32 exec_lo, exec_lo, s17
	v_fmac_f32_e32 v22, v37, v3
	v_add_co_u32 v20, s3, v20, s8
	v_add_co_ci_u32_e64 v21, null, s9, v21, s3
	v_fmac_f32_e32 v22, v35, v4
	v_add_nc_u32_e32 v0, 64, v0
	s_add_i32 s6, s6, -1
	s_add_i32 s16, s16, s18
	s_cmp_eq_u32 s6, 0
	v_fmac_f32_e32 v22, v34, v5
	s_waitcnt_vscnt null, 0x0
	s_barrier
	buffer_gl0_inv
	v_fmac_f32_e32 v22, v36, v6
	v_fmac_f32_e32 v22, v41, v7
	;; [unrolled: 1-line block ×13, first 2 shown]
	s_cbranch_scc1 .LBB87_76
.LBB87_72:                              ; =>This Inner Loop Header: Depth=1
	s_and_saveexec_b32 s43, s1
	s_cbranch_execz .LBB87_74
; %bb.73:                               ;   in Loop: Header=BB87_72 Depth=1
	s_ashr_i32 s17, s16, 31
	s_lshl_b64 s[44:45], s[16:17], 2
	v_add_co_u32 v3, s3, v24, s44
	v_add_co_ci_u32_e64 v4, null, s45, v25, s3
	global_load_dword v3, v[3:4], off
	s_waitcnt vmcnt(0)
	ds_write_b32 v26, v3
.LBB87_74:                              ;   in Loop: Header=BB87_72 Depth=1
	s_or_b32 exec_lo, exec_lo, s43
	v_add_co_u32 v3, s3, v20, s4
	v_add_co_ci_u32_e64 v4, null, s5, v21, s3
	v_add_co_u32 v5, s3, v20, s10
	v_add_co_ci_u32_e64 v6, null, s11, v21, s3
	;; [unrolled: 2-line block ×3, first 2 shown]
	s_waitcnt lgkmcnt(0)
	s_barrier
	buffer_gl0_inv
	s_clause 0x3
	global_load_dword v37, v[20:21], off
	global_load_dword v35, v[3:4], off
	;; [unrolled: 1-line block ×4, first 2 shown]
	ds_read_b32 v13, v28
	ds_read_b128 v[3:6], v27
	v_add_co_u32 v7, s3, v20, s12
	v_add_co_ci_u32_e64 v8, null, s13, v21, s3
	v_add_co_u32 v9, s3, v20, s42
	v_add_co_ci_u32_e64 v10, null, s41, v21, s3
	;; [unrolled: 2-line block ×3, first 2 shown]
	s_waitcnt vmcnt(3) lgkmcnt(1)
	v_mul_f32_e32 v15, v37, v13
	s_waitcnt vmcnt(2)
	v_mul_f32_e32 v16, v35, v13
	s_waitcnt vmcnt(1)
	;; [unrolled: 2-line block ×3, first 2 shown]
	v_mul_f32_e32 v18, v36, v13
	v_add_co_u32 v13, s3, v20, s25
	v_add_co_ci_u32_e64 v14, null, s24, v21, s3
	ds_write2_b32 v29, v15, v16 offset1:67
	ds_write2_b32 v29, v17, v18 offset0:134 offset1:201
	s_waitcnt lgkmcnt(0)
	s_barrier
	buffer_gl0_inv
	ds_read2_b32 v[50:51], v33 offset1:1
	ds_read2_b32 v[52:53], v33 offset0:2 offset1:3
	s_waitcnt lgkmcnt(0)
	s_barrier
	buffer_gl0_inv
	s_clause 0x3
	global_load_dword v41, v[7:8], off
	global_load_dword v39, v[9:10], off
	global_load_dword v38, v[11:12], off
	global_load_dword v40, v[13:14], off
	ds_read_b32 v17, v28
	ds_read_b128 v[7:10], v27 offset:64
	v_add_co_u32 v11, s3, v20, s14
	v_add_co_ci_u32_e64 v12, null, s15, v21, s3
	v_add_co_u32 v13, s3, v20, s40
	v_add_co_ci_u32_e64 v14, null, s39, v21, s3
	;; [unrolled: 2-line block ×3, first 2 shown]
	v_add_f32_e32 v50, 0, v50
	v_add_f32_e32 v50, v50, v51
	;; [unrolled: 1-line block ×4, first 2 shown]
	s_waitcnt vmcnt(3) lgkmcnt(1)
	v_mul_f32_e32 v42, v41, v17
	s_waitcnt vmcnt(2)
	v_mul_f32_e32 v43, v39, v17
	s_waitcnt vmcnt(1)
	;; [unrolled: 2-line block ×3, first 2 shown]
	v_mul_f32_e32 v45, v40, v17
	v_add_co_u32 v17, s3, v20, s29
	v_add_co_ci_u32_e64 v18, null, s28, v21, s3
	ds_write2_b32 v29, v42, v43 offset1:67
	ds_write2_b32 v29, v44, v45 offset0:134 offset1:201
	s_waitcnt lgkmcnt(0)
	s_barrier
	buffer_gl0_inv
	ds_read2_b32 v[54:55], v33 offset1:1
	ds_read2_b32 v[56:57], v33 offset0:2 offset1:3
	s_waitcnt lgkmcnt(0)
	s_barrier
	buffer_gl0_inv
	s_clause 0x3
	global_load_dword v45, v[11:12], off
	global_load_dword v43, v[13:14], off
	;; [unrolled: 1-line block ×4, first 2 shown]
	ds_read_b32 v48, v28
	ds_read_b128 v[11:14], v27 offset:128
	v_add_co_u32 v15, s3, v20, s38
	v_add_co_ci_u32_e64 v16, null, s37, v21, s3
	v_add_co_u32 v17, s3, v20, s36
	v_add_co_ci_u32_e64 v18, null, s35, v21, s3
	v_add_co_u32 v46, s3, v20, s31
	v_add_co_ci_u32_e64 v47, null, s30, v21, s3
	v_add_co_u32 v58, s3, v20, s34
	v_add_co_ci_u32_e64 v59, null, s33, v21, s3
	v_add_f32_e32 v54, 0, v54
	v_add_f32_e32 v51, v54, v55
	;; [unrolled: 1-line block ×4, first 2 shown]
	s_waitcnt vmcnt(3) lgkmcnt(1)
	v_mul_f32_e32 v49, v45, v48
	s_waitcnt vmcnt(2)
	v_mul_f32_e32 v60, v43, v48
	s_waitcnt vmcnt(1)
	;; [unrolled: 2-line block ×3, first 2 shown]
	v_mul_f32_e32 v48, v44, v48
	ds_write2_b32 v29, v49, v60 offset1:67
	ds_write2_b32 v29, v61, v48 offset0:134 offset1:201
	s_waitcnt lgkmcnt(0)
	s_barrier
	buffer_gl0_inv
	ds_read2_b32 v[60:61], v33 offset1:1
	ds_read2_b32 v[62:63], v33 offset0:2 offset1:3
	s_waitcnt lgkmcnt(0)
	s_barrier
	buffer_gl0_inv
	s_clause 0x3
	global_load_dword v49, v[15:16], off
	global_load_dword v48, v[17:18], off
	;; [unrolled: 1-line block ×4, first 2 shown]
	ds_read_b32 v58, v28
	ds_read_b128 v[15:18], v27 offset:192
	v_add_f32_e32 v60, 0, v60
	v_add_f32_e32 v54, v60, v61
	;; [unrolled: 1-line block ×4, first 2 shown]
	s_waitcnt vmcnt(3) lgkmcnt(1)
	v_mul_f32_e32 v59, v49, v58
	s_waitcnt vmcnt(2)
	v_mul_f32_e32 v64, v48, v58
	s_waitcnt vmcnt(1)
	;; [unrolled: 2-line block ×3, first 2 shown]
	v_mul_f32_e32 v58, v46, v58
	ds_write2_b32 v29, v59, v64 offset1:67
	ds_write2_b32 v29, v65, v58 offset0:134 offset1:201
	s_waitcnt lgkmcnt(0)
	s_barrier
	buffer_gl0_inv
	ds_read2_b32 v[58:59], v33 offset1:1
	ds_read2_b32 v[64:65], v33 offset0:2 offset1:3
	s_waitcnt lgkmcnt(0)
	s_barrier
	buffer_gl0_inv
	v_add_f32_e32 v58, 0, v58
	v_add_f32_e32 v55, v58, v59
	;; [unrolled: 1-line block ×4, first 2 shown]
	ds_write2_b32 v30, v50, v51 offset1:16
	ds_write2_b32 v30, v52, v53 offset0:32 offset1:48
	s_waitcnt lgkmcnt(0)
	s_barrier
	buffer_gl0_inv
	s_and_saveexec_b32 s17, s2
	s_cbranch_execz .LBB87_71
; %bb.75:                               ;   in Loop: Header=BB87_72 Depth=1
	ds_read2_b32 v[50:51], v31 offset1:1
	ds_read2_b32 v[52:53], v31 offset0:2 offset1:3
	ds_read2_b32 v[54:55], v31 offset0:4 offset1:5
	;; [unrolled: 1-line block ×3, first 2 shown]
	s_waitcnt lgkmcnt(3)
	v_add_f32_e32 v50, v50, v51
	s_waitcnt lgkmcnt(2)
	v_add_f32_e32 v50, v50, v52
	v_add_f32_e32 v52, v50, v53
	ds_read2_b32 v[50:51], v31 offset0:8 offset1:9
	s_waitcnt lgkmcnt(2)
	v_add_f32_e32 v52, v52, v54
	v_add_f32_e32 v54, v52, v55
	ds_read2_b32 v[52:53], v31 offset0:10 offset1:11
	;; [unrolled: 4-line block ×3, first 2 shown]
	ds_read_b32 v57, v31 offset:56
	s_waitcnt lgkmcnt(3)
	v_add_f32_e32 v50, v56, v50
	v_add_f32_e32 v50, v50, v51
	s_waitcnt lgkmcnt(2)
	v_add_f32_e32 v50, v50, v52
	ds_read_b32 v52, v32
	v_add_f32_e32 v50, v50, v53
	s_waitcnt lgkmcnt(2)
	v_add_f32_e32 v50, v50, v54
	v_add_f32_e32 v50, v50, v55
	s_waitcnt lgkmcnt(1)
	v_add_f32_e32 v53, v50, v57
	v_lshlrev_b64 v[50:51], 2, v[0:1]
	s_waitcnt lgkmcnt(0)
	v_add_f32_e32 v52, v53, v52
	v_add_co_u32 v50, s3, s7, v50
	v_add_co_ci_u32_e64 v51, null, s22, v51, s3
	global_store_dword v[50:51], v52, off
	s_branch .LBB87_71
.LBB87_76:
	v_mad_u32_u24 v0, 0x10c, v2, v23
	s_nor_b32 s0, s0, vcc_lo
	ds_write_b32 v0, v22
	s_waitcnt lgkmcnt(0)
	s_barrier
	buffer_gl0_inv
	s_and_saveexec_b32 s1, s0
	s_cbranch_execz .LBB87_78
; %bb.77:
	ds_read2_b32 v[0:1], v23 offset1:67
	ds_read2_b32 v[2:3], v23 offset0:134 offset1:201
	v_ashrrev_i32_e32 v20, 31, v19
	s_waitcnt lgkmcnt(1)
	v_add_f32_e32 v0, v0, v1
	s_waitcnt lgkmcnt(0)
	v_add_f32_e32 v2, v0, v2
	v_lshlrev_b64 v[0:1], 2, v[19:20]
	v_add_f32_e32 v2, v2, v3
	v_add_co_u32 v0, vcc_lo, s7, v0
	v_add_co_ci_u32_e64 v1, null, s22, v1, vcc_lo
	global_store_dword v[0:1], v2, off
.LBB87_78:
	s_endpgm
	.section	.rodata,"a",@progbits
	.p2align	6, 0x0
	.amdhsa_kernel _ZL26rocblas_hemvn_kernel_lowerILb0ELi64ELi4ELi33ELi32ELi16EifPKfPfEviT6_lT7_lT5_lS4_lS5_lS3_lT8_i
		.amdhsa_group_segment_fixed_size 4800
		.amdhsa_private_segment_fixed_size 0
		.amdhsa_kernarg_size 368
		.amdhsa_user_sgpr_count 6
		.amdhsa_user_sgpr_private_segment_buffer 1
		.amdhsa_user_sgpr_dispatch_ptr 0
		.amdhsa_user_sgpr_queue_ptr 0
		.amdhsa_user_sgpr_kernarg_segment_ptr 1
		.amdhsa_user_sgpr_dispatch_id 0
		.amdhsa_user_sgpr_flat_scratch_init 0
		.amdhsa_user_sgpr_private_segment_size 0
		.amdhsa_wavefront_size32 1
		.amdhsa_uses_dynamic_stack 0
		.amdhsa_system_sgpr_private_segment_wavefront_offset 0
		.amdhsa_system_sgpr_workgroup_id_x 1
		.amdhsa_system_sgpr_workgroup_id_y 0
		.amdhsa_system_sgpr_workgroup_id_z 1
		.amdhsa_system_sgpr_workgroup_info 0
		.amdhsa_system_vgpr_workitem_id 1
		.amdhsa_next_free_vgpr 66
		.amdhsa_next_free_sgpr 46
		.amdhsa_reserve_vcc 1
		.amdhsa_reserve_flat_scratch 0
		.amdhsa_float_round_mode_32 0
		.amdhsa_float_round_mode_16_64 0
		.amdhsa_float_denorm_mode_32 3
		.amdhsa_float_denorm_mode_16_64 3
		.amdhsa_dx10_clamp 1
		.amdhsa_ieee_mode 1
		.amdhsa_fp16_overflow 0
		.amdhsa_workgroup_processor_mode 1
		.amdhsa_memory_ordered 1
		.amdhsa_forward_progress 1
		.amdhsa_shared_vgpr_count 0
		.amdhsa_exception_fp_ieee_invalid_op 0
		.amdhsa_exception_fp_denorm_src 0
		.amdhsa_exception_fp_ieee_div_zero 0
		.amdhsa_exception_fp_ieee_overflow 0
		.amdhsa_exception_fp_ieee_underflow 0
		.amdhsa_exception_fp_ieee_inexact 0
		.amdhsa_exception_int_div_zero 0
	.end_amdhsa_kernel
	.section	.text._ZL26rocblas_hemvn_kernel_lowerILb0ELi64ELi4ELi33ELi32ELi16EifPKfPfEviT6_lT7_lT5_lS4_lS5_lS3_lT8_i,"axG",@progbits,_ZL26rocblas_hemvn_kernel_lowerILb0ELi64ELi4ELi33ELi32ELi16EifPKfPfEviT6_lT7_lT5_lS4_lS5_lS3_lT8_i,comdat
.Lfunc_end87:
	.size	_ZL26rocblas_hemvn_kernel_lowerILb0ELi64ELi4ELi33ELi32ELi16EifPKfPfEviT6_lT7_lT5_lS4_lS5_lS3_lT8_i, .Lfunc_end87-_ZL26rocblas_hemvn_kernel_lowerILb0ELi64ELi4ELi33ELi32ELi16EifPKfPfEviT6_lT7_lT5_lS4_lS5_lS3_lT8_i
                                        ; -- End function
	.set _ZL26rocblas_hemvn_kernel_lowerILb0ELi64ELi4ELi33ELi32ELi16EifPKfPfEviT6_lT7_lT5_lS4_lS5_lS3_lT8_i.num_vgpr, 66
	.set _ZL26rocblas_hemvn_kernel_lowerILb0ELi64ELi4ELi33ELi32ELi16EifPKfPfEviT6_lT7_lT5_lS4_lS5_lS3_lT8_i.num_agpr, 0
	.set _ZL26rocblas_hemvn_kernel_lowerILb0ELi64ELi4ELi33ELi32ELi16EifPKfPfEviT6_lT7_lT5_lS4_lS5_lS3_lT8_i.numbered_sgpr, 46
	.set _ZL26rocblas_hemvn_kernel_lowerILb0ELi64ELi4ELi33ELi32ELi16EifPKfPfEviT6_lT7_lT5_lS4_lS5_lS3_lT8_i.num_named_barrier, 0
	.set _ZL26rocblas_hemvn_kernel_lowerILb0ELi64ELi4ELi33ELi32ELi16EifPKfPfEviT6_lT7_lT5_lS4_lS5_lS3_lT8_i.private_seg_size, 0
	.set _ZL26rocblas_hemvn_kernel_lowerILb0ELi64ELi4ELi33ELi32ELi16EifPKfPfEviT6_lT7_lT5_lS4_lS5_lS3_lT8_i.uses_vcc, 1
	.set _ZL26rocblas_hemvn_kernel_lowerILb0ELi64ELi4ELi33ELi32ELi16EifPKfPfEviT6_lT7_lT5_lS4_lS5_lS3_lT8_i.uses_flat_scratch, 0
	.set _ZL26rocblas_hemvn_kernel_lowerILb0ELi64ELi4ELi33ELi32ELi16EifPKfPfEviT6_lT7_lT5_lS4_lS5_lS3_lT8_i.has_dyn_sized_stack, 0
	.set _ZL26rocblas_hemvn_kernel_lowerILb0ELi64ELi4ELi33ELi32ELi16EifPKfPfEviT6_lT7_lT5_lS4_lS5_lS3_lT8_i.has_recursion, 0
	.set _ZL26rocblas_hemvn_kernel_lowerILb0ELi64ELi4ELi33ELi32ELi16EifPKfPfEviT6_lT7_lT5_lS4_lS5_lS3_lT8_i.has_indirect_call, 0
	.section	.AMDGPU.csdata,"",@progbits
; Kernel info:
; codeLenInByte = 6144
; TotalNumSgprs: 48
; NumVgprs: 66
; ScratchSize: 0
; MemoryBound: 0
; FloatMode: 240
; IeeeMode: 1
; LDSByteSize: 4800 bytes/workgroup (compile time only)
; SGPRBlocks: 0
; VGPRBlocks: 8
; NumSGPRsForWavesPerEU: 48
; NumVGPRsForWavesPerEU: 66
; Occupancy: 12
; WaveLimiterHint : 1
; COMPUTE_PGM_RSRC2:SCRATCH_EN: 0
; COMPUTE_PGM_RSRC2:USER_SGPR: 6
; COMPUTE_PGM_RSRC2:TRAP_HANDLER: 0
; COMPUTE_PGM_RSRC2:TGID_X_EN: 1
; COMPUTE_PGM_RSRC2:TGID_Y_EN: 0
; COMPUTE_PGM_RSRC2:TGID_Z_EN: 1
; COMPUTE_PGM_RSRC2:TIDIG_COMP_CNT: 1
	.section	.text._ZL36rocblas_hemvn_kernel_lower_block_sumILi64EifPffEviT1_lS1_lT2_lT0_lPT3_i,"axG",@progbits,_ZL36rocblas_hemvn_kernel_lower_block_sumILi64EifPffEviT1_lS1_lT2_lT0_lPT3_i,comdat
	.globl	_ZL36rocblas_hemvn_kernel_lower_block_sumILi64EifPffEviT1_lS1_lT2_lT0_lPT3_i ; -- Begin function _ZL36rocblas_hemvn_kernel_lower_block_sumILi64EifPffEviT1_lS1_lT2_lT0_lPT3_i
	.p2align	8
	.type	_ZL36rocblas_hemvn_kernel_lower_block_sumILi64EifPffEviT1_lS1_lT2_lT0_lPT3_i,@function
_ZL36rocblas_hemvn_kernel_lower_block_sumILi64EifPffEviT1_lS1_lT2_lT0_lPT3_i: ; @_ZL36rocblas_hemvn_kernel_lower_block_sumILi64EifPffEviT1_lS1_lT2_lT0_lPT3_i
; %bb.0:
	s_clause 0x1
	s_load_dwordx2 s[2:3], s[4:5], 0x0
	s_load_dword s10, s[4:5], 0x10
	s_mov_b32 s11, 0
	s_waitcnt lgkmcnt(0)
	v_cmp_eq_f32_e64 s0, s3, 0
	v_cmp_eq_f32_e64 s1, s10, 1.0
	s_and_b32 s0, s0, s1
	s_and_b32 vcc_lo, exec_lo, s0
	s_cbranch_vccnz .LBB88_19
; %bb.1:
	s_clause 0x2
	s_load_dwordx2 s[0:1], s[4:5], 0x38
	s_load_dwordx4 s[16:19], s[4:5], 0x20
	s_load_dword s12, s[4:5], 0x30
	v_lshl_or_b32 v0, s6, 6, v0
	v_cmp_neq_f32_e64 s13, s3, 0
	s_waitcnt lgkmcnt(0)
	s_mul_i32 s1, s1, s7
	s_mul_hi_u32 s8, s0, s7
	s_mul_i32 s0, s0, s7
	s_add_i32 s1, s8, s1
	s_lshl_b64 s[0:1], s[0:1], 2
	s_add_u32 s8, s16, s0
	s_addc_u32 s9, s17, s1
	s_lshl_b64 s[0:1], s[18:19], 2
	s_add_u32 s8, s8, s0
	v_cmp_gt_i32_e64 s0, s2, v0
	s_addc_u32 s9, s9, s1
	s_and_b32 vcc_lo, exec_lo, s13
	s_cbranch_vccnz .LBB88_6
; %bb.2:
	s_mov_b32 s1, 0
                                        ; implicit-def: $vgpr3
                                        ; implicit-def: $vgpr1_vgpr2
	s_and_saveexec_b32 s13, s0
	s_cbranch_execz .LBB88_7
; %bb.3:
	v_mul_lo_u32 v1, s12, v0
	v_cmp_eq_f32_e64 s0, s10, 0
	v_mov_b32_e32 v3, 0
	s_and_b32 vcc_lo, exec_lo, s0
	v_ashrrev_i32_e32 v2, 31, v1
	s_cbranch_vccnz .LBB88_5
; %bb.4:
	v_lshlrev_b64 v[3:4], 2, v[1:2]
	v_add_co_u32 v3, vcc_lo, s8, v3
	v_add_co_ci_u32_e64 v4, null, s9, v4, vcc_lo
	global_load_dword v3, v[3:4], off
	s_waitcnt vmcnt(0)
	v_mul_f32_e32 v3, s10, v3
.LBB88_5:
	s_mov_b32 s11, exec_lo
	s_or_b32 exec_lo, exec_lo, s13
	s_and_b32 vcc_lo, exec_lo, s1
	s_cbranch_vccnz .LBB88_8
	s_branch .LBB88_17
.LBB88_6:
                                        ; implicit-def: $vgpr3
                                        ; implicit-def: $vgpr1_vgpr2
	s_cbranch_execnz .LBB88_8
	s_branch .LBB88_17
.LBB88_7:
	s_or_b32 exec_lo, exec_lo, s13
	s_and_b32 vcc_lo, exec_lo, s1
	s_cbranch_vccz .LBB88_17
.LBB88_8:
	s_mov_b32 s13, exec_lo
                                        ; implicit-def: $vgpr3
                                        ; implicit-def: $vgpr1_vgpr2
	v_cmpx_gt_i32_e64 s2, v0
	s_cbranch_execz .LBB88_16
; %bb.9:
	s_load_dword s14, s[4:5], 0x50
	v_mov_b32_e32 v4, 0
	s_waitcnt lgkmcnt(0)
	s_cmp_ge_i32 s6, s14
	s_cbranch_scc1 .LBB88_12
; %bb.10:
	s_load_dwordx2 s[0:1], s[4:5], 0x40
	v_mad_u64_u32 v[1:2], null, s2, s6, v[0:1]
	s_ashr_i32 s5, s2, 31
	s_mul_hi_u32 s4, s2, s7
	s_mul_i32 s15, s5, s7
	s_mul_i32 s7, s2, s7
	s_add_i32 s4, s4, s15
	s_mul_hi_u32 s15, s7, s14
	v_ashrrev_i32_e32 v2, 31, v1
	s_mul_i32 s4, s4, s14
	s_mul_i32 s16, s7, s14
	s_add_i32 s17, s15, s4
	v_mov_b32_e32 v4, 0
	v_lshlrev_b64 v[1:2], 2, v[1:2]
	s_lshl_b64 s[16:17], s[16:17], 2
	s_mov_b32 s4, s2
	s_waitcnt lgkmcnt(0)
	s_add_u32 s0, s0, s16
	s_addc_u32 s1, s1, s17
	v_add_co_u32 v1, vcc_lo, s0, v1
	v_add_co_ci_u32_e64 v2, null, s1, v2, vcc_lo
	s_lshl_b64 s[0:1], s[4:5], 2
.LBB88_11:                              ; =>This Inner Loop Header: Depth=1
	global_load_dword v3, v[1:2], off
	v_add_co_u32 v1, vcc_lo, v1, s0
	v_add_co_ci_u32_e64 v2, null, s1, v2, vcc_lo
	s_add_i32 s6, s6, 1
	s_cmp_ge_i32 s6, s14
	s_waitcnt vmcnt(0)
	v_add_f32_e32 v4, v4, v3
	s_cbranch_scc0 .LBB88_11
.LBB88_12:
	v_mul_lo_u32 v1, s12, v0
	v_cmp_eq_f32_e64 s0, s10, 0
	s_and_b32 vcc_lo, exec_lo, s0
	s_mov_b32 s0, 0
	v_ashrrev_i32_e32 v2, 31, v1
	s_cbranch_vccz .LBB88_20
; %bb.13:
	v_mul_f32_e32 v3, s3, v4
	s_andn2_b32 vcc_lo, exec_lo, s0
	s_cbranch_vccnz .LBB88_15
.LBB88_14:
	v_lshlrev_b64 v[5:6], 2, v[1:2]
	v_add_co_u32 v5, vcc_lo, s8, v5
	v_add_co_ci_u32_e64 v6, null, s9, v6, vcc_lo
	global_load_dword v0, v[5:6], off
	s_waitcnt vmcnt(0)
	v_mul_f32_e32 v3, s10, v0
	v_fmac_f32_e32 v3, s3, v4
.LBB88_15:
	s_or_b32 s11, s11, exec_lo
.LBB88_16:
	s_or_b32 exec_lo, exec_lo, s13
.LBB88_17:
	s_and_saveexec_b32 s0, s11
	s_cbranch_execz .LBB88_19
; %bb.18:
	v_lshlrev_b64 v[0:1], 2, v[1:2]
	v_add_co_u32 v0, vcc_lo, s8, v0
	v_add_co_ci_u32_e64 v1, null, s9, v1, vcc_lo
	global_store_dword v[0:1], v3, off
.LBB88_19:
	s_endpgm
.LBB88_20:
                                        ; implicit-def: $vgpr3
	s_branch .LBB88_14
	.section	.rodata,"a",@progbits
	.p2align	6, 0x0
	.amdhsa_kernel _ZL36rocblas_hemvn_kernel_lower_block_sumILi64EifPffEviT1_lS1_lT2_lT0_lPT3_i
		.amdhsa_group_segment_fixed_size 0
		.amdhsa_private_segment_fixed_size 0
		.amdhsa_kernarg_size 336
		.amdhsa_user_sgpr_count 6
		.amdhsa_user_sgpr_private_segment_buffer 1
		.amdhsa_user_sgpr_dispatch_ptr 0
		.amdhsa_user_sgpr_queue_ptr 0
		.amdhsa_user_sgpr_kernarg_segment_ptr 1
		.amdhsa_user_sgpr_dispatch_id 0
		.amdhsa_user_sgpr_flat_scratch_init 0
		.amdhsa_user_sgpr_private_segment_size 0
		.amdhsa_wavefront_size32 1
		.amdhsa_uses_dynamic_stack 0
		.amdhsa_system_sgpr_private_segment_wavefront_offset 0
		.amdhsa_system_sgpr_workgroup_id_x 1
		.amdhsa_system_sgpr_workgroup_id_y 0
		.amdhsa_system_sgpr_workgroup_id_z 1
		.amdhsa_system_sgpr_workgroup_info 0
		.amdhsa_system_vgpr_workitem_id 0
		.amdhsa_next_free_vgpr 7
		.amdhsa_next_free_sgpr 20
		.amdhsa_reserve_vcc 1
		.amdhsa_reserve_flat_scratch 0
		.amdhsa_float_round_mode_32 0
		.amdhsa_float_round_mode_16_64 0
		.amdhsa_float_denorm_mode_32 3
		.amdhsa_float_denorm_mode_16_64 3
		.amdhsa_dx10_clamp 1
		.amdhsa_ieee_mode 1
		.amdhsa_fp16_overflow 0
		.amdhsa_workgroup_processor_mode 1
		.amdhsa_memory_ordered 1
		.amdhsa_forward_progress 1
		.amdhsa_shared_vgpr_count 0
		.amdhsa_exception_fp_ieee_invalid_op 0
		.amdhsa_exception_fp_denorm_src 0
		.amdhsa_exception_fp_ieee_div_zero 0
		.amdhsa_exception_fp_ieee_overflow 0
		.amdhsa_exception_fp_ieee_underflow 0
		.amdhsa_exception_fp_ieee_inexact 0
		.amdhsa_exception_int_div_zero 0
	.end_amdhsa_kernel
	.section	.text._ZL36rocblas_hemvn_kernel_lower_block_sumILi64EifPffEviT1_lS1_lT2_lT0_lPT3_i,"axG",@progbits,_ZL36rocblas_hemvn_kernel_lower_block_sumILi64EifPffEviT1_lS1_lT2_lT0_lPT3_i,comdat
.Lfunc_end88:
	.size	_ZL36rocblas_hemvn_kernel_lower_block_sumILi64EifPffEviT1_lS1_lT2_lT0_lPT3_i, .Lfunc_end88-_ZL36rocblas_hemvn_kernel_lower_block_sumILi64EifPffEviT1_lS1_lT2_lT0_lPT3_i
                                        ; -- End function
	.set _ZL36rocblas_hemvn_kernel_lower_block_sumILi64EifPffEviT1_lS1_lT2_lT0_lPT3_i.num_vgpr, 7
	.set _ZL36rocblas_hemvn_kernel_lower_block_sumILi64EifPffEviT1_lS1_lT2_lT0_lPT3_i.num_agpr, 0
	.set _ZL36rocblas_hemvn_kernel_lower_block_sumILi64EifPffEviT1_lS1_lT2_lT0_lPT3_i.numbered_sgpr, 20
	.set _ZL36rocblas_hemvn_kernel_lower_block_sumILi64EifPffEviT1_lS1_lT2_lT0_lPT3_i.num_named_barrier, 0
	.set _ZL36rocblas_hemvn_kernel_lower_block_sumILi64EifPffEviT1_lS1_lT2_lT0_lPT3_i.private_seg_size, 0
	.set _ZL36rocblas_hemvn_kernel_lower_block_sumILi64EifPffEviT1_lS1_lT2_lT0_lPT3_i.uses_vcc, 1
	.set _ZL36rocblas_hemvn_kernel_lower_block_sumILi64EifPffEviT1_lS1_lT2_lT0_lPT3_i.uses_flat_scratch, 0
	.set _ZL36rocblas_hemvn_kernel_lower_block_sumILi64EifPffEviT1_lS1_lT2_lT0_lPT3_i.has_dyn_sized_stack, 0
	.set _ZL36rocblas_hemvn_kernel_lower_block_sumILi64EifPffEviT1_lS1_lT2_lT0_lPT3_i.has_recursion, 0
	.set _ZL36rocblas_hemvn_kernel_lower_block_sumILi64EifPffEviT1_lS1_lT2_lT0_lPT3_i.has_indirect_call, 0
	.section	.AMDGPU.csdata,"",@progbits
; Kernel info:
; codeLenInByte = 620
; TotalNumSgprs: 22
; NumVgprs: 7
; ScratchSize: 0
; MemoryBound: 0
; FloatMode: 240
; IeeeMode: 1
; LDSByteSize: 0 bytes/workgroup (compile time only)
; SGPRBlocks: 0
; VGPRBlocks: 0
; NumSGPRsForWavesPerEU: 22
; NumVGPRsForWavesPerEU: 7
; Occupancy: 16
; WaveLimiterHint : 0
; COMPUTE_PGM_RSRC2:SCRATCH_EN: 0
; COMPUTE_PGM_RSRC2:USER_SGPR: 6
; COMPUTE_PGM_RSRC2:TRAP_HANDLER: 0
; COMPUTE_PGM_RSRC2:TGID_X_EN: 1
; COMPUTE_PGM_RSRC2:TGID_Y_EN: 0
; COMPUTE_PGM_RSRC2:TGID_Z_EN: 1
; COMPUTE_PGM_RSRC2:TIDIG_COMP_CNT: 0
	.section	.text._ZL50rocblas_symv_kernel_upper_double_buffered_diagonalILi32ELi4E24rocblas_internal_val_ptrIdEPKdPdEvbiT1_lT2_lllS6_lllS5_lT3_llli,"axG",@progbits,_ZL50rocblas_symv_kernel_upper_double_buffered_diagonalILi32ELi4E24rocblas_internal_val_ptrIdEPKdPdEvbiT1_lT2_lllS6_lllS5_lT3_llli,comdat
	.globl	_ZL50rocblas_symv_kernel_upper_double_buffered_diagonalILi32ELi4E24rocblas_internal_val_ptrIdEPKdPdEvbiT1_lT2_lllS6_lllS5_lT3_llli ; -- Begin function _ZL50rocblas_symv_kernel_upper_double_buffered_diagonalILi32ELi4E24rocblas_internal_val_ptrIdEPKdPdEvbiT1_lT2_lllS6_lllS5_lT3_llli
	.p2align	8
	.type	_ZL50rocblas_symv_kernel_upper_double_buffered_diagonalILi32ELi4E24rocblas_internal_val_ptrIdEPKdPdEvbiT1_lT2_lllS6_lllS5_lT3_llli,@function
_ZL50rocblas_symv_kernel_upper_double_buffered_diagonalILi32ELi4E24rocblas_internal_val_ptrIdEPKdPdEvbiT1_lT2_lllS6_lllS5_lT3_llli: ; @_ZL50rocblas_symv_kernel_upper_double_buffered_diagonalILi32ELi4E24rocblas_internal_val_ptrIdEPKdPdEvbiT1_lT2_lllS6_lllS5_lT3_llli
; %bb.0:
	s_clause 0x2
	s_load_dword s0, s[4:5], 0x0
	s_load_dwordx16 s[8:23], s[4:5], 0x8
	s_load_dwordx8 s[24:31], s[4:5], 0x48
	s_waitcnt lgkmcnt(0)
	s_bitcmp1_b32 s0, 0
	v_mov_b32_e32 v2, s8
	v_mov_b32_e32 v3, s9
	s_cselect_b32 s0, -1, 0
	s_and_b32 vcc_lo, exec_lo, s0
	s_xor_b32 s0, s0, -1
	s_cbranch_vccnz .LBB89_2
; %bb.1:
	s_mul_i32 s1, s11, s7
	s_mul_hi_u32 s2, s10, s7
	s_add_i32 s3, s2, s1
	s_mul_i32 s2, s10, s7
	s_lshl_b64 s[2:3], s[2:3], 3
	s_add_u32 s2, s8, s2
	s_addc_u32 s3, s9, s3
	v_mov_b32_e32 v2, s2
	v_mov_b32_e32 v3, s3
	flat_load_dwordx2 v[2:3], v[2:3]
.LBB89_2:
	v_mov_b32_e32 v4, s28
	v_mov_b32_e32 v5, s29
	s_andn2_b32 vcc_lo, exec_lo, s0
	s_cbranch_vccnz .LBB89_4
; %bb.3:
	s_mul_i32 s0, s31, s7
	s_mul_hi_u32 s1, s30, s7
	s_add_i32 s1, s1, s0
	s_mul_i32 s0, s30, s7
	s_lshl_b64 s[0:1], s[0:1], 3
	s_add_u32 s0, s28, s0
	s_addc_u32 s1, s29, s1
	v_mov_b32_e32 v5, s1
	v_mov_b32_e32 v4, s0
	flat_load_dwordx2 v[4:5], v[4:5]
.LBB89_4:
	s_waitcnt vmcnt(0) lgkmcnt(0)
	v_cmp_neq_f64_e32 vcc_lo, 0, v[2:3]
	v_cmp_neq_f64_e64 s0, 1.0, v[4:5]
	s_or_b32 s0, vcc_lo, s0
	s_and_saveexec_b32 s1, s0
	s_cbranch_execz .LBB89_36
; %bb.5:
	s_clause 0x2
	s_load_dwordx2 s[8:9], s[4:5], 0x80
	s_load_dwordx2 s[10:11], s[4:5], 0x68
	s_load_dwordx4 s[0:3], s[4:5], 0x70
	s_waitcnt lgkmcnt(0)
	s_mul_i32 s5, s9, s7
	s_mul_hi_u32 s9, s8, s7
	s_mul_i32 s4, s8, s7
	s_add_i32 s5, s9, s5
	s_lshl_b64 s[4:5], s[4:5], 3
	s_add_u32 s4, s10, s4
	s_addc_u32 s5, s11, s5
	s_lshl_b64 s[0:1], s[0:1], 3
	s_add_u32 s10, s4, s0
	s_addc_u32 s11, s5, s1
	s_lshl_b32 s4, s6, 5
	s_ashr_i32 s5, s4, 31
	s_mul_hi_u32 s0, s2, s4
	s_mul_i32 s1, s2, s5
	s_mul_i32 s6, s3, s4
	s_add_i32 s0, s0, s1
	s_add_i32 s1, s0, s6
	s_mul_i32 s0, s2, s4
	s_lshl_b64 s[8:9], s[0:1], 3
	s_mov_b32 s0, exec_lo
	s_add_u32 s1, s10, s8
	s_addc_u32 s10, s11, s9
	v_cmpx_eq_f64_e32 0, v[2:3]
	s_xor_b32 s0, exec_lo, s0
	s_cbranch_execz .LBB89_9
; %bb.6:
	s_mov_b32 s6, exec_lo
	v_cmpx_eq_u32_e32 0, v1
	s_cbranch_execz .LBB89_8
; %bb.7:
	v_mad_u64_u32 v[1:2], null, s2, v0, 0
	v_mad_u64_u32 v[2:3], null, s3, v0, v[2:3]
	v_lshlrev_b64 v[0:1], 3, v[1:2]
	v_add_co_u32 v0, vcc_lo, s1, v0
	v_add_co_ci_u32_e64 v1, null, s10, v1, vcc_lo
	global_load_dwordx2 v[2:3], v[0:1], off
	s_waitcnt vmcnt(0)
	v_mul_f64 v[2:3], v[4:5], v[2:3]
	global_store_dwordx2 v[0:1], v[2:3], off
.LBB89_8:
	s_or_b32 exec_lo, exec_lo, s6
                                        ; implicit-def: $vgpr1
                                        ; implicit-def: $vgpr0
                                        ; implicit-def: $vgpr2_vgpr3
                                        ; implicit-def: $vgpr4_vgpr5
.LBB89_9:
	s_andn2_saveexec_b32 s0, s0
	s_cbranch_execz .LBB89_36
; %bb.10:
	v_mov_b32_e32 v6, 0
	v_mov_b32_e32 v7, 0
	v_cmp_eq_u32_e32 vcc_lo, 0, v1
	s_and_saveexec_b32 s6, vcc_lo
	s_cbranch_execz .LBB89_14
; %bb.11:
	v_mov_b32_e32 v6, 0
	v_mov_b32_e32 v7, 0
	s_mov_b32 s8, exec_lo
	v_cmpx_neq_f64_e32 0, v[4:5]
	s_cbranch_execz .LBB89_13
; %bb.12:
	v_mad_u64_u32 v[6:7], null, s2, v0, 0
	v_mad_u64_u32 v[7:8], null, s3, v0, v[7:8]
	v_lshlrev_b64 v[6:7], 3, v[6:7]
	v_add_co_u32 v6, s0, s1, v6
	v_add_co_ci_u32_e64 v7, null, s10, v7, s0
	global_load_dwordx2 v[6:7], v[6:7], off
	s_waitcnt vmcnt(0)
	v_mul_f64 v[6:7], v[4:5], v[6:7]
.LBB89_13:
	s_or_b32 exec_lo, exec_lo, s8
	v_mad_u64_u32 v[8:9], null, s24, v0, 0
	s_mul_i32 s0, s27, s7
	s_mul_hi_u32 s9, s26, s7
	s_mul_i32 s8, s26, s7
	s_add_i32 s9, s9, s0
	s_mul_i32 s11, s24, s5
	s_lshl_b64 s[8:9], s[8:9], 3
	v_mad_u64_u32 v[9:10], null, s25, v0, v[9:10]
	s_add_u32 s20, s20, s8
	s_addc_u32 s21, s21, s9
	s_lshl_b64 s[8:9], s[22:23], 3
	s_mul_hi_u32 s0, s24, s4
	s_add_u32 s20, s20, s8
	s_mul_i32 s22, s25, s4
	s_addc_u32 s21, s21, s9
	s_add_i32 s0, s0, s11
	s_mul_i32 s8, s24, s4
	s_add_i32 s9, s0, s22
	v_lshlrev_b64 v[8:9], 3, v[8:9]
	s_lshl_b64 s[8:9], s[8:9], 3
	v_lshlrev_b32_e32 v10, 3, v0
	s_add_u32 s0, s20, s8
	s_addc_u32 s8, s21, s9
	v_add_co_u32 v8, s0, s0, v8
	v_add_co_ci_u32_e64 v9, null, s8, v9, s0
	global_load_dwordx2 v[8:9], v[8:9], off
	s_waitcnt vmcnt(0)
	ds_write_b64 v10, v[8:9] offset:10240
.LBB89_14:
	s_or_b32 exec_lo, exec_lo, s6
	s_mul_i32 s0, s19, s7
	s_mul_hi_u32 s8, s18, s7
	v_mad_u64_u32 v[8:9], null, s16, v1, 0
	s_mul_i32 s6, s18, s7
	s_add_i32 s7, s8, s0
	v_lshlrev_b32_e32 v16, 3, v0
	s_lshl_b64 s[6:7], s[6:7], 3
	s_mul_i32 s11, s17, 12
	s_add_u32 s0, s12, s6
	s_addc_u32 s8, s13, s7
	s_lshl_b64 s[6:7], s[14:15], 3
	v_mad_u64_u32 v[9:10], null, s17, v1, v[9:10]
	s_add_u32 s0, s0, s6
	s_addc_u32 s6, s8, s7
	s_add_u32 s7, s16, 1
	s_addc_u32 s8, s17, 0
	s_mul_i32 s5, s7, s5
	s_mul_hi_u32 s9, s7, s4
	s_mul_i32 s8, s8, s4
	s_add_i32 s5, s9, s5
	s_mul_i32 s4, s7, s4
	s_add_i32 s5, s5, s8
	v_lshlrev_b64 v[8:9], 3, v[8:9]
	s_lshl_b64 s[4:5], s[4:5], 3
	s_mul_hi_u32 s12, s16, 12
	s_add_u32 s0, s0, s4
	s_addc_u32 s4, s6, s5
                                        ; implicit-def: $sgpr6_sgpr7
                                        ; implicit-def: $sgpr8_sgpr9
	v_add_co_u32 v8, s0, s0, v8
	v_add_co_ci_u32_e64 v9, null, s4, v9, s0
	s_mul_i32 s4, s16, 12
	v_add_co_u32 v8, s0, v8, v16
	v_add_co_ci_u32_e64 v9, null, 0, v9, s0
	v_cmp_lt_u32_e64 s0, 15, v0
	s_and_saveexec_b32 s5, s0
	s_xor_b32 s0, exec_lo, s5
; %bb.15:
	s_lshl_b64 s[6:7], s[16:17], 2
	s_lshl_b64 s[8:9], s[16:17], 3
	s_add_i32 s5, s12, s11
; %bb.16:
	s_or_saveexec_b32 s13, s0
	v_mov_b32_e32 v11, s5
	v_mov_b32_e32 v13, s9
	v_mov_b32_e32 v15, s7
	v_mov_b32_e32 v10, s4
	v_mov_b32_e32 v12, s8
	v_mov_b32_e32 v14, s6
	v_lshlrev_b32_e32 v17, 8, v1
	s_xor_b32 exec_lo, exec_lo, s13
	s_cbranch_execz .LBB89_18
; %bb.17:
	s_lshl_b64 s[6:7], s[16:17], 5
	s_add_i32 s5, s12, s11
	v_add_co_u32 v10, s0, v8, s6
	v_add_co_ci_u32_e64 v11, null, s7, v9, s0
	s_lshl_b64 s[8:9], s[16:17], 3
	v_add_co_u32 v12, s0, v10, s6
	v_add_co_ci_u32_e64 v13, null, s7, v11, s0
	v_lshl_add_u32 v26, v0, 3, v17
	v_add_co_u32 v14, s0, v12, s6
	v_add_co_ci_u32_e64 v15, null, s7, v13, s0
	s_clause 0x3
	global_load_dwordx2 v[18:19], v[8:9], off
	global_load_dwordx2 v[20:21], v[10:11], off
	;; [unrolled: 1-line block ×4, first 2 shown]
	s_lshl_b64 s[6:7], s[16:17], 2
	v_mov_b32_e32 v11, s5
	v_mov_b32_e32 v13, s9
	;; [unrolled: 1-line block ×6, first 2 shown]
	s_waitcnt vmcnt(2)
	ds_write2st64_b64 v26, v[18:19], v[20:21] offset1:2
	s_waitcnt vmcnt(0)
	ds_write2st64_b64 v26, v[22:23], v[24:25] offset0:4 offset1:6
.LBB89_18:
	s_or_b32 exec_lo, exec_lo, s13
	s_lshl_b64 s[4:5], s[16:17], 7
	v_lshlrev_b64 v[14:15], 3, v[14:15]
	v_add_co_u32 v8, s0, v8, s4
	v_lshlrev_b64 v[12:13], 3, v[12:13]
	v_add_co_ci_u32_e64 v9, null, s5, v9, s0
	v_lshlrev_b64 v[10:11], 3, v[10:11]
	v_add_co_u32 v14, s0, v8, v14
	v_add_co_ci_u32_e64 v15, null, v9, v15, s0
	v_add_co_u32 v12, s0, v8, v12
	v_add_co_ci_u32_e64 v13, null, v9, v13, s0
	;; [unrolled: 2-line block ×3, first 2 shown]
	s_clause 0x3
	global_load_dwordx2 v[18:19], v[8:9], off
	global_load_dwordx2 v[14:15], v[14:15], off
	;; [unrolled: 1-line block ×4, first 2 shown]
	v_sub_nc_u32_e32 v8, v0, v1
	v_add_nc_u32_e32 v9, 0x1000, v17
	v_add_nc_u32_e32 v11, 0x1400, v17
	;; [unrolled: 1-line block ×4, first 2 shown]
	v_sub_nc_u32_e32 v12, 0, v8
	v_mad_u32_u24 v25, 0xf8, v0, v16
	v_add_nc_u32_e32 v10, v16, v9
	v_add_nc_u32_e32 v11, v16, v11
	;; [unrolled: 1-line block ×3, first 2 shown]
	v_max_i32_e32 v13, v8, v12
	v_add_nc_u32_e32 v8, v16, v17
	v_lshl_add_u32 v12, v1, 3, v25
	s_mov_b32 s4, exec_lo
	s_waitcnt vmcnt(3)
	ds_write_b64 v10, v[18:19]
	s_waitcnt vmcnt(2)
	ds_write_b64 v11, v[14:15]
	s_waitcnt vmcnt(1)
	ds_write_b64 v9, v[20:21]
	s_waitcnt vmcnt(0)
	ds_write_b64 v8, v[22:23]
	s_waitcnt lgkmcnt(0)
	s_waitcnt_vscnt null, 0x0
	s_barrier
	buffer_gl0_inv
	v_cmpx_lt_u32_e32 16, v13
	s_cbranch_execz .LBB89_20
; %bb.19:
	ds_read_b64 v[14:15], v12 offset:128
	s_waitcnt lgkmcnt(0)
	ds_write_b64 v10, v[14:15]
.LBB89_20:
	s_or_b32 exec_lo, exec_lo, s4
	s_mov_b32 s4, exec_lo
	v_cmpx_lt_u32_e32 20, v13
	s_cbranch_execz .LBB89_22
; %bb.21:
	ds_read_b64 v[14:15], v12 offset:160
	s_waitcnt lgkmcnt(0)
	ds_write_b64 v11, v[14:15]
.LBB89_22:
	s_or_b32 exec_lo, exec_lo, s4
	s_mov_b32 s4, exec_lo
	;; [unrolled: 9-line block ×3, first 2 shown]
	v_cmpx_lt_u32_e32 28, v13
	s_cbranch_execz .LBB89_26
; %bb.25:
	ds_read_b64 v[14:15], v12 offset:224
	s_waitcnt lgkmcnt(0)
	ds_write_b64 v8, v[14:15]
.LBB89_26:
	s_or_b32 exec_lo, exec_lo, s4
	v_lshlrev_b32_e32 v14, 5, v1
	s_mov_b32 s4, exec_lo
	v_cmpx_ge_u32_e64 v0, v1
	s_cbranch_execz .LBB89_28
; %bb.27:
	ds_read_b64 v[17:18], v12
	v_lshl_add_u32 v15, v14, 3, v16
	s_waitcnt lgkmcnt(0)
	ds_write_b64 v15, v[17:18]
.LBB89_28:
	s_or_b32 exec_lo, exec_lo, s4
	v_lshl_add_u32 v15, v1, 8, v16
	s_mov_b32 s4, exec_lo
	v_cmpx_lt_u32_e32 4, v13
	s_cbranch_execz .LBB89_30
; %bb.29:
	ds_read_b64 v[17:18], v12 offset:32
	s_waitcnt lgkmcnt(0)
	ds_write_b64 v15, v[17:18] offset:1024
.LBB89_30:
	s_or_b32 exec_lo, exec_lo, s4
	s_mov_b32 s4, exec_lo
	v_cmpx_lt_u32_e32 8, v13
	s_cbranch_execz .LBB89_32
; %bb.31:
	ds_read_b64 v[17:18], v12 offset:64
	s_waitcnt lgkmcnt(0)
	ds_write_b64 v15, v[17:18] offset:2048
.LBB89_32:
	s_or_b32 exec_lo, exec_lo, s4
	v_lshl_add_u32 v17, v1, 8, 0xc00
	v_cmp_lt_u32_e64 s0, 12, v13
	v_add_nc_u32_e32 v13, v16, v17
	s_and_saveexec_b32 s4, s0
	s_cbranch_execz .LBB89_34
; %bb.33:
	ds_read_b64 v[17:18], v12 offset:96
	s_waitcnt lgkmcnt(0)
	ds_write_b64 v13, v[17:18]
.LBB89_34:
	s_or_b32 exec_lo, exec_lo, s4
	v_lshlrev_b32_e32 v1, 3, v1
	s_waitcnt lgkmcnt(0)
	s_barrier
	buffer_gl0_inv
	v_add_nc_u32_e32 v1, 0x2800, v1
	ds_read2st64_b64 v[17:20], v15 offset1:2
	ds_read2_b64 v[21:24], v1 offset1:4
	s_waitcnt lgkmcnt(0)
	v_fma_f64 v[17:18], v[17:18], v[21:22], 0
	v_fma_f64 v[21:22], v[19:20], v[23:24], v[17:18]
	ds_read2_b64 v[17:20], v1 offset0:8 offset1:12
	ds_read_b64 v[23:24], v15 offset:2048
	ds_read_b64 v[12:13], v13
	s_waitcnt lgkmcnt(1)
	v_fma_f64 v[17:18], v[23:24], v[17:18], v[21:22]
	s_waitcnt lgkmcnt(0)
	v_fma_f64 v[12:13], v[12:13], v[19:20], v[17:18]
	ds_read2_b64 v[17:20], v1 offset0:16 offset1:20
	ds_read_b64 v[21:22], v10
	ds_read_b64 v[10:11], v11
	;; [unrolled: 1-line block ×4, first 2 shown]
	s_waitcnt lgkmcnt(3)
	v_fma_f64 v[8:9], v[21:22], v[17:18], v[12:13]
	s_waitcnt lgkmcnt(2)
	v_fma_f64 v[12:13], v[10:11], v[19:20], v[8:9]
	ds_read2_b64 v[8:11], v1 offset0:24 offset1:28
	v_add_lshl_u32 v1, v14, v0, 3
	s_waitcnt lgkmcnt(0)
	v_fma_f64 v[8:9], v[23:24], v[8:9], v[12:13]
	v_fma_f64 v[8:9], v[25:26], v[10:11], v[8:9]
	ds_write_b64 v1, v[8:9] offset:8192
	s_waitcnt lgkmcnt(0)
	s_barrier
	buffer_gl0_inv
	s_and_saveexec_b32 s0, vcc_lo
	s_cbranch_execz .LBB89_36
; %bb.35:
	v_add_nc_u32_e32 v1, 0x2000, v16
	v_cmp_neq_f64_e32 vcc_lo, 0, v[4:5]
	ds_read2_b64 v[8:11], v1 offset1:32
	s_waitcnt lgkmcnt(0)
	v_add_f64 v[8:9], v[8:9], 0
	v_add_f64 v[12:13], v[8:9], v[10:11]
	ds_read2_b64 v[8:11], v1 offset0:64 offset1:96
	s_waitcnt lgkmcnt(0)
	v_add_f64 v[8:9], v[12:13], v[8:9]
	v_add_f64 v[8:9], v[8:9], v[10:11]
	v_mad_u64_u32 v[10:11], null, s2, v0, 0
	v_mov_b32_e32 v1, v11
	v_mul_f64 v[12:13], v[2:3], v[8:9]
	v_fma_f64 v[2:3], v[2:3], v[8:9], v[6:7]
	v_mad_u64_u32 v[0:1], null, s3, v0, v[1:2]
	v_cndmask_b32_e32 v3, v13, v3, vcc_lo
	v_cndmask_b32_e32 v2, v12, v2, vcc_lo
	v_mov_b32_e32 v11, v0
	v_lshlrev_b64 v[0:1], 3, v[10:11]
	v_add_co_u32 v0, vcc_lo, s1, v0
	v_add_co_ci_u32_e64 v1, null, s10, v1, vcc_lo
	global_store_dwordx2 v[0:1], v[2:3], off
.LBB89_36:
	s_endpgm
	.section	.rodata,"a",@progbits
	.p2align	6, 0x0
	.amdhsa_kernel _ZL50rocblas_symv_kernel_upper_double_buffered_diagonalILi32ELi4E24rocblas_internal_val_ptrIdEPKdPdEvbiT1_lT2_lllS6_lllS5_lT3_llli
		.amdhsa_group_segment_fixed_size 10496
		.amdhsa_private_segment_fixed_size 0
		.amdhsa_kernarg_size 140
		.amdhsa_user_sgpr_count 6
		.amdhsa_user_sgpr_private_segment_buffer 1
		.amdhsa_user_sgpr_dispatch_ptr 0
		.amdhsa_user_sgpr_queue_ptr 0
		.amdhsa_user_sgpr_kernarg_segment_ptr 1
		.amdhsa_user_sgpr_dispatch_id 0
		.amdhsa_user_sgpr_flat_scratch_init 0
		.amdhsa_user_sgpr_private_segment_size 0
		.amdhsa_wavefront_size32 1
		.amdhsa_uses_dynamic_stack 0
		.amdhsa_system_sgpr_private_segment_wavefront_offset 0
		.amdhsa_system_sgpr_workgroup_id_x 1
		.amdhsa_system_sgpr_workgroup_id_y 0
		.amdhsa_system_sgpr_workgroup_id_z 1
		.amdhsa_system_sgpr_workgroup_info 0
		.amdhsa_system_vgpr_workitem_id 1
		.amdhsa_next_free_vgpr 65
		.amdhsa_next_free_sgpr 32
		.amdhsa_reserve_vcc 1
		.amdhsa_reserve_flat_scratch 0
		.amdhsa_float_round_mode_32 0
		.amdhsa_float_round_mode_16_64 0
		.amdhsa_float_denorm_mode_32 3
		.amdhsa_float_denorm_mode_16_64 3
		.amdhsa_dx10_clamp 1
		.amdhsa_ieee_mode 1
		.amdhsa_fp16_overflow 0
		.amdhsa_workgroup_processor_mode 1
		.amdhsa_memory_ordered 1
		.amdhsa_forward_progress 1
		.amdhsa_shared_vgpr_count 0
		.amdhsa_exception_fp_ieee_invalid_op 0
		.amdhsa_exception_fp_denorm_src 0
		.amdhsa_exception_fp_ieee_div_zero 0
		.amdhsa_exception_fp_ieee_overflow 0
		.amdhsa_exception_fp_ieee_underflow 0
		.amdhsa_exception_fp_ieee_inexact 0
		.amdhsa_exception_int_div_zero 0
	.end_amdhsa_kernel
	.section	.text._ZL50rocblas_symv_kernel_upper_double_buffered_diagonalILi32ELi4E24rocblas_internal_val_ptrIdEPKdPdEvbiT1_lT2_lllS6_lllS5_lT3_llli,"axG",@progbits,_ZL50rocblas_symv_kernel_upper_double_buffered_diagonalILi32ELi4E24rocblas_internal_val_ptrIdEPKdPdEvbiT1_lT2_lllS6_lllS5_lT3_llli,comdat
.Lfunc_end89:
	.size	_ZL50rocblas_symv_kernel_upper_double_buffered_diagonalILi32ELi4E24rocblas_internal_val_ptrIdEPKdPdEvbiT1_lT2_lllS6_lllS5_lT3_llli, .Lfunc_end89-_ZL50rocblas_symv_kernel_upper_double_buffered_diagonalILi32ELi4E24rocblas_internal_val_ptrIdEPKdPdEvbiT1_lT2_lllS6_lllS5_lT3_llli
                                        ; -- End function
	.set _ZL50rocblas_symv_kernel_upper_double_buffered_diagonalILi32ELi4E24rocblas_internal_val_ptrIdEPKdPdEvbiT1_lT2_lllS6_lllS5_lT3_llli.num_vgpr, 27
	.set _ZL50rocblas_symv_kernel_upper_double_buffered_diagonalILi32ELi4E24rocblas_internal_val_ptrIdEPKdPdEvbiT1_lT2_lllS6_lllS5_lT3_llli.num_agpr, 0
	.set _ZL50rocblas_symv_kernel_upper_double_buffered_diagonalILi32ELi4E24rocblas_internal_val_ptrIdEPKdPdEvbiT1_lT2_lllS6_lllS5_lT3_llli.numbered_sgpr, 32
	.set _ZL50rocblas_symv_kernel_upper_double_buffered_diagonalILi32ELi4E24rocblas_internal_val_ptrIdEPKdPdEvbiT1_lT2_lllS6_lllS5_lT3_llli.num_named_barrier, 0
	.set _ZL50rocblas_symv_kernel_upper_double_buffered_diagonalILi32ELi4E24rocblas_internal_val_ptrIdEPKdPdEvbiT1_lT2_lllS6_lllS5_lT3_llli.private_seg_size, 0
	.set _ZL50rocblas_symv_kernel_upper_double_buffered_diagonalILi32ELi4E24rocblas_internal_val_ptrIdEPKdPdEvbiT1_lT2_lllS6_lllS5_lT3_llli.uses_vcc, 1
	.set _ZL50rocblas_symv_kernel_upper_double_buffered_diagonalILi32ELi4E24rocblas_internal_val_ptrIdEPKdPdEvbiT1_lT2_lllS6_lllS5_lT3_llli.uses_flat_scratch, 0
	.set _ZL50rocblas_symv_kernel_upper_double_buffered_diagonalILi32ELi4E24rocblas_internal_val_ptrIdEPKdPdEvbiT1_lT2_lllS6_lllS5_lT3_llli.has_dyn_sized_stack, 0
	.set _ZL50rocblas_symv_kernel_upper_double_buffered_diagonalILi32ELi4E24rocblas_internal_val_ptrIdEPKdPdEvbiT1_lT2_lllS6_lllS5_lT3_llli.has_recursion, 0
	.set _ZL50rocblas_symv_kernel_upper_double_buffered_diagonalILi32ELi4E24rocblas_internal_val_ptrIdEPKdPdEvbiT1_lT2_lllS6_lllS5_lT3_llli.has_indirect_call, 0
	.section	.AMDGPU.csdata,"",@progbits
; Kernel info:
; codeLenInByte = 2052
; TotalNumSgprs: 34
; NumVgprs: 27
; ScratchSize: 0
; MemoryBound: 0
; FloatMode: 240
; IeeeMode: 1
; LDSByteSize: 10496 bytes/workgroup (compile time only)
; SGPRBlocks: 0
; VGPRBlocks: 8
; NumSGPRsForWavesPerEU: 34
; NumVGPRsForWavesPerEU: 65
; Occupancy: 12
; WaveLimiterHint : 0
; COMPUTE_PGM_RSRC2:SCRATCH_EN: 0
; COMPUTE_PGM_RSRC2:USER_SGPR: 6
; COMPUTE_PGM_RSRC2:TRAP_HANDLER: 0
; COMPUTE_PGM_RSRC2:TGID_X_EN: 1
; COMPUTE_PGM_RSRC2:TGID_Y_EN: 0
; COMPUTE_PGM_RSRC2:TGID_Z_EN: 1
; COMPUTE_PGM_RSRC2:TIDIG_COMP_CNT: 1
	.section	.text._ZL54rocblas_symv_kernel_upper_double_buffered_non_diagonalILi32ELi4ELi4E24rocblas_internal_val_ptrIdEPKdPdEvbiT2_lT3_lllS6_lllT4_llli,"axG",@progbits,_ZL54rocblas_symv_kernel_upper_double_buffered_non_diagonalILi32ELi4ELi4E24rocblas_internal_val_ptrIdEPKdPdEvbiT2_lT3_lllS6_lllT4_llli,comdat
	.globl	_ZL54rocblas_symv_kernel_upper_double_buffered_non_diagonalILi32ELi4ELi4E24rocblas_internal_val_ptrIdEPKdPdEvbiT2_lT3_lllS6_lllT4_llli ; -- Begin function _ZL54rocblas_symv_kernel_upper_double_buffered_non_diagonalILi32ELi4ELi4E24rocblas_internal_val_ptrIdEPKdPdEvbiT2_lT3_lllS6_lllT4_llli
	.p2align	8
	.type	_ZL54rocblas_symv_kernel_upper_double_buffered_non_diagonalILi32ELi4ELi4E24rocblas_internal_val_ptrIdEPKdPdEvbiT2_lT3_lllS6_lllT4_llli,@function
_ZL54rocblas_symv_kernel_upper_double_buffered_non_diagonalILi32ELi4ELi4E24rocblas_internal_val_ptrIdEPKdPdEvbiT2_lT3_lllS6_lllT4_llli: ; @_ZL54rocblas_symv_kernel_upper_double_buffered_non_diagonalILi32ELi4ELi4E24rocblas_internal_val_ptrIdEPKdPdEvbiT2_lT3_lllS6_lllT4_llli
; %bb.0:
	s_clause 0x1
	s_load_dword s0, s[4:5], 0x0
	s_load_dwordx16 s[12:27], s[4:5], 0x8
	s_waitcnt lgkmcnt(0)
	s_bitcmp1_b32 s0, 0
	v_mov_b32_e32 v5, s12
	v_mov_b32_e32 v6, s13
	s_cselect_b32 s0, -1, 0
	s_and_b32 vcc_lo, exec_lo, s0
	s_cbranch_vccnz .LBB90_2
; %bb.1:
	s_mul_i32 s0, s15, s8
	s_mul_hi_u32 s1, s14, s8
	s_add_i32 s1, s1, s0
	s_mul_i32 s0, s14, s8
	s_lshl_b64 s[0:1], s[0:1], 3
	s_add_u32 s0, s12, s0
	s_addc_u32 s1, s13, s1
	v_mov_b32_e32 v3, s1
	v_mov_b32_e32 v2, s0
	flat_load_dwordx2 v[5:6], v[2:3]
.LBB90_2:
	s_mov_b32 s0, exec_lo
	s_waitcnt vmcnt(0) lgkmcnt(0)
	v_cmpx_neq_f64_e32 0, v[5:6]
	s_cbranch_execz .LBB90_27
; %bb.3:
	s_load_dword s1, s[4:5], 0x84
	s_cmp_eq_u32 s6, 0
	s_waitcnt lgkmcnt(0)
	v_cvt_f32_u32_e32 v2, s1
	v_rcp_iflag_f32_e32 v2, v2
	v_mul_f32_e32 v2, 0x4f7ffffe, v2
	v_cvt_u32_f32_e32 v2, v2
	v_readfirstlane_b32 s0, v2
	s_cbranch_scc1 .LBB90_27
; %bb.4:
	s_load_dwordx4 s[12:15], s[4:5], 0x48
	s_sub_i32 s2, 0, s1
	v_cmp_eq_u32_e32 vcc_lo, 0, v1
	s_mul_i32 s9, s2, s0
	s_mul_hi_u32 s9, s0, s9
	s_add_i32 s0, s0, s9
	s_waitcnt lgkmcnt(0)
	s_mul_i32 s3, s15, s8
	s_mul_hi_u32 s10, s14, s8
	s_mul_i32 s2, s14, s8
	s_add_i32 s3, s10, s3
	s_lshl_b64 s[2:3], s[2:3], 3
	s_add_u32 s9, s24, s2
	s_addc_u32 s10, s25, s3
	s_lshl_b64 s[2:3], s[26:27], 3
	s_add_u32 s9, s9, s2
	s_addc_u32 s25, s10, s3
	s_lshl_b32 s14, s6, 5
	s_mul_hi_u32 s2, s6, s0
	s_ashr_i32 s15, s14, 31
	s_and_saveexec_b32 s3, vcc_lo
	s_cbranch_execz .LBB90_6
; %bb.5:
	v_mad_u64_u32 v[2:3], null, s12, v0, 0
	s_mul_i32 s0, s12, s15
	s_mul_hi_u32 s10, s12, s14
	s_mul_i32 s11, s13, s14
	s_add_i32 s0, s10, s0
	s_mul_i32 s10, s12, s14
	s_add_i32 s11, s0, s11
	v_mad_u64_u32 v[3:4], null, s13, v0, v[3:4]
	s_lshl_b64 s[10:11], s[10:11], 3
	v_lshlrev_b32_e32 v4, 3, v0
	s_add_u32 s0, s9, s10
	s_addc_u32 s10, s25, s11
	v_lshlrev_b64 v[2:3], 3, v[2:3]
	v_add_co_u32 v2, s0, s0, v2
	v_add_co_ci_u32_e64 v3, null, s10, v3, s0
	global_load_dwordx2 v[2:3], v[2:3], off
	s_waitcnt vmcnt(0)
	ds_write_b64 v4, v[2:3] offset:6144
.LBB90_6:
	s_or_b32 exec_lo, exec_lo, s3
	s_mul_i32 s0, s2, s1
	s_add_i32 s3, s2, 1
	s_sub_i32 s0, s6, s0
	s_sub_i32 s10, s0, s1
	s_cmp_ge_u32 s0, s1
	s_cselect_b32 s2, s3, s2
	s_cselect_b32 s0, s10, s0
	s_add_i32 s3, s2, 1
	s_cmp_ge_u32 s0, s1
	s_cselect_b32 s10, s3, s2
	s_add_i32 s0, s1, -1
	s_mov_b32 s26, s10
	s_cmp_lg_u32 s7, s0
	s_cbranch_scc1 .LBB90_8
; %bb.7:
	s_mul_i32 s0, s10, s1
	s_sub_i32 s0, s6, s0
	s_add_i32 s26, s0, s10
.LBB90_8:
	s_cmp_eq_u32 s26, 0
	s_cbranch_scc1 .LBB90_27
; %bb.9:
	s_clause 0x2
	s_load_dwordx2 s[28:29], s[4:5], 0x70
	s_load_dwordx2 s[30:31], s[4:5], 0x58
	s_load_dwordx4 s[0:3], s[4:5], 0x60
	v_lshl_add_u32 v1, v1, 5, v0
	v_and_b32_e32 v7, 15, v0
	s_waitcnt lgkmcnt(0)
	s_barrier
	buffer_gl0_inv
	v_lshrrev_b32_e32 v60, 4, v1
	s_mul_i32 s5, s29, s8
	s_mul_hi_u32 s6, s28, s8
	s_mul_i32 s4, s28, s8
	s_add_i32 s5, s6, s5
	s_lshl_b64 s[4:5], s[4:5], 3
	s_add_u32 s4, s30, s4
	s_addc_u32 s5, s31, s5
	s_lshl_b64 s[0:1], s[0:1], 3
	s_add_u32 s24, s4, s0
	s_addc_u32 s1, s5, s1
	s_cmp_lt_i32 s26, 1
	s_cbranch_scc1 .LBB90_18
; %bb.10:
	v_lshlrev_b32_e32 v3, 2, v60
	v_mov_b32_e32 v8, 0
	s_mul_i32 s0, s23, s8
	s_mul_hi_u32 s4, s22, s8
	s_mul_i32 s7, s7, s10
	s_add_i32 s5, s4, s0
	v_mad_u64_u32 v[1:2], null, s20, v3, v[7:8]
	s_mul_i32 s4, s22, s8
	s_lshl_b32 s6, s7, 5
	s_lshl_b64 s[4:5], s[4:5], 3
	s_ashr_i32 s7, s6, 31
	s_add_u32 s0, s16, s4
	s_addc_u32 s8, s17, s5
	s_lshl_b64 s[4:5], s[18:19], 3
	v_mad_u64_u32 v[2:3], null, s21, v3, v[2:3]
	s_add_u32 s0, s0, s4
	s_addc_u32 s8, s8, s5
	s_mul_i32 s4, s20, s15
	s_mul_hi_u32 s5, s20, s14
	s_mul_i32 s10, s2, s6
	s_add_i32 s4, s5, s4
	s_mul_i32 s5, s21, s14
	v_lshlrev_b64 v[8:9], 3, v[1:2]
	s_add_i32 s5, s4, s5
	s_mul_i32 s4, s20, s14
	v_mad_u64_u32 v[1:2], null, s12, v7, 0
	s_lshl_b64 s[4:5], s[4:5], 3
	v_lshlrev_b32_e32 v17, 8, v60
	s_add_u32 s0, s0, s4
	s_addc_u32 s8, s8, s5
	s_lshl_b64 s[4:5], s[6:7], 3
	v_lshl_add_u32 v63, v60, 5, 0x1800
	s_add_u32 s16, s0, s4
	s_addc_u32 s17, s8, s5
	v_add_co_u32 v3, s0, s16, v8
	v_add_co_ci_u32_e64 v4, null, s17, v9, s0
	s_mul_i32 s0, s2, s7
	v_mad_u64_u32 v[10:11], null, s13, v7, v[2:3]
	s_mul_hi_u32 s4, s2, s6
	s_mul_i32 s8, s3, s6
	s_add_i32 s0, s4, s0
	s_lshl_b64 s[4:5], s[20:21], 3
	s_add_i32 s11, s0, s8
	v_add_co_u32 v11, s0, v3, s4
	s_lshl_b64 s[10:11], s[10:11], 3
	v_add_co_ci_u32_e64 v12, null, s5, v4, s0
	s_mul_i32 s0, s12, s7
	s_mul_hi_u32 s7, s12, s6
	v_mov_b32_e32 v2, v10
	s_add_u32 s10, s24, s10
	s_addc_u32 s11, s1, s11
	s_add_i32 s0, s7, s0
	s_mul_i32 s7, s13, s6
	s_mul_i32 s6, s12, s6
	s_add_i32 s7, s0, s7
	v_add_co_u32 v13, s0, v11, s4
	v_lshlrev_b64 v[24:25], 3, v[1:2]
	v_add_co_ci_u32_e64 v14, null, s5, v12, s0
	s_lshl_b64 s[6:7], s[6:7], 3
	v_add_co_u32 v1, s0, v13, s4
	s_add_u32 s18, s9, s6
	v_add_co_ci_u32_e64 v2, null, s5, v14, s0
	s_addc_u32 s19, s25, s7
	v_add_co_u32 v15, s0, s18, v24
	v_add_co_ci_u32_e64 v16, null, s19, v25, s0
	s_clause 0x3
	global_load_dwordx2 v[28:29], v[3:4], off
	global_load_dwordx2 v[30:31], v[11:12], off
	;; [unrolled: 1-line block ×5, first 2 shown]
	v_or_b32_e32 v10, 16, v7
	v_mad_u64_u32 v[3:4], null, s2, v0, 0
	v_lshl_or_b32 v16, v7, 3, 0x1000
	v_mov_b32_e32 v14, 0
	v_mad_u64_u32 v[1:2], null, s12, v10, 0
	v_lshl_or_b32 v61, v0, 3, 0x1000
	v_mov_b32_e32 v15, 0
	v_add_nc_u32_e32 v62, v16, v17
	s_cmp_eq_u32 s26, 1
	v_mad_u64_u32 v[10:11], null, s13, v10, v[2:3]
	v_mad_u64_u32 v[11:12], null, s3, v0, v[4:5]
	v_mov_b32_e32 v2, v10
	v_mov_b32_e32 v4, v11
	v_lshlrev_b64 v[18:19], 3, v[1:2]
	v_lshlrev_b64 v[10:11], 3, v[3:4]
	s_cbranch_scc1 .LBB90_19
; %bb.11:
	v_mov_b32_e32 v16, 0
	v_mov_b32_e32 v22, 0
	;; [unrolled: 1-line block ×5, first 2 shown]
	s_lshl_b64 s[20:21], s[20:21], 4
	v_mov_b32_e32 v17, 0
	v_mov_b32_e32 v23, 0
	;; [unrolled: 1-line block ×5, first 2 shown]
	s_lshl_b64 s[6:7], s[12:13], 8
	s_lshl_b64 s[8:9], s[2:3], 8
	s_add_i32 s12, s26, -2
	s_sub_u32 s10, 0, s20
	s_subb_u32 s11, 0, s21
	s_mov_b32 s13, 0
.LBB90_12:                              ; =>This Loop Header: Depth=1
                                        ;     Child Loop BB90_14 Depth 2
	v_add_co_u32 v1, s0, s16, v8
	v_add_co_ci_u32_e64 v2, null, s17, v9, s0
	v_add_co_u32 v3, s0, v1, s4
	global_load_dwordx2 v[46:47], v[1:2], off offset:128
	v_add_co_ci_u32_e64 v4, null, s5, v2, s0
	global_load_dwordx2 v[48:49], v[3:4], off offset:128
	v_add_co_u32 v3, s0, v3, s4
	v_add_co_ci_u32_e64 v4, null, s5, v4, s0
	global_load_dwordx2 v[50:51], v[3:4], off offset:128
	v_add_co_u32 v3, s0, v3, s4
	v_add_co_ci_u32_e64 v4, null, s5, v4, s0
	v_add_co_u32 v36, s0, s18, v18
	v_add_co_ci_u32_e64 v37, null, s19, v19, s0
	global_load_dwordx2 v[52:53], v[3:4], off offset:128
	v_add_co_u32 v3, s0, v3, s10
	s_add_u32 s18, s18, s6
	v_add_co_ci_u32_e64 v4, null, s11, v4, s0
	s_addc_u32 s19, s19, s7
	v_add_co_u32 v38, s0, s18, v24
	v_add_co_ci_u32_e64 v39, null, s19, v25, s0
	v_add_co_u32 v56, s0, v3, s4
	v_add_co_ci_u32_e64 v57, null, s5, v4, s0
	global_load_dwordx2 v[54:55], v[36:37], off
	v_add_co_u32 v36, s0, v56, s4
	v_add_co_ci_u32_e64 v37, null, s5, v57, s0
	global_load_dwordx2 v[44:45], v[38:39], off
	s_clause 0x3
	global_load_dwordx2 v[42:43], v[1:2], off offset:256
	global_load_dwordx2 v[40:41], v[3:4], off offset:256
	;; [unrolled: 1-line block ×4, first 2 shown]
	ds_read_b128 v[1:4], v63
	ds_read_b128 v[56:59], v63 offset:16
	s_waitcnt vmcnt(0) lgkmcnt(0)
	s_barrier
	buffer_gl0_inv
	v_fma_f64 v[64:65], v[28:29], v[1:2], 0
	v_fma_f64 v[64:65], v[30:31], v[3:4], v[64:65]
	;; [unrolled: 1-line block ×8, first 2 shown]
	ds_write2_b64 v62, v[3:4], v[1:2] offset1:16
	s_waitcnt lgkmcnt(0)
	s_barrier
	buffer_gl0_inv
	s_and_saveexec_b32 s20, vcc_lo
	s_cbranch_execz .LBB90_16
; %bb.13:                               ;   in Loop: Header=BB90_12 Depth=1
	v_add_co_u32 v56, s0, v12, v10
	v_add_co_ci_u32_e64 v57, null, v13, v11, s0
	ds_read2_b64 v[64:67], v61 offset1:32
	s_mov_b32 s21, 0
	global_load_dwordx2 v[3:4], v[56:57], off
	s_waitcnt lgkmcnt(0)
	v_add_f64 v[1:2], v[64:65], 0
	v_add_f64 v[1:2], v[1:2], v[66:67]
	ds_read2_b64 v[64:67], v61 offset0:64 offset1:96
	s_waitcnt lgkmcnt(0)
	v_add_f64 v[1:2], v[1:2], v[64:65]
	v_add_f64 v[1:2], v[1:2], v[66:67]
	ds_read2_b64 v[64:67], v61 offset0:128 offset1:160
	;; [unrolled: 4-line block ×3, first 2 shown]
	s_waitcnt lgkmcnt(0)
	v_add_f64 v[1:2], v[1:2], v[64:65]
	v_add_f64 v[1:2], v[1:2], v[66:67]
	v_mul_f64 v[58:59], v[5:6], v[1:2]
.LBB90_14:                              ;   Parent Loop BB90_12 Depth=1
                                        ; =>  This Inner Loop Header: Depth=2
	s_waitcnt vmcnt(0)
	v_add_f64 v[1:2], v[3:4], v[58:59]
	global_atomic_cmpswap_x2 v[1:2], v[56:57], v[1:4], off glc
	s_waitcnt vmcnt(0)
	v_cmp_eq_u64_e64 s0, v[1:2], v[3:4]
	v_mov_b32_e32 v4, v2
	v_mov_b32_e32 v3, v1
	s_or_b32 s21, s0, s21
	s_andn2_b32 exec_lo, exec_lo, s21
	s_cbranch_execnz .LBB90_14
; %bb.15:                               ;   in Loop: Header=BB90_12 Depth=1
	s_or_b32 exec_lo, exec_lo, s21
	v_add_co_u32 v12, s0, v12, s8
	v_add_co_ci_u32_e64 v13, null, s9, v13, s0
.LBB90_16:                              ;   in Loop: Header=BB90_12 Depth=1
	s_or_b32 exec_lo, exec_lo, s20
	v_fma_f64 v[1:2], v[26:27], v[28:29], v[16:17]
	v_fma_f64 v[3:4], v[26:27], v[30:31], v[22:23]
	;; [unrolled: 1-line block ×4, first 2 shown]
	s_add_u32 s16, s16, 0x100
	s_addc_u32 s17, s17, 0
	s_add_i32 s0, s13, 1
	s_cmp_eq_u32 s13, s12
	v_fma_f64 v[16:17], v[54:55], v[46:47], v[1:2]
	v_fma_f64 v[22:23], v[54:55], v[48:49], v[3:4]
	;; [unrolled: 1-line block ×4, first 2 shown]
	s_cbranch_scc1 .LBB90_20
; %bb.17:                               ;   in Loop: Header=BB90_12 Depth=1
	v_mov_b32_e32 v26, v44
	v_mov_b32_e32 v28, v42
	v_mov_b32_e32 v30, v40
	v_mov_b32_e32 v32, v38
	v_mov_b32_e32 v34, v36
	v_mov_b32_e32 v27, v45
	v_mov_b32_e32 v29, v43
	v_mov_b32_e32 v31, v41
	v_mov_b32_e32 v33, v39
	v_mov_b32_e32 v35, v37
	s_mov_b32 s13, s0
	s_branch .LBB90_12
.LBB90_18:
	v_mov_b32_e32 v1, 0
	v_mov_b32_e32 v3, 0
	;; [unrolled: 1-line block ×8, first 2 shown]
	s_branch .LBB90_24
.LBB90_19:
	v_mov_b32_e32 v13, s11
	s_waitcnt vmcnt(1)
	v_mov_b32_e32 v37, v35
	v_mov_b32_e32 v39, v33
	;; [unrolled: 1-line block ×7, first 2 shown]
	s_waitcnt vmcnt(0)
	v_mov_b32_e32 v45, v27
	v_mov_b32_e32 v12, s10
	;; [unrolled: 1-line block ×10, first 2 shown]
.LBB90_20:
	v_add_co_u32 v1, s0, s16, v8
	v_add_co_ci_u32_e64 v2, null, s17, v9, s0
	v_fma_f64 v[16:17], v[44:45], v[42:43], v[16:17]
	v_fma_f64 v[22:23], v[44:45], v[40:41], v[22:23]
	;; [unrolled: 1-line block ×3, first 2 shown]
	global_load_dwordx2 v[8:9], v[1:2], off offset:128
	v_add_co_u32 v1, s0, v1, s4
	v_add_co_ci_u32_e64 v2, null, s5, v2, s0
	v_fma_f64 v[14:15], v[44:45], v[36:37], v[14:15]
	global_load_dwordx2 v[24:25], v[1:2], off offset:128
	v_add_co_u32 v1, s0, v1, s4
	v_add_co_ci_u32_e64 v2, null, s5, v2, s0
	global_load_dwordx2 v[26:27], v[1:2], off offset:128
	v_add_co_u32 v1, s0, v1, s4
	v_add_co_ci_u32_e64 v2, null, s5, v2, s0
	;; [unrolled: 3-line block ×3, first 2 shown]
	global_load_dwordx2 v[18:19], v[1:2], off
	ds_read_b128 v[1:4], v63
	ds_read_b128 v[30:33], v63 offset:16
	s_waitcnt vmcnt(0) lgkmcnt(0)
	s_barrier
	buffer_gl0_inv
	v_fma_f64 v[34:35], v[42:43], v[1:2], 0
	v_fma_f64 v[34:35], v[40:41], v[3:4], v[34:35]
	;; [unrolled: 1-line block ×8, first 2 shown]
	ds_write2_b64 v62, v[3:4], v[1:2] offset1:16
	s_waitcnt lgkmcnt(0)
	s_barrier
	buffer_gl0_inv
	s_and_saveexec_b32 s4, vcc_lo
	s_cbranch_execz .LBB90_23
; %bb.21:
	v_add_co_u32 v10, s0, v12, v10
	v_add_co_ci_u32_e64 v11, null, v13, v11, s0
	ds_read2_b64 v[30:33], v61 offset1:32
	s_mov_b32 s5, 0
	global_load_dwordx2 v[3:4], v[10:11], off
	s_waitcnt lgkmcnt(0)
	v_add_f64 v[1:2], v[30:31], 0
	v_add_f64 v[1:2], v[1:2], v[32:33]
	ds_read2_b64 v[30:33], v61 offset0:64 offset1:96
	s_waitcnt lgkmcnt(0)
	v_add_f64 v[1:2], v[1:2], v[30:31]
	v_add_f64 v[1:2], v[1:2], v[32:33]
	ds_read2_b64 v[30:33], v61 offset0:128 offset1:160
	;; [unrolled: 4-line block ×3, first 2 shown]
	s_waitcnt lgkmcnt(0)
	v_add_f64 v[1:2], v[1:2], v[30:31]
	v_add_f64 v[1:2], v[1:2], v[32:33]
	v_mul_f64 v[12:13], v[5:6], v[1:2]
.LBB90_22:                              ; =>This Inner Loop Header: Depth=1
	s_waitcnt vmcnt(0)
	v_add_f64 v[1:2], v[3:4], v[12:13]
	global_atomic_cmpswap_x2 v[1:2], v[10:11], v[1:4], off glc
	s_waitcnt vmcnt(0)
	v_cmp_eq_u64_e64 s0, v[1:2], v[3:4]
	v_mov_b32_e32 v4, v2
	v_mov_b32_e32 v3, v1
	s_or_b32 s5, s0, s5
	s_andn2_b32 exec_lo, exec_lo, s5
	s_cbranch_execnz .LBB90_22
.LBB90_23:
	s_or_b32 exec_lo, exec_lo, s4
	v_fma_f64 v[10:11], v[18:19], v[8:9], v[16:17]
	v_fma_f64 v[8:9], v[18:19], v[24:25], v[22:23]
	;; [unrolled: 1-line block ×4, first 2 shown]
.LBB90_24:
	v_lshlrev_b32_e32 v12, 9, v60
	v_lshl_or_b32 v12, v7, 3, v12
	ds_write2_b64 v12, v[10:11], v[8:9] offset1:16
	ds_write2_b64 v12, v[3:4], v[1:2] offset0:32 offset1:48
	s_waitcnt lgkmcnt(0)
	s_barrier
	buffer_gl0_inv
	s_and_b32 exec_lo, exec_lo, vcc_lo
	s_cbranch_execz .LBB90_27
; %bb.25:
	v_lshlrev_b32_e32 v20, 7, v0
	v_add_nc_u32_e32 v3, 1, v0
	v_add_nc_u32_e32 v4, 2, v0
	;; [unrolled: 1-line block ×3, first 2 shown]
	v_mad_u64_u32 v[12:13], null, s2, v0, 0
	v_lshl_or_b32 v1, v7, 3, v20
	v_and_b32_e32 v3, 15, v3
	v_and_b32_e32 v4, 15, v4
	;; [unrolled: 1-line block ×3, first 2 shown]
	s_mul_i32 s0, s2, s15
	ds_read_b64 v[1:2], v1
	v_lshl_or_b32 v3, v3, 3, v20
	v_lshl_or_b32 v9, v4, 3, v20
	;; [unrolled: 1-line block ×3, first 2 shown]
	ds_read_b64 v[3:4], v3
	ds_read_b64 v[8:9], v9
	;; [unrolled: 1-line block ×3, first 2 shown]
	s_mul_hi_u32 s4, s2, s14
	s_mul_i32 s2, s2, s14
	s_add_i32 s0, s4, s0
	v_add_nc_u32_e32 v14, 7, v0
	v_and_b32_e32 v14, 15, v14
	v_lshl_or_b32 v18, v14, 3, v20
	s_waitcnt lgkmcnt(3)
	v_add_f64 v[1:2], v[1:2], 0
	s_waitcnt lgkmcnt(2)
	v_add_f64 v[1:2], v[1:2], v[3:4]
	v_mov_b32_e32 v3, v13
	v_mad_u64_u32 v[3:4], null, s3, v0, v[3:4]
	s_mul_i32 s3, s3, s14
	s_add_i32 s3, s0, s3
	s_lshl_b64 s[2:3], s[2:3], 3
	v_mov_b32_e32 v13, v3
	s_add_u32 s0, s24, s2
	s_addc_u32 s1, s1, s3
	v_lshlrev_b64 v[3:4], 3, v[12:13]
	s_waitcnt lgkmcnt(1)
	v_add_f64 v[12:13], v[1:2], v[8:9]
	v_add_nc_u32_e32 v1, 4, v0
	v_add_co_u32 v8, vcc_lo, s0, v3
	v_add_co_ci_u32_e64 v9, null, s1, v4, vcc_lo
	v_and_b32_e32 v1, 15, v1
	v_add_nc_u32_e32 v4, 6, v0
	s_mov_b32 s0, 0
	global_load_dwordx2 v[2:3], v[8:9], off
	v_lshl_or_b32 v1, v1, 3, v20
	v_and_b32_e32 v4, 15, v4
	v_lshl_or_b32 v4, v4, 3, v20
	s_waitcnt lgkmcnt(0)
	v_add_f64 v[10:11], v[12:13], v[10:11]
	ds_read_b64 v[12:13], v1
	v_add_nc_u32_e32 v1, 5, v0
	v_and_b32_e32 v1, 15, v1
	v_lshl_or_b32 v1, v1, 3, v20
	ds_read_b64 v[14:15], v1
	ds_read_b64 v[16:17], v4
	;; [unrolled: 1-line block ×3, first 2 shown]
	v_xor_b32_e32 v1, 8, v7
	v_add_nc_u32_e32 v4, 10, v0
	v_add_nc_u32_e32 v7, 11, v0
	s_waitcnt lgkmcnt(3)
	v_add_f64 v[10:11], v[10:11], v[12:13]
	v_lshl_or_b32 v1, v1, 3, v20
	v_and_b32_e32 v4, 15, v4
	v_and_b32_e32 v7, 15, v7
	ds_read_b64 v[12:13], v1
	v_add_nc_u32_e32 v1, 9, v0
	v_lshl_or_b32 v4, v4, 3, v20
	v_lshl_or_b32 v7, v7, 3, v20
	v_and_b32_e32 v1, 15, v1
	v_lshl_or_b32 v1, v1, 3, v20
	s_waitcnt lgkmcnt(3)
	v_add_f64 v[10:11], v[10:11], v[14:15]
	s_waitcnt lgkmcnt(2)
	v_add_f64 v[10:11], v[10:11], v[16:17]
	;; [unrolled: 2-line block ×3, first 2 shown]
	ds_read_b64 v[14:15], v1
	ds_read_b64 v[16:17], v4
	;; [unrolled: 1-line block ×3, first 2 shown]
	v_add_nc_u32_e32 v1, 12, v0
	v_add_nc_u32_e32 v4, 14, v0
	v_and_b32_e32 v1, 15, v1
	v_and_b32_e32 v4, 15, v4
	v_lshl_or_b32 v1, v1, 3, v20
	v_lshl_or_b32 v4, v4, 3, v20
	s_waitcnt lgkmcnt(3)
	v_add_f64 v[10:11], v[10:11], v[12:13]
	ds_read_b64 v[12:13], v1
	v_add_nc_u32_e32 v1, 13, v0
	v_add_nc_u32_e32 v0, -1, v0
	v_and_b32_e32 v1, 15, v1
	v_and_b32_e32 v0, 15, v0
	v_lshl_or_b32 v1, v1, 3, v20
	v_lshl_or_b32 v7, v0, 3, v20
	s_waitcnt lgkmcnt(3)
	v_add_f64 v[10:11], v[10:11], v[14:15]
	s_waitcnt lgkmcnt(2)
	v_add_f64 v[10:11], v[10:11], v[16:17]
	ds_read_b64 v[0:1], v1
	ds_read_b64 v[14:15], v4
	;; [unrolled: 1-line block ×3, first 2 shown]
	s_waitcnt lgkmcnt(4)
	v_add_f64 v[10:11], v[10:11], v[18:19]
	s_waitcnt lgkmcnt(3)
	v_add_f64 v[10:11], v[10:11], v[12:13]
	;; [unrolled: 2-line block ×5, first 2 shown]
	v_mul_f64 v[4:5], v[5:6], v[0:1]
.LBB90_26:                              ; =>This Inner Loop Header: Depth=1
	s_waitcnt vmcnt(0)
	v_add_f64 v[0:1], v[2:3], v[4:5]
	global_atomic_cmpswap_x2 v[0:1], v[8:9], v[0:3], off glc
	s_waitcnt vmcnt(0)
	v_cmp_eq_u64_e32 vcc_lo, v[0:1], v[2:3]
	v_mov_b32_e32 v3, v1
	v_mov_b32_e32 v2, v0
	s_or_b32 s0, vcc_lo, s0
	s_andn2_b32 exec_lo, exec_lo, s0
	s_cbranch_execnz .LBB90_26
.LBB90_27:
	s_endpgm
	.section	.rodata,"a",@progbits
	.p2align	6, 0x0
	.amdhsa_kernel _ZL54rocblas_symv_kernel_upper_double_buffered_non_diagonalILi32ELi4ELi4E24rocblas_internal_val_ptrIdEPKdPdEvbiT2_lT3_lllS6_lllT4_llli
		.amdhsa_group_segment_fixed_size 6400
		.amdhsa_private_segment_fixed_size 0
		.amdhsa_kernarg_size 384
		.amdhsa_user_sgpr_count 6
		.amdhsa_user_sgpr_private_segment_buffer 1
		.amdhsa_user_sgpr_dispatch_ptr 0
		.amdhsa_user_sgpr_queue_ptr 0
		.amdhsa_user_sgpr_kernarg_segment_ptr 1
		.amdhsa_user_sgpr_dispatch_id 0
		.amdhsa_user_sgpr_flat_scratch_init 0
		.amdhsa_user_sgpr_private_segment_size 0
		.amdhsa_wavefront_size32 1
		.amdhsa_uses_dynamic_stack 0
		.amdhsa_system_sgpr_private_segment_wavefront_offset 0
		.amdhsa_system_sgpr_workgroup_id_x 1
		.amdhsa_system_sgpr_workgroup_id_y 1
		.amdhsa_system_sgpr_workgroup_id_z 1
		.amdhsa_system_sgpr_workgroup_info 0
		.amdhsa_system_vgpr_workitem_id 1
		.amdhsa_next_free_vgpr 68
		.amdhsa_next_free_sgpr 32
		.amdhsa_reserve_vcc 1
		.amdhsa_reserve_flat_scratch 0
		.amdhsa_float_round_mode_32 0
		.amdhsa_float_round_mode_16_64 0
		.amdhsa_float_denorm_mode_32 3
		.amdhsa_float_denorm_mode_16_64 3
		.amdhsa_dx10_clamp 1
		.amdhsa_ieee_mode 1
		.amdhsa_fp16_overflow 0
		.amdhsa_workgroup_processor_mode 1
		.amdhsa_memory_ordered 1
		.amdhsa_forward_progress 1
		.amdhsa_shared_vgpr_count 0
		.amdhsa_exception_fp_ieee_invalid_op 0
		.amdhsa_exception_fp_denorm_src 0
		.amdhsa_exception_fp_ieee_div_zero 0
		.amdhsa_exception_fp_ieee_overflow 0
		.amdhsa_exception_fp_ieee_underflow 0
		.amdhsa_exception_fp_ieee_inexact 0
		.amdhsa_exception_int_div_zero 0
	.end_amdhsa_kernel
	.section	.text._ZL54rocblas_symv_kernel_upper_double_buffered_non_diagonalILi32ELi4ELi4E24rocblas_internal_val_ptrIdEPKdPdEvbiT2_lT3_lllS6_lllT4_llli,"axG",@progbits,_ZL54rocblas_symv_kernel_upper_double_buffered_non_diagonalILi32ELi4ELi4E24rocblas_internal_val_ptrIdEPKdPdEvbiT2_lT3_lllS6_lllT4_llli,comdat
.Lfunc_end90:
	.size	_ZL54rocblas_symv_kernel_upper_double_buffered_non_diagonalILi32ELi4ELi4E24rocblas_internal_val_ptrIdEPKdPdEvbiT2_lT3_lllS6_lllT4_llli, .Lfunc_end90-_ZL54rocblas_symv_kernel_upper_double_buffered_non_diagonalILi32ELi4ELi4E24rocblas_internal_val_ptrIdEPKdPdEvbiT2_lT3_lllS6_lllT4_llli
                                        ; -- End function
	.set _ZL54rocblas_symv_kernel_upper_double_buffered_non_diagonalILi32ELi4ELi4E24rocblas_internal_val_ptrIdEPKdPdEvbiT2_lT3_lllS6_lllT4_llli.num_vgpr, 68
	.set _ZL54rocblas_symv_kernel_upper_double_buffered_non_diagonalILi32ELi4ELi4E24rocblas_internal_val_ptrIdEPKdPdEvbiT2_lT3_lllS6_lllT4_llli.num_agpr, 0
	.set _ZL54rocblas_symv_kernel_upper_double_buffered_non_diagonalILi32ELi4ELi4E24rocblas_internal_val_ptrIdEPKdPdEvbiT2_lT3_lllS6_lllT4_llli.numbered_sgpr, 32
	.set _ZL54rocblas_symv_kernel_upper_double_buffered_non_diagonalILi32ELi4ELi4E24rocblas_internal_val_ptrIdEPKdPdEvbiT2_lT3_lllS6_lllT4_llli.num_named_barrier, 0
	.set _ZL54rocblas_symv_kernel_upper_double_buffered_non_diagonalILi32ELi4ELi4E24rocblas_internal_val_ptrIdEPKdPdEvbiT2_lT3_lllS6_lllT4_llli.private_seg_size, 0
	.set _ZL54rocblas_symv_kernel_upper_double_buffered_non_diagonalILi32ELi4ELi4E24rocblas_internal_val_ptrIdEPKdPdEvbiT2_lT3_lllS6_lllT4_llli.uses_vcc, 1
	.set _ZL54rocblas_symv_kernel_upper_double_buffered_non_diagonalILi32ELi4ELi4E24rocblas_internal_val_ptrIdEPKdPdEvbiT2_lT3_lllS6_lllT4_llli.uses_flat_scratch, 0
	.set _ZL54rocblas_symv_kernel_upper_double_buffered_non_diagonalILi32ELi4ELi4E24rocblas_internal_val_ptrIdEPKdPdEvbiT2_lT3_lllS6_lllT4_llli.has_dyn_sized_stack, 0
	.set _ZL54rocblas_symv_kernel_upper_double_buffered_non_diagonalILi32ELi4ELi4E24rocblas_internal_val_ptrIdEPKdPdEvbiT2_lT3_lllS6_lllT4_llli.has_recursion, 0
	.set _ZL54rocblas_symv_kernel_upper_double_buffered_non_diagonalILi32ELi4ELi4E24rocblas_internal_val_ptrIdEPKdPdEvbiT2_lT3_lllS6_lllT4_llli.has_indirect_call, 0
	.section	.AMDGPU.csdata,"",@progbits
; Kernel info:
; codeLenInByte = 3212
; TotalNumSgprs: 34
; NumVgprs: 68
; ScratchSize: 0
; MemoryBound: 0
; FloatMode: 240
; IeeeMode: 1
; LDSByteSize: 6400 bytes/workgroup (compile time only)
; SGPRBlocks: 0
; VGPRBlocks: 8
; NumSGPRsForWavesPerEU: 34
; NumVGPRsForWavesPerEU: 68
; Occupancy: 12
; WaveLimiterHint : 0
; COMPUTE_PGM_RSRC2:SCRATCH_EN: 0
; COMPUTE_PGM_RSRC2:USER_SGPR: 6
; COMPUTE_PGM_RSRC2:TRAP_HANDLER: 0
; COMPUTE_PGM_RSRC2:TGID_X_EN: 1
; COMPUTE_PGM_RSRC2:TGID_Y_EN: 1
; COMPUTE_PGM_RSRC2:TGID_Z_EN: 1
; COMPUTE_PGM_RSRC2:TIDIG_COMP_CNT: 1
	.section	.text._ZL58rocblas_symv_kernel_upper_double_buffered_diagonal_genericILi32ELi8E24rocblas_internal_val_ptrIdEPKdPdEvbiT1_lT2_lllS6_lllS5_lT3_lllii,"axG",@progbits,_ZL58rocblas_symv_kernel_upper_double_buffered_diagonal_genericILi32ELi8E24rocblas_internal_val_ptrIdEPKdPdEvbiT1_lT2_lllS6_lllS5_lT3_lllii,comdat
	.globl	_ZL58rocblas_symv_kernel_upper_double_buffered_diagonal_genericILi32ELi8E24rocblas_internal_val_ptrIdEPKdPdEvbiT1_lT2_lllS6_lllS5_lT3_lllii ; -- Begin function _ZL58rocblas_symv_kernel_upper_double_buffered_diagonal_genericILi32ELi8E24rocblas_internal_val_ptrIdEPKdPdEvbiT1_lT2_lllS6_lllS5_lT3_lllii
	.p2align	8
	.type	_ZL58rocblas_symv_kernel_upper_double_buffered_diagonal_genericILi32ELi8E24rocblas_internal_val_ptrIdEPKdPdEvbiT1_lT2_lllS6_lllS5_lT3_lllii,@function
_ZL58rocblas_symv_kernel_upper_double_buffered_diagonal_genericILi32ELi8E24rocblas_internal_val_ptrIdEPKdPdEvbiT1_lT2_lllS6_lllS5_lT3_lllii: ; @_ZL58rocblas_symv_kernel_upper_double_buffered_diagonal_genericILi32ELi8E24rocblas_internal_val_ptrIdEPKdPdEvbiT1_lT2_lllS6_lllS5_lT3_lllii
; %bb.0:
	s_clause 0x2
	s_load_dword s0, s[4:5], 0x0
	s_load_dwordx16 s[8:23], s[4:5], 0x8
	s_load_dwordx8 s[24:31], s[4:5], 0x48
	s_waitcnt lgkmcnt(0)
	s_bitcmp1_b32 s0, 0
	v_mov_b32_e32 v4, s8
	v_mov_b32_e32 v5, s9
	s_cselect_b32 s0, -1, 0
	s_and_b32 vcc_lo, exec_lo, s0
	s_xor_b32 s0, s0, -1
	s_cbranch_vccnz .LBB91_2
; %bb.1:
	s_mul_i32 s1, s11, s7
	s_mul_hi_u32 s2, s10, s7
	s_add_i32 s3, s2, s1
	s_mul_i32 s2, s10, s7
	s_lshl_b64 s[2:3], s[2:3], 3
	s_add_u32 s2, s8, s2
	s_addc_u32 s3, s9, s3
	v_mov_b32_e32 v2, s2
	v_mov_b32_e32 v3, s3
	flat_load_dwordx2 v[4:5], v[2:3]
.LBB91_2:
	v_mov_b32_e32 v2, s28
	v_mov_b32_e32 v3, s29
	s_andn2_b32 vcc_lo, exec_lo, s0
	s_cbranch_vccnz .LBB91_4
; %bb.3:
	s_mul_i32 s0, s31, s7
	s_mul_hi_u32 s1, s30, s7
	s_add_i32 s1, s1, s0
	s_mul_i32 s0, s30, s7
	s_lshl_b64 s[0:1], s[0:1], 3
	s_add_u32 s0, s28, s0
	s_addc_u32 s1, s29, s1
	v_mov_b32_e32 v3, s1
	v_mov_b32_e32 v2, s0
	flat_load_dwordx2 v[2:3], v[2:3]
.LBB91_4:
	s_waitcnt vmcnt(0) lgkmcnt(0)
	v_cmp_neq_f64_e32 vcc_lo, 0, v[4:5]
	v_cmp_neq_f64_e64 s0, 1.0, v[2:3]
	s_or_b32 s0, vcc_lo, s0
	s_and_saveexec_b32 s1, s0
	s_cbranch_execz .LBB91_44
; %bb.5:
	s_clause 0x3
	s_load_dwordx2 s[8:9], s[4:5], 0x80
	s_load_dwordx2 s[10:11], s[4:5], 0x68
	s_load_dwordx4 s[0:3], s[4:5], 0x70
	s_load_dword s28, s[4:5], 0x88
	s_waitcnt lgkmcnt(0)
	s_mul_i32 s9, s9, s7
	s_mul_hi_u32 s29, s8, s7
	s_mul_i32 s8, s8, s7
	s_add_i32 s9, s29, s9
	s_lshl_b64 s[8:9], s[8:9], 3
	s_add_u32 s8, s10, s8
	s_addc_u32 s9, s11, s9
	s_lshl_b64 s[0:1], s[0:1], 3
	s_add_u32 s8, s8, s0
	s_addc_u32 s9, s9, s1
	s_lshl_b32 s31, s6, 5
	s_ashr_i32 s33, s31, 31
	s_mul_hi_u32 s0, s2, s31
	s_mul_i32 s1, s2, s33
	s_mul_i32 s10, s3, s31
	s_add_i32 s0, s0, s1
	s_add_i32 s1, s0, s10
	s_mul_i32 s0, s2, s31
	s_lshl_b64 s[0:1], s[0:1], 3
	s_add_u32 s29, s8, s0
	s_addc_u32 s30, s9, s1
	s_mov_b32 s0, exec_lo
	v_cmpx_eq_f64_e32 0, v[4:5]
	s_xor_b32 s0, exec_lo, s0
	s_cbranch_execz .LBB91_12
; %bb.6:
	s_mov_b32 s1, exec_lo
	v_cmpx_eq_u32_e32 0, v1
	s_cbranch_execz .LBB91_11
; %bb.7:
	v_cmp_gt_i32_e64 s8, s28, v0
	s_mov_b32 s9, exec_lo
	v_cmpx_le_i32_e64 s28, v0
	s_cbranch_execz .LBB91_9
; %bb.8:
	s_load_dword s10, s[4:5], 0x90
	s_waitcnt lgkmcnt(0)
	s_add_i32 s10, s10, -1
	s_cmp_lt_u32 s6, s10
	s_cselect_b32 s10, -1, 0
	s_andn2_b32 s8, s8, exec_lo
	s_and_b32 s10, s10, exec_lo
	s_or_b32 s8, s8, s10
.LBB91_9:
	s_or_b32 exec_lo, exec_lo, s9
	s_and_b32 exec_lo, exec_lo, s8
	s_cbranch_execz .LBB91_11
; %bb.10:
	v_mad_u64_u32 v[4:5], null, s2, v0, 0
	v_mov_b32_e32 v1, v5
	v_mad_u64_u32 v[0:1], null, s3, v0, v[1:2]
	v_mov_b32_e32 v5, v0
	v_lshlrev_b64 v[0:1], 3, v[4:5]
	v_add_co_u32 v0, vcc_lo, s29, v0
	v_add_co_ci_u32_e64 v1, null, s30, v1, vcc_lo
	global_load_dwordx2 v[4:5], v[0:1], off
	s_waitcnt vmcnt(0)
	v_mul_f64 v[2:3], v[2:3], v[4:5]
	global_store_dwordx2 v[0:1], v[2:3], off
.LBB91_11:
	s_or_b32 exec_lo, exec_lo, s1
                                        ; implicit-def: $vgpr1
                                        ; implicit-def: $vgpr0
                                        ; implicit-def: $vgpr2_vgpr3
                                        ; implicit-def: $vgpr4_vgpr5
.LBB91_12:
	s_andn2_saveexec_b32 s0, s0
	s_cbranch_execz .LBB91_44
; %bb.13:
	v_mov_b32_e32 v6, 0
	v_cmp_ne_u32_e64 s1, 0, v1
	v_mov_b32_e32 v7, 0
	v_cmp_eq_u32_e64 s0, 0, v1
	s_and_saveexec_b32 s8, s0
	s_cbranch_execz .LBB91_21
; %bb.14:
	v_cmp_gt_i32_e64 s10, s28, v0
	s_mov_b32 s9, exec_lo
	v_cmpx_le_i32_e64 s28, v0
	s_cbranch_execz .LBB91_16
; %bb.15:
	s_load_dword s11, s[4:5], 0x90
	s_waitcnt lgkmcnt(0)
	s_add_i32 s11, s11, -1
	s_cmp_lt_u32 s6, s11
	s_cselect_b32 s11, -1, 0
	s_andn2_b32 s10, s10, exec_lo
	s_and_b32 s11, s11, exec_lo
	s_or_b32 s10, s10, s11
.LBB91_16:
	s_or_b32 exec_lo, exec_lo, s9
	v_mov_b32_e32 v6, 0
	v_mov_b32_e32 v7, 0
	s_and_saveexec_b32 s9, s10
	s_cbranch_execz .LBB91_20
; %bb.17:
	v_mad_u64_u32 v[6:7], null, s24, v0, 0
	s_mul_i32 s11, s27, s7
	s_mul_hi_u32 s27, s26, s7
	s_mul_i32 s10, s26, s7
	s_add_i32 s11, s27, s11
	s_mul_i32 s26, s24, s33
	s_lshl_b64 s[10:11], s[10:11], 3
	v_mad_u64_u32 v[7:8], null, s25, v0, v[7:8]
	s_add_u32 s20, s20, s10
	s_addc_u32 s21, s21, s11
	s_lshl_b64 s[10:11], s[22:23], 3
	s_mul_hi_u32 s27, s24, s31
	s_add_u32 s20, s20, s10
	s_mul_i32 s22, s25, s31
	s_addc_u32 s21, s21, s11
	s_add_i32 s11, s27, s26
	s_mul_i32 s10, s24, s31
	s_add_i32 s11, s11, s22
	v_lshlrev_b64 v[6:7], 3, v[6:7]
	s_lshl_b64 s[10:11], s[10:11], 3
	v_lshlrev_b32_e32 v10, 3, v0
	s_add_u32 s10, s20, s10
	s_addc_u32 s11, s21, s11
	v_add_co_u32 v6, vcc_lo, s10, v6
	v_add_co_ci_u32_e64 v7, null, s11, v7, vcc_lo
	s_mov_b32 s10, exec_lo
	global_load_dwordx2 v[8:9], v[6:7], off
	v_mov_b32_e32 v6, 0
	v_mov_b32_e32 v7, 0
	s_waitcnt vmcnt(0)
	ds_write_b64 v10, v[8:9] offset:12288
	v_cmpx_neq_f64_e32 0, v[2:3]
	s_cbranch_execz .LBB91_19
; %bb.18:
	v_mad_u64_u32 v[6:7], null, s2, v0, 0
	v_mad_u64_u32 v[7:8], null, s3, v0, v[7:8]
	v_lshlrev_b64 v[6:7], 3, v[6:7]
	v_add_co_u32 v6, vcc_lo, s29, v6
	v_add_co_ci_u32_e64 v7, null, s30, v7, vcc_lo
	global_load_dwordx2 v[6:7], v[6:7], off
	s_waitcnt vmcnt(0)
	v_mul_f64 v[6:7], v[2:3], v[6:7]
.LBB91_19:
	s_or_b32 exec_lo, exec_lo, s10
.LBB91_20:
	s_or_b32 exec_lo, exec_lo, s9
.LBB91_21:
	s_or_b32 exec_lo, exec_lo, s8
	s_mul_i32 s9, s19, s7
	s_mul_hi_u32 s10, s18, s7
	v_mad_u64_u32 v[8:9], null, s16, v1, 0
	s_mul_i32 s8, s18, s7
	s_add_i32 s9, s10, s9
	v_lshlrev_b32_e32 v12, 3, v0
	s_lshl_b64 s[8:9], s[8:9], 3
	v_lshlrev_b32_e32 v13, 8, v1
	s_add_u32 s7, s12, s8
	s_addc_u32 s18, s13, s9
	s_lshl_b64 s[10:11], s[14:15], 3
	v_mad_u64_u32 v[9:10], null, s17, v1, v[9:10]
	s_add_u32 s7, s7, s10
	s_addc_u32 s15, s18, s11
	s_load_dword s14, s[4:5], 0x90
	s_add_u32 s4, s16, 1
	s_addc_u32 s5, s17, 0
	s_mul_i32 s18, s4, s33
	s_mul_hi_u32 s19, s4, s31
	s_mul_i32 s5, s5, s31
	s_add_i32 s18, s19, s18
	s_mul_i32 s4, s4, s31
	s_add_i32 s5, s18, s5
	v_lshlrev_b64 v[10:11], 3, v[8:9]
	s_lshl_b64 s[4:5], s[4:5], 3
	v_lshlrev_b32_e32 v14, 5, v1
	s_add_u32 s7, s7, s4
	s_addc_u32 s15, s15, s5
	v_add_nc_u32_e32 v13, v12, v13
	v_add_co_u32 v8, vcc_lo, s7, v10
	v_add_co_ci_u32_e64 v9, null, s15, v11, vcc_lo
	v_add_co_u32 v8, vcc_lo, v8, v12
	v_add_co_ci_u32_e64 v9, null, 0, v9, vcc_lo
	s_waitcnt lgkmcnt(0)
	s_add_i32 s7, s14, -1
	s_mov_b32 s14, -1
	s_cmp_eq_u32 s6, s7
	s_cbranch_scc1 .LBB91_23
; %bb.22:
	s_lshl_b64 s[14:15], s[16:17], 6
	v_add_co_u32 v15, vcc_lo, v8, s14
	v_add_co_ci_u32_e64 v16, null, s15, v9, vcc_lo
	v_add_co_u32 v17, vcc_lo, v15, s14
	v_add_co_ci_u32_e64 v18, null, s15, v16, vcc_lo
	;; [unrolled: 2-line block ×3, first 2 shown]
	s_clause 0x3
	global_load_dwordx2 v[21:22], v[8:9], off
	global_load_dwordx2 v[15:16], v[15:16], off
	;; [unrolled: 1-line block ×4, first 2 shown]
	s_mov_b32 s14, 0
	s_waitcnt vmcnt(2)
	ds_write2st64_b64 v13, v[21:22], v[15:16] offset1:4
	s_waitcnt vmcnt(0)
	ds_write2st64_b64 v13, v[17:18], v[19:20] offset0:8 offset1:12
.LBB91_23:
	v_add_nc_u32_e32 v15, v14, v0
	s_andn2_b32 vcc_lo, exec_lo, s14
	s_cbranch_vccnz .LBB91_33
; %bb.24:
	s_mov_b32 s14, 0
	v_cmp_gt_i32_e32 vcc_lo, s28, v0
	s_mov_b32 s15, s14
	v_mov_b32_e32 v17, s15
	v_mov_b32_e32 v16, s14
	s_nor_b32 s14, s1, vcc_lo
	ds_write2st64_b64 v13, v[16:17], v[16:17] offset1:4
	ds_write2st64_b64 v13, v[16:17], v[16:17] offset0:8 offset1:12
	s_and_saveexec_b32 s1, s14
; %bb.25:
	v_mov_b32_e32 v16, 0
	v_mov_b32_e32 v17, v16
	ds_write_b64 v12, v[16:17] offset:12288
; %bb.26:
	s_or_b32 exec_lo, exec_lo, s1
	s_and_saveexec_b32 s1, vcc_lo
	s_cbranch_execz .LBB91_32
; %bb.27:
	s_cmp_lt_u32 s28, 8
	s_mov_b32 s14, 0
	s_cbranch_scc1 .LBB91_30
; %bb.28:
	s_lshr_b32 s14, s28, 3
	s_add_u32 s4, s4, s8
	s_addc_u32 s5, s5, s9
	s_add_u32 s4, s10, s4
	s_addc_u32 s5, s11, s5
	v_add_co_u32 v10, vcc_lo, s4, v10
	v_add_co_ci_u32_e64 v11, null, s5, v11, vcc_lo
	v_lshl_add_u32 v16, v14, 3, v12
	v_add_co_u32 v10, vcc_lo, v10, v12
	v_add_co_ci_u32_e64 v11, null, 0, v11, vcc_lo
	s_lshl_b64 s[4:5], s[16:17], 6
	v_add_co_u32 v10, vcc_lo, s12, v10
	v_add_co_ci_u32_e64 v11, null, s13, v11, vcc_lo
	s_mov_b32 s8, s14
.LBB91_29:                              ; =>This Inner Loop Header: Depth=1
	global_load_dwordx2 v[17:18], v[10:11], off
	v_add_co_u32 v10, vcc_lo, v10, s4
	v_add_co_ci_u32_e64 v11, null, s5, v11, vcc_lo
	s_add_i32 s8, s8, -1
	s_cmp_lg_u32 s8, 0
	s_waitcnt vmcnt(0)
	ds_write_b64 v16, v[17:18]
	v_add_nc_u32_e32 v16, 0x800, v16
	s_cbranch_scc1 .LBB91_29
.LBB91_30:
	s_and_b32 s4, s28, 7
	v_cmp_gt_u32_e32 vcc_lo, s4, v1
	s_and_b32 exec_lo, exec_lo, vcc_lo
	s_cbranch_execz .LBB91_32
; %bb.31:
	s_lshl_b32 s4, s14, 3
	v_lshlrev_b32_e32 v10, 3, v15
	s_mul_i32 s5, s17, s4
	s_mul_hi_u32 s8, s16, s4
	s_mul_i32 s4, s16, s4
	s_add_i32 s5, s8, s5
	v_lshl_add_u32 v10, s14, 11, v10
	s_lshl_b64 s[4:5], s[4:5], 3
	v_add_co_u32 v8, vcc_lo, v8, s4
	v_add_co_ci_u32_e64 v9, null, s5, v9, vcc_lo
	global_load_dwordx2 v[8:9], v[8:9], off
	s_waitcnt vmcnt(0)
	ds_write_b64 v10, v[8:9]
.LBB91_32:
	s_or_b32 exec_lo, exec_lo, s1
.LBB91_33:
	v_sub_nc_u32_e32 v8, v0, v1
	s_mov_b32 s1, exec_lo
	s_waitcnt lgkmcnt(0)
	s_waitcnt_vscnt null, 0x0
	s_barrier
	buffer_gl0_inv
	v_sub_nc_u32_e32 v9, 0, v8
	v_max_i32_e32 v9, v8, v9
	v_mad_u32_u24 v8, 0xf8, v0, v12
	v_lshl_add_u32 v8, v1, 3, v8
	v_cmpx_lt_u32_e32 16, v9
	s_cbranch_execz .LBB91_35
; %bb.34:
	ds_read_b64 v[10:11], v8 offset:128
	s_waitcnt lgkmcnt(0)
	ds_write_b64 v13, v[10:11] offset:4096
.LBB91_35:
	s_or_b32 exec_lo, exec_lo, s1
	s_mov_b32 s1, exec_lo
	v_cmpx_lt_u32_e32 24, v9
	s_cbranch_execz .LBB91_37
; %bb.36:
	ds_read_b64 v[10:11], v8 offset:192
	s_waitcnt lgkmcnt(0)
	ds_write_b64 v13, v[10:11] offset:6144
.LBB91_37:
	s_or_b32 exec_lo, exec_lo, s1
	s_mov_b32 s1, exec_lo
	v_cmpx_ge_u32_e64 v0, v1
	s_cbranch_execz .LBB91_39
; %bb.38:
	ds_read_b64 v[10:11], v8
	v_lshl_add_u32 v14, v14, 3, v12
	s_waitcnt lgkmcnt(0)
	ds_write_b64 v14, v[10:11]
.LBB91_39:
	s_or_b32 exec_lo, exec_lo, s1
	v_lshl_add_u32 v10, v1, 8, 0x800
	v_cmp_lt_u32_e32 vcc_lo, 8, v9
	v_add_nc_u32_e32 v9, v12, v10
	s_and_saveexec_b32 s1, vcc_lo
	s_cbranch_execz .LBB91_41
; %bb.40:
	ds_read_b64 v[10:11], v8 offset:64
	s_waitcnt lgkmcnt(0)
	ds_write_b64 v9, v[10:11]
.LBB91_41:
	s_or_b32 exec_lo, exec_lo, s1
	v_lshlrev_b32_e32 v8, 3, v1
	s_waitcnt lgkmcnt(0)
	s_barrier
	buffer_gl0_inv
	v_lshl_add_u32 v1, v1, 8, v12
	v_add_nc_u32_e32 v20, 0x3000, v8
	ds_read2_b64 v[16:19], v20 offset1:8
	ds_read_b64 v[10:11], v13
	ds_read_b64 v[8:9], v9
	s_waitcnt lgkmcnt(1)
	v_fma_f64 v[10:11], v[10:11], v[16:17], 0
	s_waitcnt lgkmcnt(0)
	v_fma_f64 v[13:14], v[8:9], v[18:19], v[10:11]
	ds_read2st64_b64 v[8:11], v1 offset0:8 offset1:12
	ds_read2_b64 v[16:19], v20 offset0:16 offset1:24
	v_lshlrev_b32_e32 v1, 3, v15
	s_waitcnt lgkmcnt(0)
	v_fma_f64 v[8:9], v[8:9], v[16:17], v[13:14]
	v_fma_f64 v[8:9], v[10:11], v[18:19], v[8:9]
	ds_write_b64 v1, v[8:9] offset:8192
	s_waitcnt lgkmcnt(0)
	s_barrier
	buffer_gl0_inv
	s_and_saveexec_b32 s1, s0
	s_cbranch_execz .LBB91_44
; %bb.42:
	v_cmp_gt_i32_e32 vcc_lo, s28, v0
	s_cmp_lt_u32 s6, s7
	s_cselect_b32 s0, -1, 0
	s_or_b32 s0, vcc_lo, s0
	s_and_b32 exec_lo, exec_lo, s0
	s_cbranch_execz .LBB91_44
; %bb.43:
	v_add_nc_u32_e32 v1, 0x2000, v12
	v_cmp_neq_f64_e32 vcc_lo, 0, v[2:3]
	ds_read2_b64 v[8:11], v1 offset1:32
	s_waitcnt lgkmcnt(0)
	v_add_f64 v[8:9], v[8:9], 0
	v_add_f64 v[12:13], v[8:9], v[10:11]
	ds_read2_b64 v[8:11], v1 offset0:64 offset1:96
	s_waitcnt lgkmcnt(0)
	v_add_f64 v[8:9], v[12:13], v[8:9]
	v_add_f64 v[12:13], v[8:9], v[10:11]
	ds_read2_b64 v[8:11], v1 offset0:128 offset1:160
	;; [unrolled: 4-line block ×3, first 2 shown]
	s_waitcnt lgkmcnt(0)
	v_add_f64 v[8:9], v[12:13], v[8:9]
	v_add_f64 v[8:9], v[8:9], v[10:11]
	v_mad_u64_u32 v[10:11], null, s2, v0, 0
	v_mov_b32_e32 v1, v11
	v_mad_u64_u32 v[0:1], null, s3, v0, v[1:2]
	v_mov_b32_e32 v11, v0
	v_mul_f64 v[12:13], v[4:5], v[8:9]
	v_fma_f64 v[4:5], v[4:5], v[8:9], v[6:7]
	v_lshlrev_b64 v[0:1], 3, v[10:11]
	v_cndmask_b32_e32 v3, v13, v5, vcc_lo
	v_cndmask_b32_e32 v2, v12, v4, vcc_lo
	v_add_co_u32 v0, vcc_lo, s29, v0
	v_add_co_ci_u32_e64 v1, null, s30, v1, vcc_lo
	global_store_dwordx2 v[0:1], v[2:3], off
.LBB91_44:
	s_endpgm
	.section	.rodata,"a",@progbits
	.p2align	6, 0x0
	.amdhsa_kernel _ZL58rocblas_symv_kernel_upper_double_buffered_diagonal_genericILi32ELi8E24rocblas_internal_val_ptrIdEPKdPdEvbiT1_lT2_lllS6_lllS5_lT3_lllii
		.amdhsa_group_segment_fixed_size 12544
		.amdhsa_private_segment_fixed_size 0
		.amdhsa_kernarg_size 400
		.amdhsa_user_sgpr_count 6
		.amdhsa_user_sgpr_private_segment_buffer 1
		.amdhsa_user_sgpr_dispatch_ptr 0
		.amdhsa_user_sgpr_queue_ptr 0
		.amdhsa_user_sgpr_kernarg_segment_ptr 1
		.amdhsa_user_sgpr_dispatch_id 0
		.amdhsa_user_sgpr_flat_scratch_init 0
		.amdhsa_user_sgpr_private_segment_size 0
		.amdhsa_wavefront_size32 1
		.amdhsa_uses_dynamic_stack 0
		.amdhsa_system_sgpr_private_segment_wavefront_offset 0
		.amdhsa_system_sgpr_workgroup_id_x 1
		.amdhsa_system_sgpr_workgroup_id_y 0
		.amdhsa_system_sgpr_workgroup_id_z 1
		.amdhsa_system_sgpr_workgroup_info 0
		.amdhsa_system_vgpr_workitem_id 1
		.amdhsa_next_free_vgpr 23
		.amdhsa_next_free_sgpr 34
		.amdhsa_reserve_vcc 1
		.amdhsa_reserve_flat_scratch 0
		.amdhsa_float_round_mode_32 0
		.amdhsa_float_round_mode_16_64 0
		.amdhsa_float_denorm_mode_32 3
		.amdhsa_float_denorm_mode_16_64 3
		.amdhsa_dx10_clamp 1
		.amdhsa_ieee_mode 1
		.amdhsa_fp16_overflow 0
		.amdhsa_workgroup_processor_mode 1
		.amdhsa_memory_ordered 1
		.amdhsa_forward_progress 1
		.amdhsa_shared_vgpr_count 0
		.amdhsa_exception_fp_ieee_invalid_op 0
		.amdhsa_exception_fp_denorm_src 0
		.amdhsa_exception_fp_ieee_div_zero 0
		.amdhsa_exception_fp_ieee_overflow 0
		.amdhsa_exception_fp_ieee_underflow 0
		.amdhsa_exception_fp_ieee_inexact 0
		.amdhsa_exception_int_div_zero 0
	.end_amdhsa_kernel
	.section	.text._ZL58rocblas_symv_kernel_upper_double_buffered_diagonal_genericILi32ELi8E24rocblas_internal_val_ptrIdEPKdPdEvbiT1_lT2_lllS6_lllS5_lT3_lllii,"axG",@progbits,_ZL58rocblas_symv_kernel_upper_double_buffered_diagonal_genericILi32ELi8E24rocblas_internal_val_ptrIdEPKdPdEvbiT1_lT2_lllS6_lllS5_lT3_lllii,comdat
.Lfunc_end91:
	.size	_ZL58rocblas_symv_kernel_upper_double_buffered_diagonal_genericILi32ELi8E24rocblas_internal_val_ptrIdEPKdPdEvbiT1_lT2_lllS6_lllS5_lT3_lllii, .Lfunc_end91-_ZL58rocblas_symv_kernel_upper_double_buffered_diagonal_genericILi32ELi8E24rocblas_internal_val_ptrIdEPKdPdEvbiT1_lT2_lllS6_lllS5_lT3_lllii
                                        ; -- End function
	.set _ZL58rocblas_symv_kernel_upper_double_buffered_diagonal_genericILi32ELi8E24rocblas_internal_val_ptrIdEPKdPdEvbiT1_lT2_lllS6_lllS5_lT3_lllii.num_vgpr, 23
	.set _ZL58rocblas_symv_kernel_upper_double_buffered_diagonal_genericILi32ELi8E24rocblas_internal_val_ptrIdEPKdPdEvbiT1_lT2_lllS6_lllS5_lT3_lllii.num_agpr, 0
	.set _ZL58rocblas_symv_kernel_upper_double_buffered_diagonal_genericILi32ELi8E24rocblas_internal_val_ptrIdEPKdPdEvbiT1_lT2_lllS6_lllS5_lT3_lllii.numbered_sgpr, 34
	.set _ZL58rocblas_symv_kernel_upper_double_buffered_diagonal_genericILi32ELi8E24rocblas_internal_val_ptrIdEPKdPdEvbiT1_lT2_lllS6_lllS5_lT3_lllii.num_named_barrier, 0
	.set _ZL58rocblas_symv_kernel_upper_double_buffered_diagonal_genericILi32ELi8E24rocblas_internal_val_ptrIdEPKdPdEvbiT1_lT2_lllS6_lllS5_lT3_lllii.private_seg_size, 0
	.set _ZL58rocblas_symv_kernel_upper_double_buffered_diagonal_genericILi32ELi8E24rocblas_internal_val_ptrIdEPKdPdEvbiT1_lT2_lllS6_lllS5_lT3_lllii.uses_vcc, 1
	.set _ZL58rocblas_symv_kernel_upper_double_buffered_diagonal_genericILi32ELi8E24rocblas_internal_val_ptrIdEPKdPdEvbiT1_lT2_lllS6_lllS5_lT3_lllii.uses_flat_scratch, 0
	.set _ZL58rocblas_symv_kernel_upper_double_buffered_diagonal_genericILi32ELi8E24rocblas_internal_val_ptrIdEPKdPdEvbiT1_lT2_lllS6_lllS5_lT3_lllii.has_dyn_sized_stack, 0
	.set _ZL58rocblas_symv_kernel_upper_double_buffered_diagonal_genericILi32ELi8E24rocblas_internal_val_ptrIdEPKdPdEvbiT1_lT2_lllS6_lllS5_lT3_lllii.has_recursion, 0
	.set _ZL58rocblas_symv_kernel_upper_double_buffered_diagonal_genericILi32ELi8E24rocblas_internal_val_ptrIdEPKdPdEvbiT1_lT2_lllS6_lllS5_lT3_lllii.has_indirect_call, 0
	.section	.AMDGPU.csdata,"",@progbits
; Kernel info:
; codeLenInByte = 2088
; TotalNumSgprs: 36
; NumVgprs: 23
; ScratchSize: 0
; MemoryBound: 0
; FloatMode: 240
; IeeeMode: 1
; LDSByteSize: 12544 bytes/workgroup (compile time only)
; SGPRBlocks: 0
; VGPRBlocks: 2
; NumSGPRsForWavesPerEU: 36
; NumVGPRsForWavesPerEU: 23
; Occupancy: 16
; WaveLimiterHint : 0
; COMPUTE_PGM_RSRC2:SCRATCH_EN: 0
; COMPUTE_PGM_RSRC2:USER_SGPR: 6
; COMPUTE_PGM_RSRC2:TRAP_HANDLER: 0
; COMPUTE_PGM_RSRC2:TGID_X_EN: 1
; COMPUTE_PGM_RSRC2:TGID_Y_EN: 0
; COMPUTE_PGM_RSRC2:TGID_Z_EN: 1
; COMPUTE_PGM_RSRC2:TIDIG_COMP_CNT: 1
	.section	.text._ZL62rocblas_symv_kernel_upper_double_buffered_non_diagonal_genericILi32ELi8ELi2ELi0E24rocblas_internal_val_ptrIdEPKdPdEvbiT3_lT4_lllS6_lllT5_lllii,"axG",@progbits,_ZL62rocblas_symv_kernel_upper_double_buffered_non_diagonal_genericILi32ELi8ELi2ELi0E24rocblas_internal_val_ptrIdEPKdPdEvbiT3_lT4_lllS6_lllT5_lllii,comdat
	.globl	_ZL62rocblas_symv_kernel_upper_double_buffered_non_diagonal_genericILi32ELi8ELi2ELi0E24rocblas_internal_val_ptrIdEPKdPdEvbiT3_lT4_lllS6_lllT5_lllii ; -- Begin function _ZL62rocblas_symv_kernel_upper_double_buffered_non_diagonal_genericILi32ELi8ELi2ELi0E24rocblas_internal_val_ptrIdEPKdPdEvbiT3_lT4_lllS6_lllT5_lllii
	.p2align	8
	.type	_ZL62rocblas_symv_kernel_upper_double_buffered_non_diagonal_genericILi32ELi8ELi2ELi0E24rocblas_internal_val_ptrIdEPKdPdEvbiT3_lT4_lllS6_lllT5_lllii,@function
_ZL62rocblas_symv_kernel_upper_double_buffered_non_diagonal_genericILi32ELi8ELi2ELi0E24rocblas_internal_val_ptrIdEPKdPdEvbiT3_lT4_lllS6_lllT5_lllii: ; @_ZL62rocblas_symv_kernel_upper_double_buffered_non_diagonal_genericILi32ELi8ELi2ELi0E24rocblas_internal_val_ptrIdEPKdPdEvbiT3_lT4_lllS6_lllT5_lllii
; %bb.0:
	s_clause 0x1
	s_load_dword s0, s[4:5], 0x0
	s_load_dwordx16 s[12:27], s[4:5], 0x8
	s_waitcnt lgkmcnt(0)
	s_bitcmp1_b32 s0, 0
	v_mov_b32_e32 v14, s13
	v_mov_b32_e32 v13, s12
	s_cselect_b32 s0, -1, 0
	s_and_b32 vcc_lo, exec_lo, s0
	s_cbranch_vccnz .LBB92_2
; %bb.1:
	s_mul_i32 s0, s15, s8
	s_mul_hi_u32 s1, s14, s8
	s_add_i32 s1, s1, s0
	s_mul_i32 s0, s14, s8
	s_lshl_b64 s[0:1], s[0:1], 3
	s_add_u32 s0, s12, s0
	s_addc_u32 s1, s13, s1
	v_mov_b32_e32 v3, s1
	v_mov_b32_e32 v2, s0
	flat_load_dwordx2 v[13:14], v[2:3]
.LBB92_2:
	s_mov_b32 s0, exec_lo
	s_waitcnt vmcnt(0) lgkmcnt(0)
	v_cmpx_neq_f64_e32 0, v[13:14]
	s_cbranch_execz .LBB92_46
; %bb.3:
	s_load_dword s2, s[4:5], 0x84
	s_add_u32 s0, s4, 0x80
	s_addc_u32 s1, s5, 0
	s_cmp_eq_u32 s6, 0
	s_waitcnt lgkmcnt(0)
	v_cvt_f32_u32_e32 v2, s2
	v_rcp_iflag_f32_e32 v2, v2
	v_mul_f32_e32 v2, 0x4f7ffffe, v2
	v_cvt_u32_f32_e32 v2, v2
	v_readfirstlane_b32 s3, v2
	s_cbranch_scc1 .LBB92_46
; %bb.4:
	s_sub_i32 s9, 0, s2
	s_mul_i32 s9, s9, s3
	s_mul_hi_u32 s9, s3, s9
	s_add_i32 s3, s3, s9
	s_mul_hi_u32 s3, s6, s3
	s_mul_i32 s9, s3, s2
	s_add_i32 s10, s3, 1
	s_sub_i32 s9, s6, s9
	s_sub_i32 s11, s9, s2
	s_cmp_ge_u32 s9, s2
	s_cselect_b32 s3, s10, s3
	s_cselect_b32 s9, s11, s9
	s_add_i32 s10, s3, 1
	s_cmp_ge_u32 s9, s2
	s_cselect_b32 s12, s10, s3
	s_add_i32 s3, s2, -1
	s_mov_b32 s34, s12
	s_cmp_lg_u32 s7, s3
	s_cbranch_scc1 .LBB92_6
; %bb.5:
	s_mul_i32 s2, s12, s2
	s_sub_i32 s2, s6, s2
	s_add_i32 s34, s2, s12
.LBB92_6:
	s_cmp_eq_u32 s34, 0
	s_cbranch_scc1 .LBB92_46
; %bb.7:
	s_clause 0x1
	s_load_dwordx4 s[28:31], s[4:5], 0x48
	s_load_dword s33, s[4:5], 0x78
	s_load_dword s10, s[0:1], 0x0
	v_lshl_add_u32 v2, v1, 5, v0
	v_and_b32_e32 v15, 15, v0
	v_lshrrev_b32_e32 v5, 4, v2
	s_waitcnt lgkmcnt(0)
	s_mul_i32 s3, s31, s8
	s_mul_hi_u32 s9, s30, s8
	s_mul_i32 s2, s30, s8
	s_add_i32 s3, s9, s3
	s_lshl_b64 s[2:3], s[2:3], 3
	s_add_u32 s2, s24, s2
	s_addc_u32 s3, s25, s3
	s_lshl_b64 s[0:1], s[26:27], 3
	s_add_u32 s9, s2, s0
	s_addc_u32 s26, s3, s1
	s_lshl_b32 s1, s6, 5
	s_ashr_i32 s24, s1, 31
	s_mul_hi_u32 s0, s28, s1
	s_mul_i32 s2, s28, s24
	s_mul_i32 s3, s29, s1
	s_add_i32 s0, s0, s2
	s_mul_i32 s2, s28, s1
	s_add_i32 s3, s0, s3
	v_cmp_eq_u32_e64 s0, 0, v1
	s_lshl_b64 s[2:3], s[2:3], 3
	s_add_u32 s14, s9, s2
	s_addc_u32 s15, s26, s3
	s_add_i32 s25, s10, -1
	s_mov_b32 s2, -1
	s_cmp_lg_u32 s6, s25
	s_cselect_b32 s13, -1, 0
	s_and_b32 vcc_lo, exec_lo, s13
	s_cbranch_vccnz .LBB92_13
; %bb.8:
	s_and_saveexec_b32 s2, s0
	s_cbranch_execz .LBB92_12
; %bb.9:
	v_mov_b32_e32 v1, 0
	v_mov_b32_e32 v2, 0
	s_mov_b32 s3, exec_lo
	v_cmpx_gt_i32_e64 s33, v0
	s_cbranch_execz .LBB92_11
; %bb.10:
	v_mad_u64_u32 v[1:2], null, s28, v0, 0
	v_mad_u64_u32 v[2:3], null, s29, v0, v[2:3]
	v_lshlrev_b64 v[1:2], 3, v[1:2]
	v_add_co_u32 v1, vcc_lo, s14, v1
	v_add_co_ci_u32_e64 v2, null, s15, v2, vcc_lo
	global_load_dwordx2 v[1:2], v[1:2], off
.LBB92_11:
	s_or_b32 exec_lo, exec_lo, s3
	v_lshlrev_b32_e32 v3, 3, v0
	s_waitcnt vmcnt(0)
	ds_write_b64 v3, v[1:2] offset:8192
.LBB92_12:
	s_or_b32 exec_lo, exec_lo, s2
	v_lshlrev_b32_e32 v1, 3, v15
	s_mov_b32 s2, 0
	s_mov_b32 s3, s2
	v_lshl_or_b32 v3, v5, 8, v1
	v_mov_b32_e32 v1, s2
	v_mov_b32_e32 v2, s3
	v_add_nc_u32_e32 v4, 0x1000, v3
	ds_write2_b64 v3, v[1:2], v[1:2] offset1:16
	ds_write2_b64 v4, v[1:2], v[1:2] offset1:16
.LBB92_13:
	s_load_dwordx2 s[10:11], s[4:5], 0x58
	s_and_b32 vcc_lo, exec_lo, s2
	s_cbranch_vccz .LBB92_17
; %bb.14:
	s_and_saveexec_b32 s2, s0
	s_cbranch_execz .LBB92_16
; %bb.15:
	v_mad_u64_u32 v[1:2], null, s28, v0, 0
	v_mad_u64_u32 v[2:3], null, s29, v0, v[2:3]
	v_lshlrev_b32_e32 v3, 3, v0
	v_lshlrev_b64 v[1:2], 3, v[1:2]
	v_add_co_u32 v1, vcc_lo, s14, v1
	v_add_co_ci_u32_e64 v2, null, s15, v2, vcc_lo
	global_load_dwordx2 v[1:2], v[1:2], off
	s_waitcnt vmcnt(0)
	ds_write_b64 v3, v[1:2] offset:8192
.LBB92_16:
	s_or_b32 exec_lo, exec_lo, s2
.LBB92_17:
	v_lshlrev_b32_e32 v7, 1, v5
	v_mov_b32_e32 v16, 0
	s_mul_i32 s2, s23, s8
	s_mul_hi_u32 s3, s22, s8
	s_lshr_b32 s14, s33, 31
	s_add_i32 s3, s3, s2
	v_mad_u64_u32 v[8:9], null, s20, v7, v[15:16]
	s_mul_i32 s2, s22, s8
	s_add_i32 s14, s33, s14
	s_lshl_b64 s[2:3], s[2:3], 3
	s_ashr_i32 s22, s14, 1
	s_add_u32 s14, s16, s2
	s_addc_u32 s15, s17, s3
	v_mov_b32_e32 v1, v9
	s_lshl_b64 s[2:3], s[18:19], 3
	s_mul_hi_u32 s16, s20, s1
	s_add_u32 s14, s14, s2
	s_mul_i32 s2, s20, s24
	v_mad_u64_u32 v[1:2], null, s21, v7, v[1:2]
	s_addc_u32 s15, s15, s3
	s_add_i32 s2, s16, s2
	s_mul_i32 s3, s21, s1
	s_mul_i32 s7, s7, s12
	s_add_i32 s3, s2, s3
	s_mul_i32 s2, s20, s1
	v_mov_b32_e32 v9, v1
	s_lshl_b64 s[2:3], s[2:3], 3
	v_cmp_gt_i32_e32 vcc_lo, s22, v5
	s_add_u32 s16, s14, s2
	s_addc_u32 s12, s15, s3
	s_lshl_b32 s2, s7, 5
	v_lshlrev_b64 v[17:18], 3, v[8:9]
	s_ashr_i32 s3, s2, 31
	v_mov_b32_e32 v1, v16
	s_lshl_b64 s[14:15], s[2:3], 3
	v_mov_b32_e32 v2, v16
	v_mov_b32_e32 v3, v16
	v_mov_b32_e32 v4, v16
	s_add_u32 s16, s16, s14
	s_addc_u32 s17, s12, s15
	s_or_b32 s18, s13, vcc_lo
	s_waitcnt lgkmcnt(0)
	s_barrier
	buffer_gl0_inv
	s_and_saveexec_b32 s7, s18
	s_cbranch_execz .LBB92_19
; %bb.18:
	v_add_co_u32 v1, vcc_lo, s16, v17
	v_add_co_ci_u32_e64 v2, null, s17, v18, vcc_lo
	s_lshl_b64 s[12:13], s[20:21], 3
	v_add_co_u32 v3, vcc_lo, v1, s12
	v_add_co_ci_u32_e64 v4, null, s13, v2, vcc_lo
	s_clause 0x1
	global_load_dwordx2 v[1:2], v[1:2], off
	global_load_dwordx2 v[3:4], v[3:4], off
.LBB92_19:
	s_or_b32 exec_lo, exec_lo, s7
	s_clause 0x1
	s_load_dwordx2 s[22:23], s[4:5], 0x70
	s_load_dwordx4 s[12:15], s[4:5], 0x60
	v_lshlrev_b32_e32 v45, 8, v5
	s_waitcnt lgkmcnt(0)
	s_mul_i32 s5, s23, s8
	s_mul_hi_u32 s7, s22, s8
	s_mul_i32 s4, s22, s8
	s_add_i32 s5, s7, s5
	s_lshl_b64 s[4:5], s[4:5], 3
	s_add_u32 s7, s10, s4
	s_addc_u32 s8, s11, s5
	s_lshl_b64 s[4:5], s[12:13], 3
	s_add_u32 s7, s7, s4
	s_addc_u32 s10, s8, s5
	s_cmp_gt_i32 s34, 0
	s_cbranch_scc1 .LBB92_21
; %bb.20:
	v_lshlrev_b32_e32 v8, 8, v5
	s_mov_b32 s4, 0
	s_branch .LBB92_22
.LBB92_21:
	s_mov_b32 s4, -1
                                        ; implicit-def: $vgpr8
.LBB92_22:
	v_mov_b32_e32 v5, 0
	v_mov_b32_e32 v11, 0
	;; [unrolled: 1-line block ×4, first 2 shown]
	s_andn2_b32 vcc_lo, exec_lo, s4
	s_cbranch_vccnz .LBB92_42
; %bb.23:
	v_mad_u64_u32 v[5:6], null, s28, v15, 0
	s_mul_i32 s4, s28, s3
	s_mul_hi_u32 s5, s28, s2
	s_mul_i32 s8, s29, s2
	s_add_i32 s5, s5, s4
	s_mul_i32 s4, s28, s2
	s_add_i32 s5, s5, s8
	v_mad_u64_u32 v[8:9], null, s29, v15, v[6:7]
	s_lshl_b64 s[4:5], s[4:5], 3
	v_or_b32_e32 v10, 16, v15
	s_add_u32 s11, s9, s4
	s_addc_u32 s12, s26, s5
	s_mul_i32 s3, s14, s3
	s_mul_hi_u32 s4, s14, s2
	v_mov_b32_e32 v6, v8
	v_mad_u64_u32 v[8:9], null, s14, v0, 0
	s_add_i32 s3, s4, s3
	s_mul_i32 s4, s15, s2
	v_lshlrev_b64 v[31:32], 3, v[5:6]
	s_add_i32 s3, s3, s4
	s_mul_i32 s2, s14, s2
	v_mov_b32_e32 v19, 0
	s_lshl_b64 s[2:3], s[2:3], 3
	v_lshl_add_u32 v47, v7, 3, 0x2000
	v_add_co_u32 v5, vcc_lo, s11, v31
	v_add_co_ci_u32_e64 v6, null, s12, v32, vcc_lo
	v_lshlrev_b32_e32 v16, 3, v0
	v_mov_b32_e32 v20, 0
	s_add_u32 s8, s7, s2
	global_load_dwordx2 v[35:36], v[5:6], off
	v_mad_u64_u32 v[5:6], null, s28, v10, 0
	s_addc_u32 s9, s10, s3
	s_cmp_eq_u32 s34, 1
	v_mad_u64_u32 v[10:11], null, s29, v10, v[6:7]
	v_mad_u64_u32 v[11:12], null, s15, v0, v[9:10]
	v_mov_b32_e32 v6, v10
	v_lshlrev_b32_e32 v12, 3, v15
	v_lshlrev_b64 v[33:34], 3, v[5:6]
	v_mov_b32_e32 v9, v11
	v_add_nc_u32_e32 v46, v12, v45
	v_lshlrev_b64 v[23:24], 3, v[8:9]
	s_cbranch_scc1 .LBB92_35
; %bb.24:
	v_mov_b32_e32 v27, 0
	v_mov_b32_e32 v26, s9
	v_mov_b32_e32 v29, 0
	v_mov_b32_e32 v21, 0
	v_mov_b32_e32 v19, 0
	v_mov_b32_e32 v28, 0
	v_mov_b32_e32 v25, s8
	v_mov_b32_e32 v30, 0
	v_mov_b32_e32 v22, 0
	v_mov_b32_e32 v20, 0
	v_add_nc_u32_e32 v48, 0x800, v16
	s_lshl_b64 s[2:3], s[28:29], 8
	s_lshl_b64 s[4:5], s[14:15], 8
	s_add_i32 s13, s34, -2
	s_mov_b32 s19, 0
	s_lshl_b64 s[8:9], s[20:21], 3
.LBB92_25:                              ; =>This Loop Header: Depth=1
                                        ;     Child Loop BB92_31 Depth 2
	v_add_co_u32 v5, vcc_lo, s11, v33
	v_add_co_ci_u32_e64 v6, null, s12, v34, vcc_lo
	global_load_dwordx2 v[39:40], v[5:6], off
	s_and_saveexec_b32 s22, s18
	s_cbranch_execz .LBB92_27
; %bb.26:                               ;   in Loop: Header=BB92_25 Depth=1
	v_add_co_u32 v5, vcc_lo, s16, v17
	v_add_co_ci_u32_e64 v6, null, s17, v18, vcc_lo
	v_add_co_u32 v7, vcc_lo, v5, s8
	v_add_co_ci_u32_e64 v8, null, s9, v6, vcc_lo
	s_clause 0x1
	global_load_dwordx2 v[21:22], v[5:6], off offset:128
	global_load_dwordx2 v[19:20], v[7:8], off offset:128
.LBB92_27:                              ;   in Loop: Header=BB92_25 Depth=1
	s_or_b32 exec_lo, exec_lo, s22
	ds_read_b128 v[9:12], v47
	s_waitcnt vmcnt(2)
	v_mov_b32_e32 v8, v4
	v_mov_b32_e32 v7, v3
	;; [unrolled: 1-line block ×4, first 2 shown]
	s_and_saveexec_b32 s22, s18
	s_cbranch_execz .LBB92_29
; %bb.28:                               ;   in Loop: Header=BB92_25 Depth=1
	v_add_co_u32 v5, vcc_lo, s16, v17
	v_add_co_ci_u32_e64 v6, null, s17, v18, vcc_lo
	v_add_co_u32 v7, vcc_lo, v5, s8
	v_add_co_ci_u32_e64 v8, null, s9, v6, vcc_lo
	s_clause 0x1
	global_load_dwordx2 v[5:6], v[5:6], off offset:256
	global_load_dwordx2 v[7:8], v[7:8], off offset:256
.LBB92_29:                              ;   in Loop: Header=BB92_25 Depth=1
	s_or_b32 exec_lo, exec_lo, s22
	s_add_u32 s11, s11, s2
	s_addc_u32 s12, s12, s3
	v_add_co_u32 v37, vcc_lo, s11, v31
	v_add_co_ci_u32_e64 v38, null, s12, v32, vcc_lo
	s_waitcnt lgkmcnt(0)
	v_fma_f64 v[41:42], v[1:2], v[9:10], 0
	s_waitcnt vmcnt(1)
	v_fma_f64 v[9:10], v[21:22], v[9:10], 0
	global_load_dwordx2 v[37:38], v[37:38], off
	s_waitcnt vmcnt(0)
	s_barrier
	buffer_gl0_inv
	v_fma_f64 v[41:42], v[3:4], v[11:12], v[41:42]
	v_fma_f64 v[9:10], v[19:20], v[11:12], v[9:10]
	ds_write2_b64 v46, v[41:42], v[9:10] offset1:16
	s_waitcnt lgkmcnt(0)
	s_barrier
	buffer_gl0_inv
	s_and_saveexec_b32 s22, s0
	s_cbranch_execz .LBB92_33
; %bb.30:                               ;   in Loop: Header=BB92_25 Depth=1
	ds_read2_b64 v[9:12], v16 offset1:32
	ds_read2_b64 v[41:44], v16 offset0:64 offset1:96
	ds_read2_b64 v[49:52], v16 offset0:128 offset1:160
	s_mov_b32 s23, 0
	s_waitcnt lgkmcnt(2)
	v_add_f64 v[9:10], v[9:10], 0
	v_add_f64 v[9:10], v[9:10], v[11:12]
	s_waitcnt lgkmcnt(1)
	v_add_f64 v[9:10], v[9:10], v[41:42]
	v_add_co_u32 v41, vcc_lo, v25, v23
	v_add_co_ci_u32_e64 v42, null, v26, v24, vcc_lo
	global_load_dwordx2 v[11:12], v[41:42], off
	v_add_f64 v[9:10], v[9:10], v[43:44]
	s_waitcnt lgkmcnt(0)
	v_add_f64 v[9:10], v[9:10], v[49:50]
	v_add_f64 v[9:10], v[9:10], v[51:52]
	ds_read2_b64 v[49:52], v16 offset0:192 offset1:224
	s_waitcnt lgkmcnt(0)
	v_add_f64 v[9:10], v[9:10], v[49:50]
	v_add_f64 v[9:10], v[9:10], v[51:52]
	ds_read2_b64 v[49:52], v48 offset1:32
	s_waitcnt lgkmcnt(0)
	v_add_f64 v[9:10], v[9:10], v[49:50]
	v_add_f64 v[9:10], v[9:10], v[51:52]
	ds_read2_b64 v[49:52], v48 offset0:64 offset1:96
	s_waitcnt lgkmcnt(0)
	v_add_f64 v[9:10], v[9:10], v[49:50]
	v_add_f64 v[9:10], v[9:10], v[51:52]
	ds_read2_b64 v[49:52], v48 offset0:128 offset1:160
	;; [unrolled: 4-line block ×3, first 2 shown]
	s_waitcnt lgkmcnt(0)
	v_add_f64 v[9:10], v[9:10], v[49:50]
	v_add_f64 v[9:10], v[9:10], v[51:52]
	v_mul_f64 v[43:44], v[13:14], v[9:10]
.LBB92_31:                              ;   Parent Loop BB92_25 Depth=1
                                        ; =>  This Inner Loop Header: Depth=2
	s_waitcnt vmcnt(0)
	v_add_f64 v[9:10], v[11:12], v[43:44]
	global_atomic_cmpswap_x2 v[9:10], v[41:42], v[9:12], off glc
	s_waitcnt vmcnt(0)
	v_cmp_eq_u64_e32 vcc_lo, v[9:10], v[11:12]
	v_mov_b32_e32 v12, v10
	v_mov_b32_e32 v11, v9
	s_or_b32 s23, vcc_lo, s23
	s_andn2_b32 exec_lo, exec_lo, s23
	s_cbranch_execnz .LBB92_31
; %bb.32:                               ;   in Loop: Header=BB92_25 Depth=1
	s_or_b32 exec_lo, exec_lo, s23
	v_add_co_u32 v25, vcc_lo, v25, s4
	v_add_co_ci_u32_e64 v26, null, s5, v26, vcc_lo
.LBB92_33:                              ;   in Loop: Header=BB92_25 Depth=1
	s_or_b32 exec_lo, exec_lo, s22
	v_fma_f64 v[1:2], v[35:36], v[1:2], v[27:28]
	v_fma_f64 v[3:4], v[35:36], v[3:4], v[29:30]
	s_add_u32 s16, s16, 0x100
	s_addc_u32 s17, s17, 0
	s_add_i32 s22, s19, 1
	s_cmp_eq_u32 s19, s13
	v_fma_f64 v[27:28], v[39:40], v[21:22], v[1:2]
	v_fma_f64 v[29:30], v[39:40], v[19:20], v[3:4]
	s_cbranch_scc1 .LBB92_36
; %bb.34:                               ;   in Loop: Header=BB92_25 Depth=1
	v_mov_b32_e32 v35, v37
	v_mov_b32_e32 v1, v5
	;; [unrolled: 1-line block ×6, first 2 shown]
	s_mov_b32 s19, s22
	s_branch .LBB92_25
.LBB92_35:
	v_mov_b32_e32 v26, s9
	v_mov_b32_e32 v21, 0
	;; [unrolled: 1-line block ×4, first 2 shown]
	s_waitcnt vmcnt(1)
	v_mov_b32_e32 v8, v4
	s_waitcnt vmcnt(0)
	v_mov_b32_e32 v38, v36
	v_mov_b32_e32 v25, s8
	v_mov_b32_e32 v22, 0
	v_mov_b32_e32 v30, 0
	v_mov_b32_e32 v28, 0
	v_mov_b32_e32 v7, v3
	v_mov_b32_e32 v6, v2
	v_mov_b32_e32 v5, v1
	v_mov_b32_e32 v37, v35
.LBB92_36:
	v_add_co_u32 v1, vcc_lo, s11, v33
	v_add_co_ci_u32_e64 v2, null, s12, v34, vcc_lo
	global_load_dwordx2 v[9:10], v[1:2], off
	s_and_saveexec_b32 s2, s18
	s_cbranch_execz .LBB92_38
; %bb.37:
	v_add_co_u32 v1, vcc_lo, s16, v17
	v_add_co_ci_u32_e64 v2, null, s17, v18, vcc_lo
	s_lshl_b64 s[4:5], s[20:21], 3
	v_add_co_u32 v3, vcc_lo, v1, s4
	v_add_co_ci_u32_e64 v4, null, s5, v2, vcc_lo
	s_clause 0x1
	global_load_dwordx2 v[21:22], v[1:2], off offset:128
	global_load_dwordx2 v[19:20], v[3:4], off offset:128
.LBB92_38:
	s_or_b32 exec_lo, exec_lo, s2
	ds_read_b128 v[1:4], v47
	s_waitcnt vmcnt(0) lgkmcnt(0)
	s_barrier
	buffer_gl0_inv
	v_fma_f64 v[11:12], v[5:6], v[1:2], 0
	v_fma_f64 v[1:2], v[21:22], v[1:2], 0
	;; [unrolled: 1-line block ×6, first 2 shown]
	ds_write2_b64 v46, v[11:12], v[1:2] offset1:16
	s_waitcnt lgkmcnt(0)
	s_barrier
	buffer_gl0_inv
	s_and_saveexec_b32 s2, s0
	s_cbranch_execz .LBB92_41
; %bb.39:
	ds_read2_b64 v[1:4], v16 offset1:32
	ds_read2_b64 v[27:30], v16 offset0:64 offset1:96
	v_add_co_u32 v11, vcc_lo, v25, v23
	v_add_co_ci_u32_e64 v12, null, v26, v24, vcc_lo
	ds_read2_b64 v[23:26], v16 offset0:128 offset1:160
	s_mov_b32 s3, 0
	s_waitcnt lgkmcnt(2)
	v_add_f64 v[1:2], v[1:2], 0
	v_add_f64 v[1:2], v[1:2], v[3:4]
	global_load_dwordx2 v[3:4], v[11:12], off
	s_waitcnt lgkmcnt(1)
	v_add_f64 v[1:2], v[1:2], v[27:28]
	v_add_f64 v[1:2], v[1:2], v[29:30]
	s_waitcnt lgkmcnt(0)
	v_add_f64 v[1:2], v[1:2], v[23:24]
	v_add_f64 v[1:2], v[1:2], v[25:26]
	ds_read2_b64 v[23:26], v16 offset0:192 offset1:224
	v_add_nc_u32_e32 v16, 0x800, v16
	s_waitcnt lgkmcnt(0)
	v_add_f64 v[1:2], v[1:2], v[23:24]
	v_add_f64 v[1:2], v[1:2], v[25:26]
	ds_read2_b64 v[23:26], v16 offset1:32
	s_waitcnt lgkmcnt(0)
	v_add_f64 v[1:2], v[1:2], v[23:24]
	v_add_f64 v[1:2], v[1:2], v[25:26]
	ds_read2_b64 v[23:26], v16 offset0:64 offset1:96
	s_waitcnt lgkmcnt(0)
	v_add_f64 v[1:2], v[1:2], v[23:24]
	v_add_f64 v[1:2], v[1:2], v[25:26]
	ds_read2_b64 v[23:26], v16 offset0:128 offset1:160
	;; [unrolled: 4-line block ×3, first 2 shown]
	s_waitcnt lgkmcnt(0)
	v_add_f64 v[1:2], v[1:2], v[23:24]
	v_add_f64 v[1:2], v[1:2], v[25:26]
	v_mul_f64 v[16:17], v[13:14], v[1:2]
.LBB92_40:                              ; =>This Inner Loop Header: Depth=1
	s_waitcnt vmcnt(0)
	v_add_f64 v[1:2], v[3:4], v[16:17]
	global_atomic_cmpswap_x2 v[1:2], v[11:12], v[1:4], off glc
	s_waitcnt vmcnt(0)
	v_cmp_eq_u64_e32 vcc_lo, v[1:2], v[3:4]
	v_mov_b32_e32 v4, v2
	v_mov_b32_e32 v3, v1
	s_or_b32 s3, vcc_lo, s3
	s_andn2_b32 exec_lo, exec_lo, s3
	s_cbranch_execnz .LBB92_40
.LBB92_41:
	s_or_b32 exec_lo, exec_lo, s2
	v_fma_f64 v[11:12], v[9:10], v[21:22], v[5:6]
	v_fma_f64 v[5:6], v[9:10], v[19:20], v[7:8]
	v_mov_b32_e32 v8, v45
.LBB92_42:
	s_waitcnt vmcnt(1)
	v_lshl_add_u32 v1, v15, 3, v8
	v_add_nc_u32_e32 v1, 0x1000, v1
	ds_write2_b64 v1, v[11:12], v[5:6] offset1:16
	s_waitcnt vmcnt(0) lgkmcnt(0)
	s_barrier
	buffer_gl0_inv
	s_and_b32 exec_lo, exec_lo, s0
	s_cbranch_execz .LBB92_46
; %bb.43:
	v_cmp_gt_i32_e32 vcc_lo, s33, v0
	s_cmp_lt_u32 s6, s25
	s_cselect_b32 s0, -1, 0
	s_or_b32 s0, vcc_lo, s0
	s_and_b32 exec_lo, exec_lo, s0
	s_cbranch_execz .LBB92_46
; %bb.44:
	v_lshl_add_u32 v20, v0, 7, 0x1000
	v_add_nc_u32_e32 v3, 1, v0
	v_add_nc_u32_e32 v4, 2, v0
	v_add_nc_u32_e32 v5, 3, v0
	v_mad_u64_u32 v[9:10], null, s14, v0, 0
	v_lshl_or_b32 v1, v15, 3, v20
	v_and_b32_e32 v3, 15, v3
	v_and_b32_e32 v4, 15, v4
	;; [unrolled: 1-line block ×3, first 2 shown]
	s_mul_i32 s0, s14, s24
	ds_read_b64 v[1:2], v1
	v_lshl_or_b32 v3, v3, 3, v20
	v_lshl_or_b32 v6, v4, 3, v20
	;; [unrolled: 1-line block ×3, first 2 shown]
	ds_read_b64 v[3:4], v3
	ds_read_b64 v[5:6], v6
	;; [unrolled: 1-line block ×3, first 2 shown]
	s_mul_hi_u32 s2, s14, s1
	s_add_i32 s0, s2, s0
	s_mul_i32 s2, s15, s1
	s_add_i32 s3, s0, s2
	s_mul_i32 s2, s14, s1
	s_lshl_b64 s[0:1], s[2:3], 3
	s_add_u32 s0, s7, s0
	s_addc_u32 s1, s10, s1
	s_waitcnt lgkmcnt(3)
	v_add_f64 v[1:2], v[1:2], 0
	s_waitcnt lgkmcnt(2)
	v_add_f64 v[1:2], v[1:2], v[3:4]
	v_mov_b32_e32 v3, v10
	v_mad_u64_u32 v[3:4], null, s15, v0, v[3:4]
	v_mov_b32_e32 v10, v3
	v_lshlrev_b64 v[9:10], 3, v[9:10]
	s_waitcnt lgkmcnt(1)
	v_add_f64 v[11:12], v[1:2], v[5:6]
	v_add_nc_u32_e32 v1, 4, v0
	v_add_co_u32 v4, vcc_lo, s0, v9
	v_add_co_ci_u32_e64 v5, null, s1, v10, vcc_lo
	v_and_b32_e32 v1, 15, v1
	v_add_nc_u32_e32 v10, 6, v0
	s_mov_b32 s0, 0
	global_load_dwordx2 v[2:3], v[4:5], off
	v_lshl_or_b32 v1, v1, 3, v20
	v_and_b32_e32 v10, 15, v10
	s_waitcnt lgkmcnt(0)
	v_add_f64 v[6:7], v[11:12], v[7:8]
	ds_read_b64 v[8:9], v1
	v_add_nc_u32_e32 v1, 5, v0
	v_add_nc_u32_e32 v11, 7, v0
	v_lshl_or_b32 v12, v10, 3, v20
	v_and_b32_e32 v1, 15, v1
	v_and_b32_e32 v11, 15, v11
	v_lshl_or_b32 v1, v1, 3, v20
	v_lshl_or_b32 v18, v11, 3, v20
	ds_read_b64 v[10:11], v1
	ds_read_b64 v[16:17], v12
	;; [unrolled: 1-line block ×3, first 2 shown]
	v_xor_b32_e32 v1, 8, v15
	s_waitcnt lgkmcnt(3)
	v_add_f64 v[6:7], v[6:7], v[8:9]
	v_lshl_or_b32 v1, v1, 3, v20
	ds_read_b64 v[8:9], v1
	v_add_nc_u32_e32 v1, 9, v0
	v_and_b32_e32 v1, 15, v1
	v_lshl_or_b32 v1, v1, 3, v20
	s_waitcnt lgkmcnt(3)
	v_add_f64 v[6:7], v[6:7], v[10:11]
	v_add_nc_u32_e32 v10, 10, v0
	v_add_nc_u32_e32 v11, 11, v0
	v_and_b32_e32 v10, 15, v10
	v_and_b32_e32 v11, 15, v11
	v_lshl_or_b32 v12, v10, 3, v20
	s_waitcnt lgkmcnt(2)
	v_add_f64 v[6:7], v[6:7], v[16:17]
	v_lshl_or_b32 v17, v11, 3, v20
	s_waitcnt lgkmcnt(1)
	v_add_f64 v[6:7], v[6:7], v[18:19]
	ds_read_b64 v[10:11], v1
	ds_read_b64 v[15:16], v12
	;; [unrolled: 1-line block ×3, first 2 shown]
	v_add_nc_u32_e32 v1, 12, v0
	v_and_b32_e32 v1, 15, v1
	v_lshl_or_b32 v1, v1, 3, v20
	s_waitcnt lgkmcnt(3)
	v_add_f64 v[6:7], v[6:7], v[8:9]
	ds_read_b64 v[8:9], v1
	v_add_nc_u32_e32 v1, 13, v0
	v_and_b32_e32 v1, 15, v1
	v_lshl_or_b32 v1, v1, 3, v20
	s_waitcnt lgkmcnt(3)
	v_add_f64 v[6:7], v[6:7], v[10:11]
	v_add_nc_u32_e32 v10, 14, v0
	v_add_nc_u32_e32 v0, -1, v0
	v_and_b32_e32 v10, 15, v10
	v_and_b32_e32 v0, 15, v0
	v_lshl_or_b32 v10, v10, 3, v20
	v_lshl_or_b32 v12, v0, 3, v20
	s_waitcnt lgkmcnt(2)
	v_add_f64 v[6:7], v[6:7], v[15:16]
	ds_read_b64 v[0:1], v1
	ds_read_b64 v[10:11], v10
	;; [unrolled: 1-line block ×3, first 2 shown]
	s_waitcnt lgkmcnt(4)
	v_add_f64 v[6:7], v[6:7], v[17:18]
	s_waitcnt lgkmcnt(3)
	v_add_f64 v[6:7], v[6:7], v[8:9]
	;; [unrolled: 2-line block ×5, first 2 shown]
	v_mul_f64 v[6:7], v[13:14], v[0:1]
.LBB92_45:                              ; =>This Inner Loop Header: Depth=1
	s_waitcnt vmcnt(0)
	v_add_f64 v[0:1], v[2:3], v[6:7]
	global_atomic_cmpswap_x2 v[0:1], v[4:5], v[0:3], off glc
	s_waitcnt vmcnt(0)
	v_cmp_eq_u64_e32 vcc_lo, v[0:1], v[2:3]
	v_mov_b32_e32 v3, v1
	v_mov_b32_e32 v2, v0
	s_or_b32 s0, vcc_lo, s0
	s_andn2_b32 exec_lo, exec_lo, s0
	s_cbranch_execnz .LBB92_45
.LBB92_46:
	s_endpgm
	.section	.rodata,"a",@progbits
	.p2align	6, 0x0
	.amdhsa_kernel _ZL62rocblas_symv_kernel_upper_double_buffered_non_diagonal_genericILi32ELi8ELi2ELi0E24rocblas_internal_val_ptrIdEPKdPdEvbiT3_lT4_lllS6_lllT5_lllii
		.amdhsa_group_segment_fixed_size 8448
		.amdhsa_private_segment_fixed_size 0
		.amdhsa_kernarg_size 384
		.amdhsa_user_sgpr_count 6
		.amdhsa_user_sgpr_private_segment_buffer 1
		.amdhsa_user_sgpr_dispatch_ptr 0
		.amdhsa_user_sgpr_queue_ptr 0
		.amdhsa_user_sgpr_kernarg_segment_ptr 1
		.amdhsa_user_sgpr_dispatch_id 0
		.amdhsa_user_sgpr_flat_scratch_init 0
		.amdhsa_user_sgpr_private_segment_size 0
		.amdhsa_wavefront_size32 1
		.amdhsa_uses_dynamic_stack 0
		.amdhsa_system_sgpr_private_segment_wavefront_offset 0
		.amdhsa_system_sgpr_workgroup_id_x 1
		.amdhsa_system_sgpr_workgroup_id_y 1
		.amdhsa_system_sgpr_workgroup_id_z 1
		.amdhsa_system_sgpr_workgroup_info 0
		.amdhsa_system_vgpr_workitem_id 1
		.amdhsa_next_free_vgpr 53
		.amdhsa_next_free_sgpr 35
		.amdhsa_reserve_vcc 1
		.amdhsa_reserve_flat_scratch 0
		.amdhsa_float_round_mode_32 0
		.amdhsa_float_round_mode_16_64 0
		.amdhsa_float_denorm_mode_32 3
		.amdhsa_float_denorm_mode_16_64 3
		.amdhsa_dx10_clamp 1
		.amdhsa_ieee_mode 1
		.amdhsa_fp16_overflow 0
		.amdhsa_workgroup_processor_mode 1
		.amdhsa_memory_ordered 1
		.amdhsa_forward_progress 1
		.amdhsa_shared_vgpr_count 0
		.amdhsa_exception_fp_ieee_invalid_op 0
		.amdhsa_exception_fp_denorm_src 0
		.amdhsa_exception_fp_ieee_div_zero 0
		.amdhsa_exception_fp_ieee_overflow 0
		.amdhsa_exception_fp_ieee_underflow 0
		.amdhsa_exception_fp_ieee_inexact 0
		.amdhsa_exception_int_div_zero 0
	.end_amdhsa_kernel
	.section	.text._ZL62rocblas_symv_kernel_upper_double_buffered_non_diagonal_genericILi32ELi8ELi2ELi0E24rocblas_internal_val_ptrIdEPKdPdEvbiT3_lT4_lllS6_lllT5_lllii,"axG",@progbits,_ZL62rocblas_symv_kernel_upper_double_buffered_non_diagonal_genericILi32ELi8ELi2ELi0E24rocblas_internal_val_ptrIdEPKdPdEvbiT3_lT4_lllS6_lllT5_lllii,comdat
.Lfunc_end92:
	.size	_ZL62rocblas_symv_kernel_upper_double_buffered_non_diagonal_genericILi32ELi8ELi2ELi0E24rocblas_internal_val_ptrIdEPKdPdEvbiT3_lT4_lllS6_lllT5_lllii, .Lfunc_end92-_ZL62rocblas_symv_kernel_upper_double_buffered_non_diagonal_genericILi32ELi8ELi2ELi0E24rocblas_internal_val_ptrIdEPKdPdEvbiT3_lT4_lllS6_lllT5_lllii
                                        ; -- End function
	.set _ZL62rocblas_symv_kernel_upper_double_buffered_non_diagonal_genericILi32ELi8ELi2ELi0E24rocblas_internal_val_ptrIdEPKdPdEvbiT3_lT4_lllS6_lllT5_lllii.num_vgpr, 53
	.set _ZL62rocblas_symv_kernel_upper_double_buffered_non_diagonal_genericILi32ELi8ELi2ELi0E24rocblas_internal_val_ptrIdEPKdPdEvbiT3_lT4_lllS6_lllT5_lllii.num_agpr, 0
	.set _ZL62rocblas_symv_kernel_upper_double_buffered_non_diagonal_genericILi32ELi8ELi2ELi0E24rocblas_internal_val_ptrIdEPKdPdEvbiT3_lT4_lllS6_lllT5_lllii.numbered_sgpr, 35
	.set _ZL62rocblas_symv_kernel_upper_double_buffered_non_diagonal_genericILi32ELi8ELi2ELi0E24rocblas_internal_val_ptrIdEPKdPdEvbiT3_lT4_lllS6_lllT5_lllii.num_named_barrier, 0
	.set _ZL62rocblas_symv_kernel_upper_double_buffered_non_diagonal_genericILi32ELi8ELi2ELi0E24rocblas_internal_val_ptrIdEPKdPdEvbiT3_lT4_lllS6_lllT5_lllii.private_seg_size, 0
	.set _ZL62rocblas_symv_kernel_upper_double_buffered_non_diagonal_genericILi32ELi8ELi2ELi0E24rocblas_internal_val_ptrIdEPKdPdEvbiT3_lT4_lllS6_lllT5_lllii.uses_vcc, 1
	.set _ZL62rocblas_symv_kernel_upper_double_buffered_non_diagonal_genericILi32ELi8ELi2ELi0E24rocblas_internal_val_ptrIdEPKdPdEvbiT3_lT4_lllS6_lllT5_lllii.uses_flat_scratch, 0
	.set _ZL62rocblas_symv_kernel_upper_double_buffered_non_diagonal_genericILi32ELi8ELi2ELi0E24rocblas_internal_val_ptrIdEPKdPdEvbiT3_lT4_lllS6_lllT5_lllii.has_dyn_sized_stack, 0
	.set _ZL62rocblas_symv_kernel_upper_double_buffered_non_diagonal_genericILi32ELi8ELi2ELi0E24rocblas_internal_val_ptrIdEPKdPdEvbiT3_lT4_lllS6_lllT5_lllii.has_recursion, 0
	.set _ZL62rocblas_symv_kernel_upper_double_buffered_non_diagonal_genericILi32ELi8ELi2ELi0E24rocblas_internal_val_ptrIdEPKdPdEvbiT3_lT4_lllS6_lllT5_lllii.has_indirect_call, 0
	.section	.AMDGPU.csdata,"",@progbits
; Kernel info:
; codeLenInByte = 3468
; TotalNumSgprs: 37
; NumVgprs: 53
; ScratchSize: 0
; MemoryBound: 1
; FloatMode: 240
; IeeeMode: 1
; LDSByteSize: 8448 bytes/workgroup (compile time only)
; SGPRBlocks: 0
; VGPRBlocks: 6
; NumSGPRsForWavesPerEU: 37
; NumVGPRsForWavesPerEU: 53
; Occupancy: 16
; WaveLimiterHint : 0
; COMPUTE_PGM_RSRC2:SCRATCH_EN: 0
; COMPUTE_PGM_RSRC2:USER_SGPR: 6
; COMPUTE_PGM_RSRC2:TRAP_HANDLER: 0
; COMPUTE_PGM_RSRC2:TGID_X_EN: 1
; COMPUTE_PGM_RSRC2:TGID_Y_EN: 1
; COMPUTE_PGM_RSRC2:TGID_Z_EN: 1
; COMPUTE_PGM_RSRC2:TIDIG_COMP_CNT: 1
	.section	.text._ZL62rocblas_symv_kernel_upper_double_buffered_non_diagonal_genericILi32ELi8ELi2ELi1E24rocblas_internal_val_ptrIdEPKdPdEvbiT3_lT4_lllS6_lllT5_lllii,"axG",@progbits,_ZL62rocblas_symv_kernel_upper_double_buffered_non_diagonal_genericILi32ELi8ELi2ELi1E24rocblas_internal_val_ptrIdEPKdPdEvbiT3_lT4_lllS6_lllT5_lllii,comdat
	.globl	_ZL62rocblas_symv_kernel_upper_double_buffered_non_diagonal_genericILi32ELi8ELi2ELi1E24rocblas_internal_val_ptrIdEPKdPdEvbiT3_lT4_lllS6_lllT5_lllii ; -- Begin function _ZL62rocblas_symv_kernel_upper_double_buffered_non_diagonal_genericILi32ELi8ELi2ELi1E24rocblas_internal_val_ptrIdEPKdPdEvbiT3_lT4_lllS6_lllT5_lllii
	.p2align	8
	.type	_ZL62rocblas_symv_kernel_upper_double_buffered_non_diagonal_genericILi32ELi8ELi2ELi1E24rocblas_internal_val_ptrIdEPKdPdEvbiT3_lT4_lllS6_lllT5_lllii,@function
_ZL62rocblas_symv_kernel_upper_double_buffered_non_diagonal_genericILi32ELi8ELi2ELi1E24rocblas_internal_val_ptrIdEPKdPdEvbiT3_lT4_lllS6_lllT5_lllii: ; @_ZL62rocblas_symv_kernel_upper_double_buffered_non_diagonal_genericILi32ELi8ELi2ELi1E24rocblas_internal_val_ptrIdEPKdPdEvbiT3_lT4_lllS6_lllT5_lllii
; %bb.0:
	s_clause 0x1
	s_load_dword s0, s[4:5], 0x0
	s_load_dwordx16 s[12:27], s[4:5], 0x8
	s_waitcnt lgkmcnt(0)
	s_bitcmp1_b32 s0, 0
	v_mov_b32_e32 v14, s13
	v_mov_b32_e32 v13, s12
	s_cselect_b32 s0, -1, 0
	s_and_b32 vcc_lo, exec_lo, s0
	s_cbranch_vccnz .LBB93_2
; %bb.1:
	s_mul_i32 s0, s15, s8
	s_mul_hi_u32 s1, s14, s8
	s_add_i32 s1, s1, s0
	s_mul_i32 s0, s14, s8
	s_lshl_b64 s[0:1], s[0:1], 3
	s_add_u32 s0, s12, s0
	s_addc_u32 s1, s13, s1
	v_mov_b32_e32 v3, s1
	v_mov_b32_e32 v2, s0
	flat_load_dwordx2 v[13:14], v[2:3]
.LBB93_2:
	s_mov_b32 s0, exec_lo
	s_waitcnt vmcnt(0) lgkmcnt(0)
	v_cmpx_neq_f64_e32 0, v[13:14]
	s_cbranch_execz .LBB93_78
; %bb.3:
	s_load_dword s3, s[4:5], 0x84
	s_add_u32 s0, s4, 0x80
	s_addc_u32 s1, s5, 0
	s_cmp_eq_u32 s6, 0
	s_waitcnt lgkmcnt(0)
	v_cvt_f32_u32_e32 v2, s3
	v_rcp_iflag_f32_e32 v2, v2
	v_mul_f32_e32 v2, 0x4f7ffffe, v2
	v_cvt_u32_f32_e32 v2, v2
	v_readfirstlane_b32 s2, v2
	s_cbranch_scc1 .LBB93_78
; %bb.4:
	s_sub_i32 s9, 0, s3
	s_mul_i32 s9, s9, s2
	s_mul_hi_u32 s9, s2, s9
	s_add_i32 s2, s2, s9
	s_mul_hi_u32 s2, s6, s2
	s_mul_i32 s9, s2, s3
	s_add_i32 s10, s2, 1
	s_sub_i32 s9, s6, s9
	s_sub_i32 s11, s9, s3
	s_cmp_ge_u32 s9, s3
	s_cselect_b32 s2, s10, s2
	s_cselect_b32 s9, s11, s9
	s_add_i32 s10, s2, 1
	s_cmp_ge_u32 s9, s3
	s_cselect_b32 s2, s10, s2
	s_add_i32 s9, s3, -1
	s_mov_b32 s33, s2
	s_cmp_lg_u32 s7, s9
	s_cbranch_scc1 .LBB93_6
; %bb.5:
	s_mul_i32 s3, s2, s3
	s_sub_i32 s3, s6, s3
	s_add_i32 s33, s3, s2
.LBB93_6:
	s_cmp_eq_u32 s33, 0
	s_cbranch_scc1 .LBB93_78
; %bb.7:
	s_load_dwordx4 s[28:31], s[4:5], 0x48
	s_load_dword s12, s[0:1], 0x0
	v_lshl_add_u32 v2, v1, 5, v0
	s_waitcnt lgkmcnt(0)
	s_mul_i32 s3, s31, s8
	s_mul_hi_u32 s9, s30, s8
	s_mul_i32 s10, s30, s8
	s_add_i32 s11, s9, s3
	s_lshl_b64 s[10:11], s[10:11], 3
	s_add_u32 s3, s24, s10
	s_addc_u32 s10, s25, s11
	s_lshl_b64 s[0:1], s[26:27], 3
	s_mov_b32 s11, -1
	s_add_u32 s9, s3, s0
	s_addc_u32 s30, s10, s1
	s_lshl_b32 s24, s6, 5
	s_ashr_i32 s25, s24, 31
	s_mul_hi_u32 s0, s28, s24
	s_mul_i32 s1, s28, s25
	s_mul_i32 s3, s29, s24
	s_add_i32 s1, s0, s1
	s_mul_i32 s0, s28, s24
	s_add_i32 s1, s1, s3
	s_lshl_b64 s[0:1], s[0:1], 3
	s_add_u32 s3, s9, s0
	s_addc_u32 s10, s30, s1
	s_add_i32 s26, s12, -1
	v_cmp_eq_u32_e64 s0, 0, v1
	s_cmp_lg_u32 s6, s26
	s_cselect_b32 s1, -1, 0
	s_and_b32 vcc_lo, exec_lo, s1
	s_cbranch_vccz .LBB93_11
; %bb.8:
	s_and_saveexec_b32 s11, s0
	s_cbranch_execz .LBB93_10
; %bb.9:
	v_mad_u64_u32 v[3:4], null, s28, v0, 0
	v_mov_b32_e32 v1, v4
	v_mad_u64_u32 v[4:5], null, s29, v0, v[1:2]
	v_lshlrev_b32_e32 v1, 3, v0
	v_lshlrev_b64 v[3:4], 3, v[3:4]
	v_add_co_u32 v3, vcc_lo, s3, v3
	v_add_co_ci_u32_e64 v4, null, s10, v4, vcc_lo
	global_load_dwordx2 v[3:4], v[3:4], off
	s_waitcnt vmcnt(0)
	ds_write_b64 v1, v[3:4] offset:8192
.LBB93_10:
	s_or_b32 exec_lo, exec_lo, s11
	s_mov_b32 s11, 0
.LBB93_11:
	s_load_dword s27, s[4:5], 0x78
	v_and_b32_e32 v15, 15, v0
	v_lshrrev_b32_e32 v7, 4, v2
	s_andn2_b32 vcc_lo, exec_lo, s11
	s_cbranch_vccnz .LBB93_17
; %bb.12:
	s_and_saveexec_b32 s11, s0
	s_cbranch_execz .LBB93_16
; %bb.13:
	v_mov_b32_e32 v1, 0
	v_mov_b32_e32 v2, 0
	s_mov_b32 s12, exec_lo
	s_waitcnt lgkmcnt(0)
	v_cmpx_gt_i32_e64 s27, v0
	s_cbranch_execz .LBB93_15
; %bb.14:
	v_mad_u64_u32 v[1:2], null, s28, v0, 0
	v_mad_u64_u32 v[2:3], null, s29, v0, v[2:3]
	v_lshlrev_b64 v[1:2], 3, v[1:2]
	v_add_co_u32 v1, vcc_lo, s3, v1
	v_add_co_ci_u32_e64 v2, null, s10, v2, vcc_lo
	global_load_dwordx2 v[1:2], v[1:2], off
.LBB93_15:
	s_or_b32 exec_lo, exec_lo, s12
	v_lshlrev_b32_e32 v3, 3, v0
	s_waitcnt vmcnt(0)
	ds_write_b64 v3, v[1:2] offset:8192
.LBB93_16:
	s_or_b32 exec_lo, exec_lo, s11
	v_lshlrev_b32_e32 v1, 3, v15
	s_mov_b32 s10, 0
	s_mov_b32 s11, s10
	v_lshl_or_b32 v3, v7, 8, v1
	v_mov_b32_e32 v1, s10
	v_mov_b32_e32 v2, s11
	v_add_nc_u32_e32 v4, 0x1000, v3
	ds_write2_b64 v3, v[1:2], v[1:2] offset1:16
	ds_write2_b64 v4, v[1:2], v[1:2] offset1:16
.LBB93_17:
	s_mul_i32 s3, s23, s8
	s_mul_hi_u32 s10, s22, s8
	s_waitcnt lgkmcnt(0)
	s_lshr_b32 s12, s27, 31
	s_add_i32 s11, s10, s3
	s_mul_i32 s10, s22, s8
	s_add_i32 s3, s27, s12
	s_lshl_b64 s[10:11], s[10:11], 3
	v_lshlrev_b32_e32 v8, 1, v7
	v_mov_b32_e32 v16, 0
	s_ashr_i32 s22, s3, 1
	s_add_u32 s3, s16, s10
	s_addc_u32 s12, s17, s11
	s_lshl_b64 s[10:11], s[18:19], 3
	s_mul_hi_u32 s13, s20, s24
	s_add_u32 s3, s3, s10
	s_mul_i32 s10, s20, s25
	v_mad_u64_u32 v[16:17], null, s20, v8, v[15:16]
	s_addc_u32 s14, s12, s11
	s_add_i32 s10, s13, s10
	s_mul_i32 s11, s21, s24
	s_mul_i32 s7, s7, s2
	s_add_i32 s11, s10, s11
	s_mul_i32 s10, s20, s24
	v_mov_b32_e32 v1, v17
	s_lshl_b64 s[12:13], s[10:11], 3
	s_load_dwordx2 s[10:11], s[4:5], 0x58
	s_add_u32 s15, s3, s12
	s_addc_u32 s14, s14, s13
	v_mad_u64_u32 v[1:2], null, s21, v8, v[1:2]
	s_lshl_b32 s2, s7, 5
	v_cndmask_b32_e64 v47, 0, 1, s1
	s_ashr_i32 s3, s2, 31
	s_waitcnt lgkmcnt(0)
	s_lshl_b64 s[12:13], s[2:3], 3
	s_barrier
	v_mov_b32_e32 v17, v1
	s_add_u32 s16, s15, s12
	s_addc_u32 s17, s14, s13
	s_andn2_b32 vcc_lo, exec_lo, s1
	buffer_gl0_inv
	s_cbranch_vccnz .LBB93_19
; %bb.18:
	v_lshlrev_b64 v[1:2], 3, v[16:17]
	s_lshl_b64 s[12:13], s[20:21], 3
	v_add_co_u32 v1, vcc_lo, s16, v1
	v_add_co_ci_u32_e64 v2, null, s17, v2, vcc_lo
	v_add_co_u32 v3, vcc_lo, v1, s12
	v_add_co_ci_u32_e64 v4, null, s13, v2, vcc_lo
	s_clause 0x1
	global_load_dwordx2 v[1:2], v[1:2], off
	global_load_dwordx2 v[3:4], v[3:4], off
	v_cmp_le_i32_e64 s1, s22, v7
	s_cbranch_execz .LBB93_20
	s_branch .LBB93_27
.LBB93_19:
                                        ; implicit-def: $vgpr1_vgpr2_vgpr3_vgpr4
	v_cmp_le_i32_e64 s1, s22, v7
.LBB93_20:
                                        ; implicit-def: $vgpr1_vgpr2_vgpr3_vgpr4
	s_and_saveexec_b32 s7, s1
	s_xor_b32 s1, exec_lo, s7
	s_cbranch_execz .LBB93_24
; %bb.21:
	s_waitcnt vmcnt(1)
	v_mov_b32_e32 v1, 0
	s_mov_b32 s7, exec_lo
	v_mov_b32_e32 v2, v1
	s_waitcnt vmcnt(0)
	v_mov_b32_e32 v3, v1
	v_mov_b32_e32 v4, v1
	v_cmpx_eq_u32_e64 s22, v7
	s_cbranch_execz .LBB93_23
; %bb.22:
	v_lshlrev_b64 v[2:3], 3, v[16:17]
	v_mov_b32_e32 v5, v1
	v_mov_b32_e32 v4, v1
	v_add_co_u32 v2, vcc_lo, s16, v2
	v_add_co_ci_u32_e64 v3, null, s17, v3, vcc_lo
	global_load_dwordx2 v[2:3], v[2:3], off
	s_waitcnt vmcnt(0)
	v_mov_b32_e32 v1, v2
	v_mov_b32_e32 v2, v3
	;; [unrolled: 1-line block ×4, first 2 shown]
.LBB93_23:
	s_or_b32 exec_lo, exec_lo, s7
.LBB93_24:
	s_andn2_saveexec_b32 s1, s1
	s_cbranch_execz .LBB93_26
; %bb.25:
	s_waitcnt vmcnt(1)
	v_lshlrev_b64 v[1:2], 3, v[16:17]
	s_lshl_b64 s[12:13], s[20:21], 3
	v_add_co_u32 v1, vcc_lo, s16, v1
	v_add_co_ci_u32_e64 v2, null, s17, v2, vcc_lo
	s_waitcnt vmcnt(0)
	v_add_co_u32 v3, vcc_lo, v1, s12
	v_add_co_ci_u32_e64 v4, null, s13, v2, vcc_lo
	s_clause 0x1
	global_load_dwordx2 v[1:2], v[1:2], off
	global_load_dwordx2 v[3:4], v[3:4], off
.LBB93_26:
	s_or_b32 exec_lo, exec_lo, s1
.LBB93_27:
	s_clause 0x1
	s_load_dwordx2 s[18:19], s[4:5], 0x70
	s_load_dwordx4 s[12:15], s[4:5], 0x60
	v_lshlrev_b32_e32 v46, 8, v7
	s_waitcnt lgkmcnt(0)
	s_mul_i32 s1, s19, s8
	s_mul_hi_u32 s5, s18, s8
	s_mul_i32 s4, s18, s8
	s_add_i32 s5, s5, s1
	s_lshl_b64 s[4:5], s[4:5], 3
	s_add_u32 s1, s10, s4
	s_addc_u32 s8, s11, s5
	s_lshl_b64 s[4:5], s[12:13], 3
	s_add_u32 s7, s1, s4
	s_addc_u32 s12, s8, s5
	s_cmp_gt_i32 s33, 0
	s_mov_b32 s1, 0
	s_cbranch_scc1 .LBB93_29
; %bb.28:
	v_lshlrev_b32_e32 v9, 8, v7
	s_branch .LBB93_30
.LBB93_29:
	s_mov_b32 s1, -1
                                        ; implicit-def: $vgpr9
.LBB93_30:
	v_mov_b32_e32 v5, 0
	v_mov_b32_e32 v11, 0
	;; [unrolled: 1-line block ×4, first 2 shown]
	s_andn2_b32 vcc_lo, exec_lo, s1
	s_cbranch_vccnz .LBB93_74
; %bb.31:
	v_mad_u64_u32 v[5:6], null, s28, v15, 0
	s_mul_i32 s1, s28, s3
	s_mul_hi_u32 s4, s28, s2
	s_mul_i32 s5, s29, s2
	s_add_i32 s1, s4, s1
	s_mul_i32 s4, s28, s2
	s_add_i32 s5, s1, s5
	v_mad_u64_u32 v[9:10], null, s29, v15, v[6:7]
	s_lshl_b64 s[4:5], s[4:5], 3
	v_or_b32_e32 v11, 16, v15
	s_add_u32 s13, s9, s4
	s_addc_u32 s18, s30, s5
	s_mul_i32 s1, s14, s3
	s_mul_hi_u32 s3, s14, s2
	v_mov_b32_e32 v6, v9
	v_mad_u64_u32 v[9:10], null, s14, v0, 0
	s_add_i32 s1, s3, s1
	s_mul_i32 s3, s15, s2
	v_lshlrev_b64 v[26:27], 3, v[5:6]
	s_add_i32 s3, s1, s3
	s_mul_i32 s2, s14, s2
	v_mov_b32_e32 v32, 0
	s_lshl_b64 s[2:3], s[2:3], 3
	v_cmp_eq_u32_e64 s1, s22, v7
	v_add_co_u32 v5, vcc_lo, s13, v26
	v_add_co_ci_u32_e64 v6, null, s18, v27, vcc_lo
	s_add_u32 s10, s7, s2
	v_cmp_le_i32_e64 s2, s22, v7
	v_lshl_add_u32 v50, v8, 3, 0x2000
	global_load_dwordx2 v[30:31], v[5:6], off
	v_mad_u64_u32 v[5:6], null, s28, v11, 0
	v_lshlrev_b32_e32 v48, 3, v0
	v_mov_b32_e32 v33, 0
	s_addc_u32 s11, s12, s3
	s_cmp_eq_u32 s33, 1
	v_mad_u64_u32 v[11:12], null, s29, v11, v[6:7]
	v_lshlrev_b32_e32 v12, 3, v15
	v_add_nc_u32_e32 v49, v12, v46
	v_mad_u64_u32 v[18:19], null, s15, v0, v[10:11]
	v_mov_b32_e32 v6, v11
	v_lshlrev_b64 v[28:29], 3, v[5:6]
	v_mov_b32_e32 v10, v18
	v_lshlrev_b64 v[18:19], 3, v[9:10]
	s_cbranch_scc1 .LBB93_59
; %bb.32:
	v_mov_b32_e32 v22, 0
	v_mov_b32_e32 v21, s11
	v_lshlrev_b64 v[36:37], 3, v[16:17]
	v_mov_b32_e32 v24, 0
	v_mov_b32_e32 v7, 0
	v_mov_b32_e32 v5, 0
	v_mov_b32_e32 v23, 0
	v_mov_b32_e32 v20, s10
	v_mov_b32_e32 v25, 0
	v_mov_b32_e32 v8, 0
	v_mov_b32_e32 v6, 0
	v_add_nc_u32_e32 v51, 0x800, v48
	s_lshl_b64 s[4:5], s[28:29], 8
	s_lshl_b64 s[8:9], s[14:15], 8
	s_add_i32 s3, s33, -2
	s_mov_b32 s19, 0
	s_lshl_b64 s[10:11], s[20:21], 3
.LBB93_33:                              ; =>This Loop Header: Depth=1
                                        ;     Child Loop BB93_55 Depth 2
	v_add_co_u32 v9, vcc_lo, s13, v28
	v_add_co_ci_u32_e64 v10, null, s18, v29, vcc_lo
	v_cmp_ne_u32_e32 vcc_lo, 1, v47
	s_mov_b32 s22, -1
                                        ; implicit-def: $vgpr32_vgpr33
                                        ; implicit-def: $vgpr34_vgpr35
	global_load_dwordx2 v[38:39], v[9:10], off
	s_cbranch_vccnz .LBB93_35
; %bb.34:                               ;   in Loop: Header=BB93_33 Depth=1
	v_add_co_u32 v9, vcc_lo, s16, v36
	v_add_co_ci_u32_e64 v10, null, s17, v37, vcc_lo
	s_mov_b32 s22, 0
	v_add_co_u32 v11, vcc_lo, v9, s10
	v_add_co_ci_u32_e64 v12, null, s11, v10, vcc_lo
	s_clause 0x1
	global_load_dwordx2 v[34:35], v[9:10], off offset:128
	global_load_dwordx2 v[32:33], v[11:12], off offset:128
.LBB93_35:                              ;   in Loop: Header=BB93_33 Depth=1
	s_andn2_b32 vcc_lo, exec_lo, s22
	s_cbranch_vccnz .LBB93_43
; %bb.36:                               ;   in Loop: Header=BB93_33 Depth=1
	s_and_saveexec_b32 s22, s2
	s_xor_b32 s22, exec_lo, s22
	s_cbranch_execz .LBB93_40
; %bb.37:                               ;   in Loop: Header=BB93_33 Depth=1
	s_and_saveexec_b32 s23, s1
	s_cbranch_execz .LBB93_39
; %bb.38:                               ;   in Loop: Header=BB93_33 Depth=1
	v_add_co_u32 v7, vcc_lo, s16, v36
	v_add_co_ci_u32_e64 v8, null, s17, v37, vcc_lo
	global_load_dwordx2 v[7:8], v[7:8], off offset:128
.LBB93_39:                              ;   in Loop: Header=BB93_33 Depth=1
	s_or_b32 exec_lo, exec_lo, s23
.LBB93_40:                              ;   in Loop: Header=BB93_33 Depth=1
	s_andn2_saveexec_b32 s22, s22
	s_cbranch_execz .LBB93_42
; %bb.41:                               ;   in Loop: Header=BB93_33 Depth=1
	v_add_co_u32 v5, vcc_lo, s16, v36
	v_add_co_ci_u32_e64 v6, null, s17, v37, vcc_lo
	v_add_co_u32 v9, vcc_lo, v5, s10
	v_add_co_ci_u32_e64 v10, null, s11, v6, vcc_lo
	s_clause 0x1
	global_load_dwordx2 v[7:8], v[5:6], off offset:128
	global_load_dwordx2 v[5:6], v[9:10], off offset:128
.LBB93_42:                              ;   in Loop: Header=BB93_33 Depth=1
	s_or_b32 exec_lo, exec_lo, s22
	s_waitcnt vmcnt(0)
	v_mov_b32_e32 v35, v8
	v_mov_b32_e32 v33, v6
	v_mov_b32_e32 v34, v7
	v_mov_b32_e32 v32, v5
.LBB93_43:                              ;   in Loop: Header=BB93_33 Depth=1
	ds_read_b128 v[9:12], v50
	v_cmp_ne_u32_e32 vcc_lo, 1, v47
	s_mov_b32 s22, -1
                                        ; implicit-def: $vgpr5_vgpr6_vgpr7_vgpr8
	s_cbranch_vccnz .LBB93_45
; %bb.44:                               ;   in Loop: Header=BB93_33 Depth=1
	v_add_co_u32 v5, vcc_lo, s16, v36
	v_add_co_ci_u32_e64 v6, null, s17, v37, vcc_lo
	s_mov_b32 s22, 0
	v_add_co_u32 v7, vcc_lo, v5, s10
	v_add_co_ci_u32_e64 v8, null, s11, v6, vcc_lo
	s_clause 0x1
	global_load_dwordx2 v[5:6], v[5:6], off offset:256
	global_load_dwordx2 v[7:8], v[7:8], off offset:256
.LBB93_45:                              ;   in Loop: Header=BB93_33 Depth=1
	s_andn2_b32 vcc_lo, exec_lo, s22
	s_cbranch_vccnz .LBB93_53
; %bb.46:                               ;   in Loop: Header=BB93_33 Depth=1
                                        ; implicit-def: $vgpr5_vgpr6_vgpr7_vgpr8
	s_and_saveexec_b32 s22, s2
	s_xor_b32 s22, exec_lo, s22
	s_cbranch_execz .LBB93_50
; %bb.47:                               ;   in Loop: Header=BB93_33 Depth=1
	s_waitcnt vmcnt(0)
	v_mov_b32_e32 v8, v4
	v_mov_b32_e32 v7, v3
	;; [unrolled: 1-line block ×4, first 2 shown]
	s_and_saveexec_b32 s23, s1
	s_cbranch_execz .LBB93_49
; %bb.48:                               ;   in Loop: Header=BB93_33 Depth=1
	v_add_co_u32 v5, vcc_lo, s16, v36
	v_add_co_ci_u32_e64 v6, null, s17, v37, vcc_lo
	global_load_dwordx2 v[40:41], v[5:6], off offset:256
	v_mov_b32_e32 v8, v4
	v_mov_b32_e32 v6, v2
	;; [unrolled: 1-line block ×4, first 2 shown]
	s_waitcnt vmcnt(0)
	v_mov_b32_e32 v5, v40
	v_mov_b32_e32 v6, v41
.LBB93_49:                              ;   in Loop: Header=BB93_33 Depth=1
	s_or_b32 exec_lo, exec_lo, s23
.LBB93_50:                              ;   in Loop: Header=BB93_33 Depth=1
	s_andn2_saveexec_b32 s22, s22
	s_cbranch_execz .LBB93_52
; %bb.51:                               ;   in Loop: Header=BB93_33 Depth=1
	s_waitcnt vmcnt(1)
	v_add_co_u32 v5, vcc_lo, s16, v36
	v_add_co_ci_u32_e64 v6, null, s17, v37, vcc_lo
	s_waitcnt vmcnt(0)
	v_add_co_u32 v7, vcc_lo, v5, s10
	v_add_co_ci_u32_e64 v8, null, s11, v6, vcc_lo
	s_clause 0x1
	global_load_dwordx2 v[5:6], v[5:6], off offset:256
	global_load_dwordx2 v[7:8], v[7:8], off offset:256
.LBB93_52:                              ;   in Loop: Header=BB93_33 Depth=1
	s_or_b32 exec_lo, exec_lo, s22
.LBB93_53:                              ;   in Loop: Header=BB93_33 Depth=1
	s_add_u32 s13, s13, s4
	s_addc_u32 s18, s18, s5
	v_add_co_u32 v40, vcc_lo, s13, v26
	v_add_co_ci_u32_e64 v41, null, s18, v27, vcc_lo
	s_waitcnt vmcnt(3) lgkmcnt(0)
	v_fma_f64 v[42:43], v[1:2], v[9:10], 0
	s_waitcnt vmcnt(1)
	v_fma_f64 v[9:10], v[34:35], v[9:10], 0
	global_load_dwordx2 v[40:41], v[40:41], off
	s_waitcnt vmcnt(0)
	s_barrier
	buffer_gl0_inv
	v_fma_f64 v[42:43], v[3:4], v[11:12], v[42:43]
	v_fma_f64 v[9:10], v[32:33], v[11:12], v[9:10]
	ds_write2_b64 v49, v[42:43], v[9:10] offset1:16
	s_waitcnt lgkmcnt(0)
	s_barrier
	buffer_gl0_inv
	s_and_saveexec_b32 s22, s0
	s_cbranch_execz .LBB93_57
; %bb.54:                               ;   in Loop: Header=BB93_33 Depth=1
	ds_read2_b64 v[9:12], v48 offset1:32
	ds_read2_b64 v[42:45], v48 offset0:64 offset1:96
	ds_read2_b64 v[52:55], v48 offset0:128 offset1:160
	s_mov_b32 s23, 0
	s_waitcnt lgkmcnt(2)
	v_add_f64 v[9:10], v[9:10], 0
	v_add_f64 v[9:10], v[9:10], v[11:12]
	s_waitcnt lgkmcnt(1)
	v_add_f64 v[9:10], v[9:10], v[42:43]
	v_add_co_u32 v42, vcc_lo, v20, v18
	v_add_co_ci_u32_e64 v43, null, v21, v19, vcc_lo
	global_load_dwordx2 v[11:12], v[42:43], off
	v_add_f64 v[9:10], v[9:10], v[44:45]
	s_waitcnt lgkmcnt(0)
	v_add_f64 v[9:10], v[9:10], v[52:53]
	v_add_f64 v[9:10], v[9:10], v[54:55]
	ds_read2_b64 v[52:55], v48 offset0:192 offset1:224
	s_waitcnt lgkmcnt(0)
	v_add_f64 v[9:10], v[9:10], v[52:53]
	v_add_f64 v[9:10], v[9:10], v[54:55]
	ds_read2_b64 v[52:55], v51 offset1:32
	s_waitcnt lgkmcnt(0)
	v_add_f64 v[9:10], v[9:10], v[52:53]
	v_add_f64 v[9:10], v[9:10], v[54:55]
	ds_read2_b64 v[52:55], v51 offset0:64 offset1:96
	s_waitcnt lgkmcnt(0)
	v_add_f64 v[9:10], v[9:10], v[52:53]
	v_add_f64 v[9:10], v[9:10], v[54:55]
	ds_read2_b64 v[52:55], v51 offset0:128 offset1:160
	;; [unrolled: 4-line block ×3, first 2 shown]
	s_waitcnt lgkmcnt(0)
	v_add_f64 v[9:10], v[9:10], v[52:53]
	v_add_f64 v[9:10], v[9:10], v[54:55]
	v_mul_f64 v[44:45], v[13:14], v[9:10]
.LBB93_55:                              ;   Parent Loop BB93_33 Depth=1
                                        ; =>  This Inner Loop Header: Depth=2
	s_waitcnt vmcnt(0)
	v_add_f64 v[9:10], v[11:12], v[44:45]
	global_atomic_cmpswap_x2 v[9:10], v[42:43], v[9:12], off glc
	s_waitcnt vmcnt(0)
	v_cmp_eq_u64_e32 vcc_lo, v[9:10], v[11:12]
	v_mov_b32_e32 v12, v10
	v_mov_b32_e32 v11, v9
	s_or_b32 s23, vcc_lo, s23
	s_andn2_b32 exec_lo, exec_lo, s23
	s_cbranch_execnz .LBB93_55
; %bb.56:                               ;   in Loop: Header=BB93_33 Depth=1
	s_or_b32 exec_lo, exec_lo, s23
	v_add_co_u32 v20, vcc_lo, v20, s8
	v_add_co_ci_u32_e64 v21, null, s9, v21, vcc_lo
.LBB93_57:                              ;   in Loop: Header=BB93_33 Depth=1
	s_or_b32 exec_lo, exec_lo, s22
	v_fma_f64 v[1:2], v[30:31], v[1:2], v[22:23]
	v_fma_f64 v[3:4], v[30:31], v[3:4], v[24:25]
	s_add_u32 s16, s16, 0x100
	s_addc_u32 s17, s17, 0
	s_add_i32 s22, s19, 1
	s_cmp_eq_u32 s19, s3
	v_fma_f64 v[22:23], v[38:39], v[34:35], v[1:2]
	v_fma_f64 v[24:25], v[38:39], v[32:33], v[3:4]
	s_cbranch_scc1 .LBB93_60
; %bb.58:                               ;   in Loop: Header=BB93_33 Depth=1
	v_mov_b32_e32 v1, v5
	v_mov_b32_e32 v30, v40
	;; [unrolled: 1-line block ×10, first 2 shown]
	s_mov_b32 s19, s22
	s_branch .LBB93_33
.LBB93_59:
	v_mov_b32_e32 v21, s11
	v_mov_b32_e32 v34, 0
	;; [unrolled: 1-line block ×4, first 2 shown]
	s_waitcnt vmcnt(1)
	v_mov_b32_e32 v8, v4
	s_waitcnt vmcnt(0)
	v_mov_b32_e32 v41, v31
	v_mov_b32_e32 v20, s10
	;; [unrolled: 1-line block ×9, first 2 shown]
.LBB93_60:
	v_add_co_u32 v1, vcc_lo, s13, v28
	v_add_co_ci_u32_e64 v2, null, s18, v29, vcc_lo
	v_cmp_ne_u32_e32 vcc_lo, 1, v47
	global_load_dwordx2 v[9:10], v[1:2], off
	s_cbranch_vccnz .LBB93_62
; %bb.61:
	v_lshlrev_b64 v[1:2], 3, v[16:17]
	s_lshl_b64 s[4:5], s[20:21], 3
	v_add_co_u32 v1, vcc_lo, s16, v1
	v_add_co_ci_u32_e64 v2, null, s17, v2, vcc_lo
	v_add_co_u32 v3, vcc_lo, v1, s4
	v_add_co_ci_u32_e64 v4, null, s5, v2, vcc_lo
	s_clause 0x1
	global_load_dwordx2 v[11:12], v[1:2], off offset:128
	global_load_dwordx2 v[26:27], v[3:4], off offset:128
	s_cbranch_execz .LBB93_63
	s_branch .LBB93_70
.LBB93_62:
                                        ; implicit-def: $vgpr26_vgpr27
                                        ; implicit-def: $vgpr11_vgpr12
.LBB93_63:
	s_and_saveexec_b32 s3, s2
	s_xor_b32 s2, exec_lo, s3
	s_cbranch_execz .LBB93_67
; %bb.64:
	s_and_saveexec_b32 s3, s1
	s_cbranch_execz .LBB93_66
; %bb.65:
	v_lshlrev_b64 v[1:2], 3, v[16:17]
	v_add_co_u32 v1, vcc_lo, s16, v1
	v_add_co_ci_u32_e64 v2, null, s17, v2, vcc_lo
	global_load_dwordx2 v[34:35], v[1:2], off offset:128
.LBB93_66:
	s_or_b32 exec_lo, exec_lo, s3
                                        ; implicit-def: $vgpr16_vgpr17
.LBB93_67:
	s_andn2_saveexec_b32 s1, s2
	s_cbranch_execz .LBB93_69
; %bb.68:
	v_lshlrev_b64 v[1:2], 3, v[16:17]
	s_lshl_b64 s[2:3], s[20:21], 3
	v_add_co_u32 v1, vcc_lo, s16, v1
	v_add_co_ci_u32_e64 v2, null, s17, v2, vcc_lo
	v_add_co_u32 v3, vcc_lo, v1, s2
	v_add_co_ci_u32_e64 v4, null, s3, v2, vcc_lo
	s_clause 0x1
	global_load_dwordx2 v[34:35], v[1:2], off offset:128
	global_load_dwordx2 v[32:33], v[3:4], off offset:128
.LBB93_69:
	s_or_b32 exec_lo, exec_lo, s1
	s_waitcnt vmcnt(0)
	v_mov_b32_e32 v11, v34
	v_mov_b32_e32 v26, v32
	v_mov_b32_e32 v12, v35
	v_mov_b32_e32 v27, v33
.LBB93_70:
	ds_read_b128 v[1:4], v50
	s_waitcnt vmcnt(0) lgkmcnt(0)
	s_barrier
	buffer_gl0_inv
	v_fma_f64 v[16:17], v[5:6], v[1:2], 0
	v_fma_f64 v[1:2], v[11:12], v[1:2], 0
	v_fma_f64 v[5:6], v[40:41], v[5:6], v[22:23]
	v_fma_f64 v[16:17], v[7:8], v[3:4], v[16:17]
	v_fma_f64 v[1:2], v[26:27], v[3:4], v[1:2]
	v_fma_f64 v[7:8], v[40:41], v[7:8], v[24:25]
	ds_write2_b64 v49, v[16:17], v[1:2] offset1:16
	s_waitcnt lgkmcnt(0)
	s_barrier
	buffer_gl0_inv
	s_and_saveexec_b32 s1, s0
	s_cbranch_execz .LBB93_73
; %bb.71:
	ds_read2_b64 v[1:4], v48 offset1:32
	ds_read2_b64 v[22:25], v48 offset0:64 offset1:96
	v_add_co_u32 v16, vcc_lo, v20, v18
	v_add_co_ci_u32_e64 v17, null, v21, v19, vcc_lo
	ds_read2_b64 v[18:21], v48 offset0:128 offset1:160
	s_mov_b32 s2, 0
	s_waitcnt lgkmcnt(2)
	v_add_f64 v[1:2], v[1:2], 0
	v_add_f64 v[1:2], v[1:2], v[3:4]
	global_load_dwordx2 v[3:4], v[16:17], off
	s_waitcnt lgkmcnt(1)
	v_add_f64 v[1:2], v[1:2], v[22:23]
	v_add_nc_u32_e32 v22, 0x800, v48
	v_add_f64 v[1:2], v[1:2], v[24:25]
	s_waitcnt lgkmcnt(0)
	v_add_f64 v[1:2], v[1:2], v[18:19]
	v_add_f64 v[1:2], v[1:2], v[20:21]
	ds_read2_b64 v[18:21], v48 offset0:192 offset1:224
	s_waitcnt lgkmcnt(0)
	v_add_f64 v[1:2], v[1:2], v[18:19]
	v_add_f64 v[1:2], v[1:2], v[20:21]
	ds_read2_b64 v[18:21], v22 offset1:32
	s_waitcnt lgkmcnt(0)
	v_add_f64 v[1:2], v[1:2], v[18:19]
	v_add_f64 v[1:2], v[1:2], v[20:21]
	ds_read2_b64 v[18:21], v22 offset0:64 offset1:96
	s_waitcnt lgkmcnt(0)
	v_add_f64 v[1:2], v[1:2], v[18:19]
	v_add_f64 v[1:2], v[1:2], v[20:21]
	ds_read2_b64 v[18:21], v22 offset0:128 offset1:160
	;; [unrolled: 4-line block ×3, first 2 shown]
	s_waitcnt lgkmcnt(0)
	v_add_f64 v[1:2], v[1:2], v[18:19]
	v_add_f64 v[1:2], v[1:2], v[20:21]
	v_mul_f64 v[18:19], v[13:14], v[1:2]
.LBB93_72:                              ; =>This Inner Loop Header: Depth=1
	s_waitcnt vmcnt(0)
	v_add_f64 v[1:2], v[3:4], v[18:19]
	global_atomic_cmpswap_x2 v[1:2], v[16:17], v[1:4], off glc
	s_waitcnt vmcnt(0)
	v_cmp_eq_u64_e32 vcc_lo, v[1:2], v[3:4]
	v_mov_b32_e32 v4, v2
	v_mov_b32_e32 v3, v1
	s_or_b32 s2, vcc_lo, s2
	s_andn2_b32 exec_lo, exec_lo, s2
	s_cbranch_execnz .LBB93_72
.LBB93_73:
	s_or_b32 exec_lo, exec_lo, s1
	v_fma_f64 v[11:12], v[9:10], v[11:12], v[5:6]
	v_fma_f64 v[5:6], v[9:10], v[26:27], v[7:8]
	v_mov_b32_e32 v9, v46
.LBB93_74:
	s_waitcnt vmcnt(1)
	v_lshl_add_u32 v1, v15, 3, v9
	v_add_nc_u32_e32 v1, 0x1000, v1
	ds_write2_b64 v1, v[11:12], v[5:6] offset1:16
	s_waitcnt vmcnt(0) lgkmcnt(0)
	s_barrier
	buffer_gl0_inv
	s_and_b32 exec_lo, exec_lo, s0
	s_cbranch_execz .LBB93_78
; %bb.75:
	v_cmp_gt_i32_e32 vcc_lo, s27, v0
	s_cmp_lt_u32 s6, s26
	s_cselect_b32 s0, -1, 0
	s_or_b32 s0, vcc_lo, s0
	s_and_b32 exec_lo, exec_lo, s0
	s_cbranch_execz .LBB93_78
; %bb.76:
	v_lshl_add_u32 v20, v0, 7, 0x1000
	v_add_nc_u32_e32 v3, 1, v0
	v_add_nc_u32_e32 v4, 2, v0
	v_add_nc_u32_e32 v5, 3, v0
	v_mad_u64_u32 v[9:10], null, s14, v0, 0
	v_lshl_or_b32 v1, v15, 3, v20
	v_and_b32_e32 v3, 15, v3
	v_and_b32_e32 v4, 15, v4
	;; [unrolled: 1-line block ×3, first 2 shown]
	s_mul_i32 s0, s14, s25
	ds_read_b64 v[1:2], v1
	v_lshl_or_b32 v3, v3, 3, v20
	v_lshl_or_b32 v6, v4, 3, v20
	;; [unrolled: 1-line block ×3, first 2 shown]
	ds_read_b64 v[3:4], v3
	ds_read_b64 v[5:6], v6
	;; [unrolled: 1-line block ×3, first 2 shown]
	s_mul_hi_u32 s1, s14, s24
	s_add_i32 s0, s1, s0
	s_mul_i32 s1, s15, s24
	s_add_i32 s1, s0, s1
	s_mul_i32 s0, s14, s24
	s_lshl_b64 s[0:1], s[0:1], 3
	s_add_u32 s0, s7, s0
	s_addc_u32 s1, s12, s1
	s_waitcnt lgkmcnt(3)
	v_add_f64 v[1:2], v[1:2], 0
	s_waitcnt lgkmcnt(2)
	v_add_f64 v[1:2], v[1:2], v[3:4]
	v_mov_b32_e32 v3, v10
	v_mad_u64_u32 v[3:4], null, s15, v0, v[3:4]
	v_mov_b32_e32 v10, v3
	v_lshlrev_b64 v[9:10], 3, v[9:10]
	s_waitcnt lgkmcnt(1)
	v_add_f64 v[11:12], v[1:2], v[5:6]
	v_add_nc_u32_e32 v1, 4, v0
	v_add_co_u32 v4, vcc_lo, s0, v9
	v_add_co_ci_u32_e64 v5, null, s1, v10, vcc_lo
	v_and_b32_e32 v1, 15, v1
	v_add_nc_u32_e32 v10, 6, v0
	s_mov_b32 s0, 0
	global_load_dwordx2 v[2:3], v[4:5], off
	v_lshl_or_b32 v1, v1, 3, v20
	v_and_b32_e32 v10, 15, v10
	s_waitcnt lgkmcnt(0)
	v_add_f64 v[6:7], v[11:12], v[7:8]
	ds_read_b64 v[8:9], v1
	v_add_nc_u32_e32 v1, 5, v0
	v_add_nc_u32_e32 v11, 7, v0
	v_lshl_or_b32 v12, v10, 3, v20
	v_and_b32_e32 v1, 15, v1
	v_and_b32_e32 v11, 15, v11
	v_lshl_or_b32 v1, v1, 3, v20
	v_lshl_or_b32 v18, v11, 3, v20
	ds_read_b64 v[10:11], v1
	ds_read_b64 v[16:17], v12
	;; [unrolled: 1-line block ×3, first 2 shown]
	v_xor_b32_e32 v1, 8, v15
	s_waitcnt lgkmcnt(3)
	v_add_f64 v[6:7], v[6:7], v[8:9]
	v_lshl_or_b32 v1, v1, 3, v20
	ds_read_b64 v[8:9], v1
	v_add_nc_u32_e32 v1, 9, v0
	v_and_b32_e32 v1, 15, v1
	v_lshl_or_b32 v1, v1, 3, v20
	s_waitcnt lgkmcnt(3)
	v_add_f64 v[6:7], v[6:7], v[10:11]
	v_add_nc_u32_e32 v10, 10, v0
	v_add_nc_u32_e32 v11, 11, v0
	v_and_b32_e32 v10, 15, v10
	v_and_b32_e32 v11, 15, v11
	v_lshl_or_b32 v12, v10, 3, v20
	s_waitcnt lgkmcnt(2)
	v_add_f64 v[6:7], v[6:7], v[16:17]
	v_lshl_or_b32 v17, v11, 3, v20
	s_waitcnt lgkmcnt(1)
	v_add_f64 v[6:7], v[6:7], v[18:19]
	ds_read_b64 v[10:11], v1
	ds_read_b64 v[15:16], v12
	;; [unrolled: 1-line block ×3, first 2 shown]
	v_add_nc_u32_e32 v1, 12, v0
	v_and_b32_e32 v1, 15, v1
	v_lshl_or_b32 v1, v1, 3, v20
	s_waitcnt lgkmcnt(3)
	v_add_f64 v[6:7], v[6:7], v[8:9]
	ds_read_b64 v[8:9], v1
	v_add_nc_u32_e32 v1, 13, v0
	v_and_b32_e32 v1, 15, v1
	v_lshl_or_b32 v1, v1, 3, v20
	s_waitcnt lgkmcnt(3)
	v_add_f64 v[6:7], v[6:7], v[10:11]
	v_add_nc_u32_e32 v10, 14, v0
	v_add_nc_u32_e32 v0, -1, v0
	v_and_b32_e32 v10, 15, v10
	v_and_b32_e32 v0, 15, v0
	v_lshl_or_b32 v10, v10, 3, v20
	v_lshl_or_b32 v12, v0, 3, v20
	s_waitcnt lgkmcnt(2)
	v_add_f64 v[6:7], v[6:7], v[15:16]
	ds_read_b64 v[0:1], v1
	ds_read_b64 v[10:11], v10
	;; [unrolled: 1-line block ×3, first 2 shown]
	s_waitcnt lgkmcnt(4)
	v_add_f64 v[6:7], v[6:7], v[17:18]
	s_waitcnt lgkmcnt(3)
	v_add_f64 v[6:7], v[6:7], v[8:9]
	;; [unrolled: 2-line block ×5, first 2 shown]
	v_mul_f64 v[6:7], v[13:14], v[0:1]
.LBB93_77:                              ; =>This Inner Loop Header: Depth=1
	s_waitcnt vmcnt(0)
	v_add_f64 v[0:1], v[2:3], v[6:7]
	global_atomic_cmpswap_x2 v[0:1], v[4:5], v[0:3], off glc
	s_waitcnt vmcnt(0)
	v_cmp_eq_u64_e32 vcc_lo, v[0:1], v[2:3]
	v_mov_b32_e32 v3, v1
	v_mov_b32_e32 v2, v0
	s_or_b32 s0, vcc_lo, s0
	s_andn2_b32 exec_lo, exec_lo, s0
	s_cbranch_execnz .LBB93_77
.LBB93_78:
	s_endpgm
	.section	.rodata,"a",@progbits
	.p2align	6, 0x0
	.amdhsa_kernel _ZL62rocblas_symv_kernel_upper_double_buffered_non_diagonal_genericILi32ELi8ELi2ELi1E24rocblas_internal_val_ptrIdEPKdPdEvbiT3_lT4_lllS6_lllT5_lllii
		.amdhsa_group_segment_fixed_size 8448
		.amdhsa_private_segment_fixed_size 0
		.amdhsa_kernarg_size 384
		.amdhsa_user_sgpr_count 6
		.amdhsa_user_sgpr_private_segment_buffer 1
		.amdhsa_user_sgpr_dispatch_ptr 0
		.amdhsa_user_sgpr_queue_ptr 0
		.amdhsa_user_sgpr_kernarg_segment_ptr 1
		.amdhsa_user_sgpr_dispatch_id 0
		.amdhsa_user_sgpr_flat_scratch_init 0
		.amdhsa_user_sgpr_private_segment_size 0
		.amdhsa_wavefront_size32 1
		.amdhsa_uses_dynamic_stack 0
		.amdhsa_system_sgpr_private_segment_wavefront_offset 0
		.amdhsa_system_sgpr_workgroup_id_x 1
		.amdhsa_system_sgpr_workgroup_id_y 1
		.amdhsa_system_sgpr_workgroup_id_z 1
		.amdhsa_system_sgpr_workgroup_info 0
		.amdhsa_system_vgpr_workitem_id 1
		.amdhsa_next_free_vgpr 56
		.amdhsa_next_free_sgpr 34
		.amdhsa_reserve_vcc 1
		.amdhsa_reserve_flat_scratch 0
		.amdhsa_float_round_mode_32 0
		.amdhsa_float_round_mode_16_64 0
		.amdhsa_float_denorm_mode_32 3
		.amdhsa_float_denorm_mode_16_64 3
		.amdhsa_dx10_clamp 1
		.amdhsa_ieee_mode 1
		.amdhsa_fp16_overflow 0
		.amdhsa_workgroup_processor_mode 1
		.amdhsa_memory_ordered 1
		.amdhsa_forward_progress 1
		.amdhsa_shared_vgpr_count 0
		.amdhsa_exception_fp_ieee_invalid_op 0
		.amdhsa_exception_fp_denorm_src 0
		.amdhsa_exception_fp_ieee_div_zero 0
		.amdhsa_exception_fp_ieee_overflow 0
		.amdhsa_exception_fp_ieee_underflow 0
		.amdhsa_exception_fp_ieee_inexact 0
		.amdhsa_exception_int_div_zero 0
	.end_amdhsa_kernel
	.section	.text._ZL62rocblas_symv_kernel_upper_double_buffered_non_diagonal_genericILi32ELi8ELi2ELi1E24rocblas_internal_val_ptrIdEPKdPdEvbiT3_lT4_lllS6_lllT5_lllii,"axG",@progbits,_ZL62rocblas_symv_kernel_upper_double_buffered_non_diagonal_genericILi32ELi8ELi2ELi1E24rocblas_internal_val_ptrIdEPKdPdEvbiT3_lT4_lllS6_lllT5_lllii,comdat
.Lfunc_end93:
	.size	_ZL62rocblas_symv_kernel_upper_double_buffered_non_diagonal_genericILi32ELi8ELi2ELi1E24rocblas_internal_val_ptrIdEPKdPdEvbiT3_lT4_lllS6_lllT5_lllii, .Lfunc_end93-_ZL62rocblas_symv_kernel_upper_double_buffered_non_diagonal_genericILi32ELi8ELi2ELi1E24rocblas_internal_val_ptrIdEPKdPdEvbiT3_lT4_lllS6_lllT5_lllii
                                        ; -- End function
	.set _ZL62rocblas_symv_kernel_upper_double_buffered_non_diagonal_genericILi32ELi8ELi2ELi1E24rocblas_internal_val_ptrIdEPKdPdEvbiT3_lT4_lllS6_lllT5_lllii.num_vgpr, 56
	.set _ZL62rocblas_symv_kernel_upper_double_buffered_non_diagonal_genericILi32ELi8ELi2ELi1E24rocblas_internal_val_ptrIdEPKdPdEvbiT3_lT4_lllS6_lllT5_lllii.num_agpr, 0
	.set _ZL62rocblas_symv_kernel_upper_double_buffered_non_diagonal_genericILi32ELi8ELi2ELi1E24rocblas_internal_val_ptrIdEPKdPdEvbiT3_lT4_lllS6_lllT5_lllii.numbered_sgpr, 34
	.set _ZL62rocblas_symv_kernel_upper_double_buffered_non_diagonal_genericILi32ELi8ELi2ELi1E24rocblas_internal_val_ptrIdEPKdPdEvbiT3_lT4_lllS6_lllT5_lllii.num_named_barrier, 0
	.set _ZL62rocblas_symv_kernel_upper_double_buffered_non_diagonal_genericILi32ELi8ELi2ELi1E24rocblas_internal_val_ptrIdEPKdPdEvbiT3_lT4_lllS6_lllT5_lllii.private_seg_size, 0
	.set _ZL62rocblas_symv_kernel_upper_double_buffered_non_diagonal_genericILi32ELi8ELi2ELi1E24rocblas_internal_val_ptrIdEPKdPdEvbiT3_lT4_lllS6_lllT5_lllii.uses_vcc, 1
	.set _ZL62rocblas_symv_kernel_upper_double_buffered_non_diagonal_genericILi32ELi8ELi2ELi1E24rocblas_internal_val_ptrIdEPKdPdEvbiT3_lT4_lllS6_lllT5_lllii.uses_flat_scratch, 0
	.set _ZL62rocblas_symv_kernel_upper_double_buffered_non_diagonal_genericILi32ELi8ELi2ELi1E24rocblas_internal_val_ptrIdEPKdPdEvbiT3_lT4_lllS6_lllT5_lllii.has_dyn_sized_stack, 0
	.set _ZL62rocblas_symv_kernel_upper_double_buffered_non_diagonal_genericILi32ELi8ELi2ELi1E24rocblas_internal_val_ptrIdEPKdPdEvbiT3_lT4_lllS6_lllT5_lllii.has_recursion, 0
	.set _ZL62rocblas_symv_kernel_upper_double_buffered_non_diagonal_genericILi32ELi8ELi2ELi1E24rocblas_internal_val_ptrIdEPKdPdEvbiT3_lT4_lllS6_lllT5_lllii.has_indirect_call, 0
	.section	.AMDGPU.csdata,"",@progbits
; Kernel info:
; codeLenInByte = 4192
; TotalNumSgprs: 36
; NumVgprs: 56
; ScratchSize: 0
; MemoryBound: 1
; FloatMode: 240
; IeeeMode: 1
; LDSByteSize: 8448 bytes/workgroup (compile time only)
; SGPRBlocks: 0
; VGPRBlocks: 6
; NumSGPRsForWavesPerEU: 36
; NumVGPRsForWavesPerEU: 56
; Occupancy: 16
; WaveLimiterHint : 0
; COMPUTE_PGM_RSRC2:SCRATCH_EN: 0
; COMPUTE_PGM_RSRC2:USER_SGPR: 6
; COMPUTE_PGM_RSRC2:TRAP_HANDLER: 0
; COMPUTE_PGM_RSRC2:TGID_X_EN: 1
; COMPUTE_PGM_RSRC2:TGID_Y_EN: 1
; COMPUTE_PGM_RSRC2:TGID_Z_EN: 1
; COMPUTE_PGM_RSRC2:TIDIG_COMP_CNT: 1
	.section	.text._ZL26rocblas_hemvn_kernel_upperILb0ELi64ELi4ELi33ELi32ELi16ElPKdS1_PdEviT6_lT7_lT5_lS4_lS5_lS3_lT8_i,"axG",@progbits,_ZL26rocblas_hemvn_kernel_upperILb0ELi64ELi4ELi33ELi32ELi16ElPKdS1_PdEviT6_lT7_lT5_lS4_lS5_lS3_lT8_i,comdat
	.globl	_ZL26rocblas_hemvn_kernel_upperILb0ELi64ELi4ELi33ELi32ELi16ElPKdS1_PdEviT6_lT7_lT5_lS4_lS5_lS3_lT8_i ; -- Begin function _ZL26rocblas_hemvn_kernel_upperILb0ELi64ELi4ELi33ELi32ELi16ElPKdS1_PdEviT6_lT7_lT5_lS4_lS5_lS3_lT8_i
	.p2align	8
	.type	_ZL26rocblas_hemvn_kernel_upperILb0ELi64ELi4ELi33ELi32ELi16ElPKdS1_PdEviT6_lT7_lT5_lS4_lS5_lS3_lT8_i,@function
_ZL26rocblas_hemvn_kernel_upperILb0ELi64ELi4ELi33ELi32ELi16ElPKdS1_PdEviT6_lT7_lT5_lS4_lS5_lS3_lT8_i: ; @_ZL26rocblas_hemvn_kernel_upperILb0ELi64ELi4ELi33ELi32ELi16ElPKdS1_PdEviT6_lT7_lT5_lS4_lS5_lS3_lT8_i
; %bb.0:
	s_load_dwordx2 s[2:3], s[4:5], 0x84
	s_add_u32 s0, s4, 0x78
	s_addc_u32 s1, s5, 0
	s_waitcnt lgkmcnt(0)
	s_lshr_b32 s8, s2, 16
	s_and_b32 s2, s2, 0xffff
	s_and_b32 s3, s3, 0xffff
	s_mul_i32 s2, s8, s2
	s_mul_i32 s2, s2, s3
	s_cmpk_lg_i32 s2, 0x100
	s_cbranch_scc1 .LBB94_128
; %bb.1:
	s_clause 0x1
	s_load_dwordx16 s[8:23], s[4:5], 0x8
	s_load_dwordx8 s[24:31], s[4:5], 0x48
	s_waitcnt lgkmcnt(0)
	s_mul_i32 s3, s11, s7
	s_mul_hi_u32 s11, s10, s7
	s_mul_i32 s2, s10, s7
	s_add_i32 s3, s11, s3
	s_mul_i32 s10, s31, s7
	s_lshl_b64 s[2:3], s[2:3], 3
	s_mul_hi_u32 s11, s30, s7
	s_add_u32 s2, s8, s2
	s_addc_u32 s3, s9, s3
	s_add_i32 s9, s11, s10
	s_mul_i32 s8, s30, s7
	s_lshl_b64 s[8:9], s[8:9], 3
	s_add_u32 s8, s28, s8
	s_addc_u32 s9, s29, s9
	s_load_dwordx2 s[2:3], s[2:3], 0x0
	s_load_dwordx2 s[8:9], s[8:9], 0x0
	s_waitcnt lgkmcnt(0)
	v_cmp_eq_f64_e64 s2, s[2:3], 0
	v_cmp_eq_f64_e64 s3, s[8:9], 1.0
	s_and_b32 s3, s2, s3
	s_and_b32 vcc_lo, exec_lo, s3
	s_cbranch_vccnz .LBB94_128
; %bb.2:
	s_and_b32 vcc_lo, exec_lo, s2
	s_cbranch_vccnz .LBB94_128
; %bb.3:
	s_mul_i32 s3, s27, s7
	s_mul_hi_u32 s8, s26, s7
	s_mul_i32 s2, s26, s7
	s_add_i32 s3, s8, s3
	s_load_dword s27, s[4:5], 0x0
	s_lshl_b64 s[2:3], s[2:3], 3
	s_add_u32 s8, s20, s2
	s_addc_u32 s9, s21, s3
	s_lshl_b64 s[2:3], s[22:23], 3
	s_load_dwordx2 s[22:23], s[4:5], 0x68
	s_add_u32 s2, s8, s2
	s_addc_u32 s3, s9, s3
	s_lshl_b32 s20, s6, 6
	s_load_dword s9, s[0:1], 0x0
	v_add_nc_u32_e32 v50, s20, v0
	v_ashrrev_i32_e32 v51, 31, v50
	v_mul_lo_u32 v4, s25, v50
	v_mad_u64_u32 v[2:3], null, s24, v50, 0
	s_waitcnt lgkmcnt(0)
	s_ashr_i32 s28, s27, 31
	v_mul_lo_u32 v5, s24, v51
	s_lshr_b32 s0, s28, 26
	s_add_i32 s0, s27, s0
	s_andn2_b32 s0, s0, 63
	s_sub_i32 s26, s27, s0
	v_add3_u32 v3, v3, v5, v4
	s_add_i32 s1, s9, -1
	v_cmp_eq_u32_e64 s0, 0, v1
	s_cmp_eq_u32 s6, s1
	v_lshlrev_b64 v[2:3], 3, v[2:3]
	s_cselect_b32 s10, s26, 0
	v_add_co_u32 v16, vcc_lo, s2, v2
	v_add_co_ci_u32_e64 v17, null, s3, v3, vcc_lo
	s_and_saveexec_b32 s1, s0
	s_cbranch_execz .LBB94_7
; %bb.4:
	v_cmp_gt_i32_e32 vcc_lo, s10, v0
	s_cmp_eq_u32 s10, 0
	v_mov_b32_e32 v2, 0
	v_mov_b32_e32 v3, 0
	s_cselect_b32 s2, -1, 0
	s_or_b32 s3, s2, vcc_lo
	s_and_saveexec_b32 s2, s3
	s_cbranch_execz .LBB94_6
; %bb.5:
	global_load_dwordx2 v[2:3], v[16:17], off
.LBB94_6:
	s_or_b32 exec_lo, exec_lo, s2
	v_lshlrev_b32_e32 v4, 3, v0
	s_waitcnt vmcnt(0)
	ds_write_b64 v4, v[2:3] offset:9088
.LBB94_7:
	s_or_b32 exec_lo, exec_lo, s1
	v_lshl_add_u32 v24, v1, 6, v0
	v_and_b32_e32 v2, 31, v0
	v_mov_b32_e32 v3, 0
	s_mul_i32 s1, s19, s7
	s_mul_hi_u32 s3, s18, s7
	v_lshrrev_b32_e32 v13, 5, v24
	s_mul_i32 s2, s18, s7
	s_add_i32 s3, s3, s1
	s_mul_hi_u32 s1, s16, s20
	s_lshl_b64 s[2:3], s[2:3], 3
	v_mad_u64_u32 v[3:4], null, s16, v13, v[2:3]
	s_add_u32 s4, s12, s2
	s_addc_u32 s5, s13, s3
	s_lshl_b64 s[2:3], s[14:15], 3
	s_mul_i32 s8, s17, s20
	s_add_u32 s11, s4, s2
	s_addc_u32 s3, s5, s3
	v_mad_u64_u32 v[4:5], null, s17, v13, v[4:5]
	s_ashr_i32 s21, s20, 31
	s_mul_i32 s2, s16, s20
	s_lshl_b64 s[4:5], s[20:21], 3
	s_mul_i32 s12, s16, s21
	s_add_u32 s4, s11, s4
	s_addc_u32 s5, s3, s5
	v_lshlrev_b64 v[14:15], 3, v[3:4]
	s_add_i32 s1, s1, s12
	v_lshlrev_b32_e32 v20, 3, v2
	s_add_i32 s3, s1, s8
	v_cmp_gt_i32_e64 s1, s10, v2
	s_lshl_b64 s[2:3], s[2:3], 3
	v_add_co_u32 v3, vcc_lo, s4, v14
	v_add_co_ci_u32_e64 v4, null, s5, v15, vcc_lo
	s_cmp_eq_u32 s10, 0
	v_add_co_u32 v5, s2, v3, s2
	s_cselect_b32 s14, -1, 0
	s_cmp_lg_u32 s10, 0
	v_add_co_ci_u32_e64 v6, null, s3, v4, s2
	s_cselect_b32 s15, -1, 0
	s_and_b32 vcc_lo, exec_lo, s15
	s_cbranch_vccz .LBB94_17
; %bb.8:
	v_sub_co_u32 v3, vcc_lo, v5, v20
	s_ashr_i32 s11, s10, 31
	v_subrev_co_ci_u32_e64 v4, null, 0, v6, vcc_lo
	s_lshl_b64 s[2:3], s[10:11], 3
	v_mov_b32_e32 v9, 0
	v_add_co_u32 v3, vcc_lo, v3, s2
	v_add_co_ci_u32_e64 v4, null, s3, v4, vcc_lo
	v_mov_b32_e32 v7, 0
	v_add_co_u32 v3, vcc_lo, v3, -8
	v_add_co_ci_u32_e64 v4, null, -1, v4, vcc_lo
	v_mov_b32_e32 v10, 0
	v_cndmask_b32_e64 v3, v3, v5, s1
	v_mov_b32_e32 v8, 0
	v_cndmask_b32_e64 v4, v4, v6, s1
	s_mov_b32 s4, exec_lo
	v_cmpx_gt_i32_e64 s10, v13
	s_cbranch_execz .LBB94_10
; %bb.9:
	global_load_dwordx2 v[7:8], v[3:4], off
.LBB94_10:
	s_or_b32 exec_lo, exec_lo, s4
	v_lshlrev_b32_e32 v11, 3, v2
	v_add_nc_u32_e32 v18, 8, v13
	v_mul_u32_u24_e32 v12, 0x108, v13
	s_mov_b32 s4, exec_lo
	v_mad_u32_u24 v19, 0x108, v13, v11
	s_waitcnt vmcnt(0)
	ds_write_b64 v19, v[7:8]
	v_cmpx_gt_i32_e64 s10, v18
	s_cbranch_execz .LBB94_12
; %bb.11:
	s_lshl_b64 s[12:13], s[16:17], 6
	v_add_co_u32 v7, vcc_lo, v3, s12
	v_add_co_ci_u32_e64 v8, null, s13, v4, vcc_lo
	global_load_dwordx2 v[9:10], v[7:8], off
.LBB94_12:
	s_or_b32 exec_lo, exec_lo, s4
	v_add_nc_u32_e32 v18, v12, v11
	v_mov_b32_e32 v7, 0
	v_mov_b32_e32 v11, 0
	v_add_nc_u32_e32 v19, 16, v13
	v_mov_b32_e32 v8, 0
	v_mov_b32_e32 v12, 0
	s_mov_b32 s4, exec_lo
	s_waitcnt vmcnt(0)
	ds_write_b64 v18, v[9:10] offset:2112
	v_cmpx_gt_i32_e64 s10, v19
	s_cbranch_execz .LBB94_14
; %bb.13:
	s_lshl_b64 s[12:13], s[16:17], 7
	v_add_co_u32 v9, vcc_lo, v3, s12
	v_add_co_ci_u32_e64 v10, null, s13, v4, vcc_lo
	global_load_dwordx2 v[11:12], v[9:10], off
.LBB94_14:
	s_or_b32 exec_lo, exec_lo, s4
	v_add_nc_u32_e32 v9, 24, v13
	s_mov_b32 s4, exec_lo
	s_waitcnt vmcnt(0)
	ds_write_b64 v18, v[11:12] offset:4224
	v_cmpx_gt_i32_e64 s10, v9
	s_cbranch_execz .LBB94_16
; %bb.15:
	v_mad_u64_u32 v[7:8], null, 0xc0, s16, v[3:4]
	v_mad_u64_u32 v[8:9], null, 0xc0, s17, v[8:9]
	global_load_dwordx2 v[7:8], v[7:8], off
.LBB94_16:
	s_or_b32 exec_lo, exec_lo, s4
	v_add_co_u32 v3, vcc_lo, v3, v20
	v_add_co_ci_u32_e64 v4, null, 0, v4, vcc_lo
	s_waitcnt vmcnt(0)
	ds_write_b64 v18, v[7:8] offset:6336
	v_sub_co_u32 v3, vcc_lo, v3, s2
	v_subrev_co_ci_u32_e64 v4, null, s3, v4, vcc_lo
	v_add_co_u32 v3, vcc_lo, v3, 8
	v_add_co_ci_u32_e64 v4, null, 0, v4, vcc_lo
	v_cndmask_b32_e64 v3, v3, v5, s1
	v_cndmask_b32_e64 v4, v4, v6, s1
	v_mul_u32_u24_e32 v22, 0x108, v13
	s_branch .LBB94_19
.LBB94_17:
                                        ; implicit-def: $vgpr3_vgpr4
	v_mul_u32_u24_e32 v22, 0x108, v13
	s_cbranch_execz .LBB94_19
; %bb.18:
	s_lshl_b64 s[2:3], s[16:17], 6
	v_lshl_add_u32 v21, v2, 3, v22
	v_add_co_u32 v3, vcc_lo, v5, s2
	v_add_co_ci_u32_e64 v4, null, s3, v6, vcc_lo
	v_add_co_u32 v7, vcc_lo, v3, s2
	v_add_co_ci_u32_e64 v8, null, s3, v4, vcc_lo
	;; [unrolled: 2-line block ×3, first 2 shown]
	s_clause 0x3
	global_load_dwordx2 v[11:12], v[5:6], off
	global_load_dwordx2 v[18:19], v[3:4], off
	;; [unrolled: 1-line block ×4, first 2 shown]
	v_mov_b32_e32 v3, v5
	v_mov_b32_e32 v4, v6
	s_waitcnt vmcnt(3)
	ds_write_b64 v21, v[11:12]
	s_waitcnt vmcnt(2)
	ds_write_b64 v21, v[18:19] offset:2112
	s_waitcnt vmcnt(1)
	ds_write_b64 v21, v[7:8] offset:4224
	;; [unrolled: 2-line block ×3, first 2 shown]
.LBB94_19:
	v_lshlrev_b32_e32 v23, 3, v2
	v_lshlrev_b32_e32 v27, 2, v13
	s_waitcnt lgkmcnt(0)
	s_barrier
	buffer_gl0_inv
	v_lshl_or_b32 v5, v2, 8, v23
	v_cmp_gt_u32_e64 s2, v27, v2
	v_mad_u32_u24 v6, 0x420, v13, v23
	v_lshl_add_u32 v7, v27, 3, v5
	s_and_saveexec_b32 s1, s2
	s_cbranch_execz .LBB94_21
; %bb.20:
	ds_read_b64 v[8:9], v6
	s_waitcnt lgkmcnt(0)
	ds_write_b64 v7, v[8:9]
.LBB94_21:
	s_or_b32 exec_lo, exec_lo, s1
	v_or_b32_e32 v28, 1, v27
	v_cmp_ge_u32_e64 s3, v27, v2
	v_mad_u32_u24 v5, 0x108, v28, v23
	s_and_saveexec_b32 s1, s3
	s_cbranch_execz .LBB94_23
; %bb.22:
	ds_read_b64 v[8:9], v5
	s_waitcnt lgkmcnt(0)
	ds_write_b64 v7, v[8:9] offset:8
.LBB94_23:
	s_or_b32 exec_lo, exec_lo, s1
	v_or_b32_e32 v8, 2, v27
	v_cmp_gt_u32_e64 s4, v8, v2
	s_and_saveexec_b32 s1, s4
	s_cbranch_execz .LBB94_25
; %bb.24:
	v_mad_u32_u24 v8, 0x108, v8, v23
	ds_read_b64 v[8:9], v8
	s_waitcnt lgkmcnt(0)
	ds_write_b64 v7, v[8:9] offset:16
.LBB94_25:
	s_or_b32 exec_lo, exec_lo, s1
	v_or_b32_e32 v9, 3, v27
	s_mov_b32 s1, exec_lo
	v_cmp_gt_u32_e64 s5, v9, v2
	v_mul_u32_u24_e32 v8, 0x108, v9
	v_cmpx_le_u32_e64 v9, v2
	s_xor_b32 s1, exec_lo, s1
; %bb.26:
	v_mul_u32_u24_e32 v8, 0x108, v9
                                        ; implicit-def: $vgpr9
                                        ; implicit-def: $vgpr7
; %bb.27:
	s_andn2_saveexec_b32 s1, s1
	s_cbranch_execz .LBB94_29
; %bb.28:
	v_mad_u32_u24 v9, 0x108, v9, v23
	ds_read_b64 v[9:10], v9
	s_waitcnt lgkmcnt(0)
	ds_write_b64 v7, v[9:10] offset:24
.LBB94_29:
	s_or_b32 exec_lo, exec_lo, s1
	v_lshlrev_b32_e32 v30, 3, v27
	s_waitcnt lgkmcnt(0)
	s_barrier
	buffer_gl0_inv
	ds_read_b64 v[6:7], v6
	ds_read_b128 v[9:12], v30 offset:9088
	v_add_nc_u32_e32 v21, v23, v8
	ds_read_b128 v[31:34], v30 offset:9104
	ds_read_b64 v[18:19], v21
	v_mov_b32_e32 v52, 0
	v_mov_b32_e32 v53, 0
	v_cmp_gt_u32_e64 s1, 32, v24
	s_waitcnt lgkmcnt(2)
	v_fma_f64 v[9:10], v[6:7], v[9:10], 0
	ds_read2_b64 v[5:8], v5 offset1:33
	s_waitcnt lgkmcnt(0)
	s_barrier
	buffer_gl0_inv
	v_fma_f64 v[5:6], v[5:6], v[11:12], v[9:10]
	v_fma_f64 v[5:6], v[7:8], v[31:32], v[5:6]
	v_mul_u32_u24_e32 v7, 33, v2
	v_lshlrev_b32_e32 v25, 3, v7
	v_lshl_add_u32 v26, v13, 3, v25
	v_fma_f64 v[5:6], v[18:19], v[33:34], v[5:6]
	ds_write_b64 v26, v[5:6]
	s_waitcnt lgkmcnt(0)
	s_barrier
	buffer_gl0_inv
	s_and_saveexec_b32 s8, s1
	s_cbranch_execz .LBB94_31
; %bb.30:
	ds_read2_b64 v[5:8], v25 offset1:1
	ds_read2_b64 v[9:12], v25 offset0:2 offset1:3
	s_waitcnt lgkmcnt(1)
	v_add_f64 v[5:6], v[5:6], v[7:8]
	s_waitcnt lgkmcnt(0)
	v_add_f64 v[5:6], v[5:6], v[9:10]
	v_add_f64 v[18:19], v[5:6], v[11:12]
	ds_read2_b64 v[5:8], v25 offset0:4 offset1:5
	ds_read2_b64 v[9:12], v25 offset0:6 offset1:7
	s_waitcnt lgkmcnt(1)
	v_add_f64 v[5:6], v[18:19], v[5:6]
	v_add_f64 v[5:6], v[5:6], v[7:8]
	s_waitcnt lgkmcnt(0)
	v_add_f64 v[5:6], v[5:6], v[9:10]
	v_add_f64 v[52:53], v[5:6], v[11:12]
.LBB94_31:
	s_or_b32 exec_lo, exec_lo, s8
	s_lshl_b64 s[12:13], s[16:17], 8
	v_add_co_u32 v7, vcc_lo, v3, s12
	v_add_co_ci_u32_e64 v8, null, s13, v4, vcc_lo
	s_barrier
	v_add_co_u32 v5, vcc_lo, 0x100, v7
	v_add_co_ci_u32_e64 v6, null, 0, v8, vcc_lo
	s_and_b32 vcc_lo, exec_lo, s15
	buffer_gl0_inv
	s_cbranch_vccz .LBB94_41
; %bb.32:
	v_sub_co_u32 v3, vcc_lo, v7, v20
	s_ashr_i32 s11, s10, 31
	v_subrev_co_ci_u32_e64 v4, null, 0, v8, vcc_lo
	s_lshl_b64 s[12:13], s[10:11], 3
	v_or_b32_e32 v9, 32, v2
	v_add_co_u32 v3, vcc_lo, v3, s12
	v_add_co_ci_u32_e64 v4, null, s13, v4, vcc_lo
	v_mov_b32_e32 v11, 0
	v_add_co_u32 v3, vcc_lo, v3, -8
	v_add_co_ci_u32_e64 v4, null, -1, v4, vcc_lo
	v_cmp_gt_i32_e32 vcc_lo, s10, v9
	v_mov_b32_e32 v9, 0
	v_mov_b32_e32 v12, 0
	;; [unrolled: 1-line block ×3, first 2 shown]
	s_sub_i32 s11, s10, 32
	v_cndmask_b32_e32 v4, v4, v6, vcc_lo
	v_cndmask_b32_e32 v3, v3, v5, vcc_lo
	s_mov_b32 s18, exec_lo
	v_cmpx_gt_i32_e64 s11, v13
	s_cbranch_execz .LBB94_34
; %bb.33:
	global_load_dwordx2 v[9:10], v[3:4], off
.LBB94_34:
	s_or_b32 exec_lo, exec_lo, s18
	v_add_nc_u32_e32 v18, 8, v13
	v_mad_u32_u24 v19, 0x108, v13, v23
	s_mov_b32 s18, exec_lo
	s_waitcnt vmcnt(0)
	ds_write_b64 v19, v[9:10]
	v_cmpx_gt_i32_e64 s11, v18
	s_cbranch_execz .LBB94_36
; %bb.35:
	s_lshl_b64 s[30:31], s[16:17], 6
	v_add_co_u32 v9, s8, v3, s30
	v_add_co_ci_u32_e64 v10, null, s31, v4, s8
	global_load_dwordx2 v[11:12], v[9:10], off
.LBB94_36:
	s_or_b32 exec_lo, exec_lo, s18
	v_mov_b32_e32 v9, 0
	v_mov_b32_e32 v18, 0
	v_add_nc_u32_e32 v31, 16, v13
	v_add_nc_u32_e32 v29, v22, v23
	v_mov_b32_e32 v10, 0
	v_mov_b32_e32 v19, 0
	s_mov_b32 s18, exec_lo
	s_waitcnt vmcnt(0)
	ds_write_b64 v29, v[11:12] offset:2112
	v_cmpx_gt_i32_e64 s11, v31
	s_cbranch_execz .LBB94_38
; %bb.37:
	s_lshl_b64 s[30:31], s[16:17], 7
	v_add_co_u32 v11, s8, v3, s30
	v_add_co_ci_u32_e64 v12, null, s31, v4, s8
	global_load_dwordx2 v[18:19], v[11:12], off
.LBB94_38:
	s_or_b32 exec_lo, exec_lo, s18
	v_add_nc_u32_e32 v11, 24, v13
	s_waitcnt vmcnt(0)
	ds_write_b64 v29, v[18:19] offset:4224
	v_cmp_gt_i32_e64 s8, s11, v11
	s_and_saveexec_b32 s11, s8
	s_cbranch_execz .LBB94_40
; %bb.39:
	v_mad_u64_u32 v[9:10], null, 0xc0, s16, v[3:4]
	v_mad_u64_u32 v[10:11], null, 0xc0, s17, v[10:11]
	global_load_dwordx2 v[9:10], v[9:10], off
.LBB94_40:
	s_or_b32 exec_lo, exec_lo, s11
	v_add_co_u32 v3, s8, v3, v20
	v_add_co_ci_u32_e64 v4, null, 0, v4, s8
	s_waitcnt vmcnt(0)
	ds_write_b64 v29, v[9:10] offset:6336
	v_sub_co_u32 v3, s8, v3, s12
	v_subrev_co_ci_u32_e64 v4, null, s13, v4, s8
	v_add_co_u32 v3, s8, 0x108, v3
	v_add_co_ci_u32_e64 v4, null, 0, v4, s8
	v_cndmask_b32_e32 v3, v3, v5, vcc_lo
	v_cndmask_b32_e32 v4, v4, v6, vcc_lo
	v_mul_u32_u24_e32 v9, 0x420, v13
	v_mad_u32_u24 v29, 0x108, v13, v23
	s_branch .LBB94_43
.LBB94_41:
                                        ; implicit-def: $vgpr3_vgpr4
	v_mul_u32_u24_e32 v9, 0x420, v13
	v_mad_u32_u24 v29, 0x108, v13, v23
	s_cbranch_execz .LBB94_43
; %bb.42:
	s_lshl_b64 s[12:13], s[16:17], 6
	v_add_co_u32 v3, vcc_lo, v7, s12
	v_add_co_ci_u32_e64 v4, null, s13, v8, vcc_lo
	v_add_co_u32 v10, vcc_lo, v3, s12
	v_add_co_ci_u32_e64 v11, null, s13, v4, vcc_lo
	;; [unrolled: 2-line block ×3, first 2 shown]
	s_clause 0x3
	global_load_dwordx2 v[7:8], v[7:8], off offset:256
	global_load_dwordx2 v[31:32], v[3:4], off offset:256
	;; [unrolled: 1-line block ×4, first 2 shown]
	v_mov_b32_e32 v3, v5
	v_mov_b32_e32 v4, v6
	s_waitcnt vmcnt(3)
	ds_write_b64 v29, v[7:8]
	s_waitcnt vmcnt(2)
	ds_write_b64 v29, v[31:32] offset:2112
	s_waitcnt vmcnt(1)
	ds_write_b64 v29, v[10:11] offset:4224
	;; [unrolled: 2-line block ×3, first 2 shown]
.LBB94_43:
	v_mul_u32_u24_e32 v6, 0x108, v28
	v_add_nc_u32_e32 v28, v23, v9
	v_lshl_add_u32 v5, v27, 3, v25
	s_waitcnt lgkmcnt(0)
	s_barrier
	buffer_gl0_inv
	s_and_saveexec_b32 s8, s2
	s_cbranch_execnz .LBB94_60
; %bb.44:
	s_or_b32 exec_lo, exec_lo, s8
	v_add_nc_u32_e32 v27, v23, v6
	s_and_saveexec_b32 s2, s3
	s_cbranch_execnz .LBB94_61
.LBB94_45:
	s_or_b32 exec_lo, exec_lo, s2
	s_and_saveexec_b32 s2, s4
	s_cbranch_execnz .LBB94_62
.LBB94_46:
	s_or_b32 exec_lo, exec_lo, s2
	v_add_nc_u32_e32 v30, 0x2380, v30
	s_and_saveexec_b32 s2, s5
	s_cbranch_execz .LBB94_48
.LBB94_47:
	ds_read_b64 v[6:7], v21
	s_waitcnt lgkmcnt(0)
	ds_write_b64 v5, v[6:7] offset:24
.LBB94_48:
	s_or_b32 exec_lo, exec_lo, s2
	s_waitcnt lgkmcnt(0)
	s_barrier
	buffer_gl0_inv
	ds_read_b64 v[18:19], v28
	ds_read_b128 v[5:8], v30 offset:256
	ds_read_b128 v[9:12], v30 offset:272
	ds_read_b64 v[35:36], v21
	ds_read2_b64 v[31:34], v27 offset1:33
	v_cmp_eq_u32_e64 s2, 1, v13
	s_waitcnt lgkmcnt(0)
	s_barrier
	buffer_gl0_inv
	v_fma_f64 v[5:6], v[18:19], v[5:6], 0
	v_fma_f64 v[5:6], v[31:32], v[7:8], v[5:6]
	;; [unrolled: 1-line block ×4, first 2 shown]
	ds_write_b64 v26, v[5:6]
	s_waitcnt lgkmcnt(0)
	s_barrier
	buffer_gl0_inv
	s_and_saveexec_b32 s3, s2
	s_cbranch_execz .LBB94_50
; %bb.49:
	ds_read2_b64 v[5:8], v25 offset1:1
	ds_read2_b64 v[9:12], v25 offset0:2 offset1:3
	s_waitcnt lgkmcnt(1)
	v_add_f64 v[5:6], v[5:6], v[7:8]
	s_waitcnt lgkmcnt(0)
	v_add_f64 v[5:6], v[5:6], v[9:10]
	v_add_f64 v[18:19], v[5:6], v[11:12]
	ds_read2_b64 v[5:8], v25 offset0:4 offset1:5
	ds_read2_b64 v[9:12], v25 offset0:6 offset1:7
	s_waitcnt lgkmcnt(1)
	v_add_f64 v[5:6], v[18:19], v[5:6]
	v_add_f64 v[5:6], v[5:6], v[7:8]
	s_waitcnt lgkmcnt(0)
	v_add_f64 v[5:6], v[5:6], v[9:10]
	v_add_f64 v[52:53], v[5:6], v[11:12]
.LBB94_50:
	s_or_b32 exec_lo, exec_lo, s3
	v_add_co_u32 v5, vcc_lo, 0xffffff00, v3
	v_add_co_ci_u32_e64 v6, null, -1, v4, vcc_lo
	s_and_b32 vcc_lo, exec_lo, s15
	s_barrier
	buffer_gl0_inv
	s_cbranch_vccz .LBB94_63
; %bb.51:
	v_sub_co_u32 v7, vcc_lo, v3, v20
	s_ashr_i32 s11, s10, 31
	v_subrev_co_ci_u32_e64 v8, null, 0, v4, vcc_lo
	s_lshl_b64 s[4:5], s[10:11], 3
	v_mov_b32_e32 v11, 0
	v_add_co_u32 v7, vcc_lo, v7, s4
	v_add_co_ci_u32_e64 v8, null, s5, v8, vcc_lo
	v_mov_b32_e32 v9, 0
	v_add_co_u32 v7, vcc_lo, 0xfffffef8, v7
	v_add_co_ci_u32_e64 v8, null, -1, v8, vcc_lo
	v_cmp_gt_i32_e32 vcc_lo, s10, v2
	v_mov_b32_e32 v12, 0
	v_mov_b32_e32 v10, 0
	s_sub_i32 s8, s10, 32
	s_mov_b32 s11, exec_lo
	v_cndmask_b32_e32 v8, v8, v6, vcc_lo
	v_cndmask_b32_e32 v7, v7, v5, vcc_lo
	v_cmpx_gt_i32_e64 s8, v13
	s_cbranch_execz .LBB94_53
; %bb.52:
	global_load_dwordx2 v[9:10], v[7:8], off
.LBB94_53:
	s_or_b32 exec_lo, exec_lo, s11
	v_add_nc_u32_e32 v31, 8, v13
	s_mov_b32 s11, exec_lo
	s_waitcnt vmcnt(0)
	ds_write_b64 v29, v[9:10]
	v_cmpx_gt_i32_e64 s8, v31
	s_cbranch_execz .LBB94_55
; %bb.54:
	s_lshl_b64 s[12:13], s[16:17], 6
	v_add_co_u32 v9, s3, v7, s12
	v_add_co_ci_u32_e64 v10, null, s13, v8, s3
	global_load_dwordx2 v[11:12], v[9:10], off
.LBB94_55:
	s_or_b32 exec_lo, exec_lo, s11
	v_mov_b32_e32 v9, 0
	v_mov_b32_e32 v18, 0
	v_add_nc_u32_e32 v2, 16, v13
	v_add_nc_u32_e32 v22, v22, v23
	v_mov_b32_e32 v10, 0
	v_mov_b32_e32 v19, 0
	s_mov_b32 s11, exec_lo
	s_waitcnt vmcnt(0)
	ds_write_b64 v22, v[11:12] offset:2112
	v_cmpx_gt_i32_e64 s8, v2
	s_cbranch_execz .LBB94_57
; %bb.56:
	s_lshl_b64 s[12:13], s[16:17], 7
	v_add_co_u32 v11, s3, v7, s12
	v_add_co_ci_u32_e64 v12, null, s13, v8, s3
	global_load_dwordx2 v[18:19], v[11:12], off
.LBB94_57:
	s_or_b32 exec_lo, exec_lo, s11
	v_add_nc_u32_e32 v11, 24, v13
	s_waitcnt vmcnt(0)
	ds_write_b64 v22, v[18:19] offset:4224
	v_cmp_gt_i32_e64 s3, s8, v11
	s_and_saveexec_b32 s8, s3
	s_cbranch_execz .LBB94_59
; %bb.58:
	v_mad_u64_u32 v[9:10], null, 0xc0, s16, v[7:8]
	v_mad_u64_u32 v[18:19], null, 0xc0, s17, v[10:11]
	v_mov_b32_e32 v10, v18
	global_load_dwordx2 v[9:10], v[9:10], off
.LBB94_59:
	s_or_b32 exec_lo, exec_lo, s8
	v_add_co_u32 v7, s3, v7, v20
	v_add_co_ci_u32_e64 v8, null, 0, v8, s3
	s_waitcnt vmcnt(0)
	ds_write_b64 v22, v[9:10] offset:6336
	v_sub_co_u32 v7, s3, v7, s4
	v_subrev_co_ci_u32_e64 v8, null, s5, v8, s3
	v_add_co_u32 v7, s3, v7, 8
	v_add_co_ci_u32_e64 v8, null, 0, v8, s3
	v_cndmask_b32_e32 v18, v7, v5, vcc_lo
	v_cndmask_b32_e32 v19, v8, v6, vcc_lo
	s_branch .LBB94_65
.LBB94_60:
	ds_read_b64 v[7:8], v28
	s_waitcnt lgkmcnt(0)
	ds_write_b64 v5, v[7:8]
	s_or_b32 exec_lo, exec_lo, s8
	v_add_nc_u32_e32 v27, v23, v6
	s_and_saveexec_b32 s2, s3
	s_cbranch_execz .LBB94_45
.LBB94_61:
	ds_read_b64 v[6:7], v27
	s_waitcnt lgkmcnt(0)
	ds_write_b64 v5, v[6:7] offset:8
	s_or_b32 exec_lo, exec_lo, s2
	s_and_saveexec_b32 s2, s4
	s_cbranch_execz .LBB94_46
.LBB94_62:
	ds_read_b64 v[6:7], v27 offset:264
	s_waitcnt lgkmcnt(0)
	ds_write_b64 v5, v[6:7] offset:16
	s_or_b32 exec_lo, exec_lo, s2
	v_add_nc_u32_e32 v30, 0x2380, v30
	s_and_saveexec_b32 s2, s5
	s_cbranch_execnz .LBB94_47
	s_branch .LBB94_48
.LBB94_63:
                                        ; implicit-def: $vgpr18_vgpr19
                                        ; implicit-def: $vgpr31
                                        ; implicit-def: $vgpr2
                                        ; implicit-def: $vgpr11
	s_cbranch_execz .LBB94_65
; %bb.64:
	s_lshl_b64 s[4:5], s[16:17], 6
	v_mov_b32_e32 v19, v6
	v_add_co_u32 v7, vcc_lo, v3, s4
	v_add_co_ci_u32_e64 v8, null, s5, v4, vcc_lo
	v_add_nc_u32_e32 v31, 8, v13
	v_add_co_u32 v9, vcc_lo, v7, s4
	v_add_co_ci_u32_e64 v10, null, s5, v8, vcc_lo
	v_add_nc_u32_e32 v2, 16, v13
	v_add_co_u32 v11, vcc_lo, v9, s4
	v_add_co_ci_u32_e64 v12, null, s5, v10, vcc_lo
	s_clause 0x3
	global_load_dwordx2 v[3:4], v[3:4], off offset:-256
	global_load_dwordx2 v[7:8], v[7:8], off offset:-256
	;; [unrolled: 1-line block ×4, first 2 shown]
	v_add_nc_u32_e32 v11, 24, v13
	v_mov_b32_e32 v18, v5
	s_waitcnt vmcnt(3)
	ds_write_b64 v29, v[3:4]
	s_waitcnt vmcnt(2)
	ds_write_b64 v29, v[7:8] offset:2112
	s_waitcnt vmcnt(1)
	ds_write_b64 v29, v[9:10] offset:4224
	s_waitcnt vmcnt(0)
	ds_write_b64 v29, v[22:23] offset:6336
.LBB94_65:
	v_lshlrev_b32_e32 v7, 3, v13
	v_lshlrev_b32_e32 v9, 3, v31
	s_waitcnt lgkmcnt(0)
	s_barrier
	buffer_gl0_inv
	v_add_nc_u32_e32 v3, v25, v7
	v_lshlrev_b32_e32 v2, 3, v2
	v_lshlrev_b32_e32 v13, 3, v11
	ds_read_b64 v[3:4], v3
	ds_read_b64 v[5:6], v9 offset:9088
	ds_read_b64 v[7:8], v7 offset:9088
	v_add_nc_u32_e32 v9, v25, v9
	ds_read_b64 v[20:21], v21
	v_add_nc_u32_e32 v22, v25, v2
	s_waitcnt lgkmcnt(1)
	v_fma_f64 v[3:4], v[3:4], v[7:8], 0
	ds_read_b64 v[7:8], v9
	ds_read_b64 v[9:10], v13 offset:9088
	ds_read_b64 v[11:12], v2 offset:9088
	s_waitcnt lgkmcnt(2)
	v_fma_f64 v[2:3], v[7:8], v[5:6], v[3:4]
	ds_read_b64 v[4:5], v22
	v_add_nc_u32_e32 v6, v25, v13
	s_waitcnt lgkmcnt(0)
	v_fma_f64 v[2:3], v[4:5], v[11:12], v[2:3]
	ds_read_b64 v[4:5], v6
	ds_read_b64 v[22:23], v28
	s_waitcnt lgkmcnt(1)
	v_fma_f64 v[28:29], v[4:5], v[9:10], v[2:3]
	ds_read_b128 v[10:13], v30 offset:256
	ds_read_b128 v[2:5], v30 offset:272
	ds_read2_b64 v[6:9], v27 offset1:33
	s_waitcnt lgkmcnt(0)
	s_barrier
	buffer_gl0_inv
	ds_write_b64 v26, v[28:29]
	s_waitcnt lgkmcnt(0)
	s_barrier
	buffer_gl0_inv
	s_and_saveexec_b32 s3, s2
	s_cbranch_execz .LBB94_67
; %bb.66:
	ds_read2_b64 v[27:30], v25 offset1:1
	ds_read2_b64 v[31:34], v25 offset0:2 offset1:3
	s_waitcnt lgkmcnt(1)
	v_add_f64 v[27:28], v[52:53], v[27:28]
	v_add_f64 v[27:28], v[27:28], v[29:30]
	s_waitcnt lgkmcnt(0)
	v_add_f64 v[27:28], v[27:28], v[31:32]
	v_add_f64 v[35:36], v[27:28], v[33:34]
	ds_read2_b64 v[27:30], v25 offset0:4 offset1:5
	ds_read2_b64 v[31:34], v25 offset0:6 offset1:7
	s_waitcnt lgkmcnt(1)
	v_add_f64 v[27:28], v[35:36], v[27:28]
	v_add_f64 v[27:28], v[27:28], v[29:30]
	s_waitcnt lgkmcnt(0)
	v_add_f64 v[27:28], v[27:28], v[31:32]
	v_add_f64 v[52:53], v[27:28], v[33:34]
.LBB94_67:
	s_or_b32 exec_lo, exec_lo, s3
	v_fma_f64 v[10:11], v[22:23], v[10:11], 0
	s_barrier
	buffer_gl0_inv
	v_fma_f64 v[6:7], v[6:7], v[12:13], v[10:11]
	v_fma_f64 v[2:3], v[8:9], v[2:3], v[6:7]
	;; [unrolled: 1-line block ×3, first 2 shown]
	ds_write_b64 v26, v[2:3]
	s_waitcnt lgkmcnt(0)
	s_barrier
	buffer_gl0_inv
	s_and_saveexec_b32 s2, s1
	s_cbranch_execz .LBB94_69
; %bb.68:
	ds_read2_b64 v[2:5], v25 offset1:1
	ds_read2_b64 v[6:9], v25 offset0:2 offset1:3
	s_waitcnt lgkmcnt(1)
	v_add_f64 v[2:3], v[52:53], v[2:3]
	v_add_f64 v[2:3], v[2:3], v[4:5]
	s_waitcnt lgkmcnt(0)
	v_add_f64 v[2:3], v[2:3], v[6:7]
	v_add_f64 v[10:11], v[2:3], v[8:9]
	ds_read2_b64 v[2:5], v25 offset0:4 offset1:5
	ds_read2_b64 v[6:9], v25 offset0:6 offset1:7
	s_waitcnt lgkmcnt(1)
	v_add_f64 v[2:3], v[10:11], v[2:3]
	v_add_f64 v[2:3], v[2:3], v[4:5]
	s_waitcnt lgkmcnt(0)
	v_add_f64 v[2:3], v[2:3], v[6:7]
	v_add_f64 v[52:53], v[2:3], v[8:9]
.LBB94_69:
	s_or_b32 exec_lo, exec_lo, s2
	s_mul_hi_u32 s1, s27, s7
	s_mul_i32 s28, s28, s7
	s_mul_i32 s2, s27, s7
	s_add_i32 s1, s1, s28
	s_mul_hi_u32 s3, s2, s9
	s_mul_i32 s1, s1, s9
	s_mul_i32 s2, s2, s9
	s_add_i32 s3, s3, s1
	s_mul_hi_i32 s5, s27, s6
	s_lshl_b64 s[2:3], s[2:3], 3
	s_mul_i32 s4, s27, s6
	s_add_u32 s1, s22, s2
	s_addc_u32 s2, s23, s3
	s_lshl_b64 s[4:5], s[4:5], 3
	v_lshlrev_b32_e32 v88, 3, v0
	s_add_u32 s3, s1, s4
	s_addc_u32 s7, s2, s5
	s_add_i32 s1, s6, 1
	s_cmp_ge_u32 s1, s9
	s_barrier
	buffer_gl0_inv
	s_cbranch_scc1 .LBB94_126
; %bb.70:
	v_lshrrev_b32_e32 v4, 4, v24
	v_lshlrev_b32_e32 v12, 5, v1
	v_and_b32_e32 v6, 15, v0
	v_and_b32_e32 v5, 48, v0
	s_mul_i32 s1, s24, s21
	v_lshlrev_b32_e32 v2, 5, v4
	v_add_nc_u32_e32 v7, 0x100, v12
	v_add_nc_u32_e32 v9, 0x110, v12
	s_mul_hi_u32 s2, s24, s20
	v_mul_i32_i24_e32 v13, 0xffffffe8, v4
	v_mad_u32_u24 v95, 0x218, v6, v2
	v_mad_u64_u32 v[2:3], null, s16, v7, 0
	v_lshlrev_b32_e32 v8, 3, v5
	v_mad_u64_u32 v[4:5], null, s16, v9, 0
	s_mul_i32 s4, s25, s20
	s_add_i32 s1, s2, s1
	v_or_b32_e32 v10, 0x78, v88
	s_add_i32 s5, s1, s4
	s_mul_i32 s4, s24, s20
	v_mad_u32_u24 v96, 0x218, v6, v8
	s_lshl_b64 s[4:5], s[4:5], 3
	v_mad_u32_u24 v97, 0x218, v6, v10
	v_sub_co_u32 v90, vcc_lo, v16, s4
	v_mad_u64_u32 v[6:7], null, s17, v7, v[3:4]
	v_mov_b32_e32 v3, v5
	v_subrev_co_ci_u32_e64 v91, null, s5, v17, vcc_lo
	v_add_nc_u32_e32 v16, 0x118, v12
	v_add_nc_u32_e32 v17, 0x108, v12
	v_mad_u64_u32 v[9:10], null, s17, v9, v[3:4]
	v_sub_co_u32 v20, vcc_lo, v2, v14
	v_mad_u64_u32 v[7:8], null, s16, v16, 0
	v_mad_u64_u32 v[10:11], null, s16, v17, 0
	v_sub_co_ci_u32_e64 v21, null, v6, v15, vcc_lo
	v_sub_co_u32 v22, vcc_lo, v4, v14
	v_mov_b32_e32 v2, v8
	v_add_nc_u32_e32 v8, 0x180, v12
	v_mov_b32_e32 v3, v11
	v_sub_co_ci_u32_e64 v23, null, v9, v15, vcc_lo
	v_add_nc_u32_e32 v9, 0x188, v12
	v_sub_co_u32 v11, vcc_lo, v7, v14
	v_mad_u64_u32 v[4:5], null, s17, v16, v[2:3]
	v_mad_u64_u32 v[5:6], null, s16, v8, 0
	v_cmp_gt_u32_e64 s1, 64, v24
	v_add_nc_u32_e32 v25, 0x190, v12
	v_add_nc_u32_e32 v26, 0x198, v12
	;; [unrolled: 1-line block ×3, first 2 shown]
	v_mad_u64_u32 v[2:3], null, s17, v17, v[3:4]
	v_mov_b32_e32 v3, v6
	v_mad_u64_u32 v[6:7], null, s16, v9, 0
	v_sub_co_ci_u32_e64 v16, null, v4, v15, vcc_lo
	v_sub_co_u32 v17, vcc_lo, v10, v14
	v_sub_co_ci_u32_e64 v24, null, v2, v15, vcc_lo
	v_mad_u64_u32 v[2:3], null, s17, v8, v[3:4]
	v_mov_b32_e32 v3, v7
	v_mad_u64_u32 v[7:8], null, s16, v25, 0
	v_sub_co_u32 v27, vcc_lo, v5, v14
	v_mad_u64_u32 v[3:4], null, s17, v9, v[3:4]
	v_mad_u64_u32 v[9:10], null, s16, v26, 0
	v_sub_co_ci_u32_e64 v28, null, v2, v15, vcc_lo
	v_sub_co_u32 v29, vcc_lo, v6, v14
	v_mov_b32_e32 v2, v8
	v_sub_co_ci_u32_e64 v30, null, v3, v15, vcc_lo
	v_mov_b32_e32 v3, v10
	v_add_nc_u32_e32 v8, 0x200, v12
	v_add_nc_u32_e32 v10, 0x208, v12
	;; [unrolled: 1-line block ×4, first 2 shown]
	v_mad_u64_u32 v[4:5], null, s17, v25, v[2:3]
	v_mad_u64_u32 v[5:6], null, s16, v8, 0
	v_sub_co_u32 v25, vcc_lo, v7, v14
	v_add_nc_u32_e32 v41, 0x290, v12
	v_lshlrev_b32_e32 v89, 2, v1
	v_mad_u64_u32 v[2:3], null, s17, v26, v[3:4]
	v_mov_b32_e32 v3, v6
	v_mad_u64_u32 v[6:7], null, s16, v10, 0
	v_sub_co_ci_u32_e64 v26, null, v4, v15, vcc_lo
	v_sub_co_u32 v31, vcc_lo, v9, v14
	v_sub_co_ci_u32_e64 v32, null, v2, v15, vcc_lo
	v_mad_u64_u32 v[2:3], null, s17, v8, v[3:4]
	v_mov_b32_e32 v3, v7
	v_mad_u64_u32 v[7:8], null, s16, v33, 0
	v_sub_co_u32 v35, vcc_lo, v5, v14
	v_mad_u64_u32 v[3:4], null, s17, v10, v[3:4]
	v_mad_u64_u32 v[9:10], null, s16, v34, 0
	v_sub_co_ci_u32_e64 v36, null, v2, v15, vcc_lo
	v_sub_co_u32 v37, vcc_lo, v6, v14
	v_mov_b32_e32 v2, v8
	v_sub_co_ci_u32_e64 v38, null, v3, v15, vcc_lo
	v_mov_b32_e32 v3, v10
	v_add_nc_u32_e32 v8, 0x280, v12
	v_add_nc_u32_e32 v10, 0x288, v12
	;; [unrolled: 1-line block ×4, first 2 shown]
	v_mad_u64_u32 v[4:5], null, s17, v33, v[2:3]
	v_mad_u64_u32 v[5:6], null, s16, v8, 0
	v_sub_co_u32 v33, vcc_lo, v7, v14
	v_mad_u32_u24 v94, 0x860, v1, v88
	v_add_nc_u32_e32 v98, 17, v89
	v_mad_u64_u32 v[2:3], null, s17, v34, v[3:4]
	v_mov_b32_e32 v3, v6
	v_mad_u64_u32 v[6:7], null, s16, v10, 0
	v_sub_co_ci_u32_e64 v34, null, v4, v15, vcc_lo
	v_sub_co_u32 v39, vcc_lo, v9, v14
	v_sub_co_ci_u32_e64 v40, null, v2, v15, vcc_lo
	v_mad_u64_u32 v[2:3], null, s17, v8, v[3:4]
	v_mov_b32_e32 v3, v7
	v_mad_u64_u32 v[7:8], null, s16, v41, 0
	v_sub_co_u32 v42, vcc_lo, v5, v14
	v_mad_u64_u32 v[3:4], null, s17, v10, v[3:4]
	v_mad_u64_u32 v[9:10], null, s16, v12, 0
	v_sub_co_ci_u32_e64 v43, null, v2, v15, vcc_lo
	v_sub_co_u32 v6, vcc_lo, v6, v14
	v_mov_b32_e32 v2, v8
	v_sub_co_ci_u32_e64 v8, null, v3, v15, vcc_lo
	v_mov_b32_e32 v3, v10
	v_add_nc_u32_e32 v99, 18, v89
	v_add_nc_u32_e32 v100, 19, v89
	;; [unrolled: 1-line block ×4, first 2 shown]
	v_mad_u64_u32 v[4:5], null, s17, v41, v[2:3]
	v_add_nc_u32_e32 v103, 34, v89
	v_add_nc_u32_e32 v104, 35, v89
	;; [unrolled: 1-line block ×6, first 2 shown]
	v_mad_u64_u32 v[2:3], null, s17, v12, v[3:4]
	v_sub_co_u32 v3, vcc_lo, v7, v14
	v_sub_co_ci_u32_e64 v4, null, v4, v15, vcc_lo
	v_sub_co_u32 v5, vcc_lo, v9, v14
	v_sub_co_ci_u32_e64 v2, null, v2, v15, vcc_lo
	v_add_co_u32 v106, vcc_lo, v18, v20
	v_add_co_ci_u32_e64 v107, null, v19, v21, vcc_lo
	v_add_co_u32 v108, vcc_lo, v18, v22
	v_add_co_ci_u32_e64 v109, null, v19, v23, vcc_lo
	;; [unrolled: 2-line block ×16, first 2 shown]
	v_add_nc_u32_e32 v141, 51, v89
	s_add_i32 s8, s9, -2
	s_add_i32 s11, s20, 64
	s_lshl_b64 s[4:5], s[16:17], 9
	s_cmp_eq_u32 s8, s6
	s_cselect_b32 s12, s26, 0
	s_and_saveexec_b32 s2, s0
	s_cbranch_execz .LBB94_74
.LBB94_71:
	v_cmp_gt_i32_e32 vcc_lo, s12, v0
	s_cmp_eq_u32 s12, 0
	v_mov_b32_e32 v2, 0
	v_mov_b32_e32 v3, 0
	s_cselect_b32 s13, -1, 0
	s_or_b32 s15, s13, vcc_lo
	s_and_saveexec_b32 s13, s15
	s_cbranch_execz .LBB94_73
; %bb.72:
	s_ashr_i32 s15, s11, 31
	s_mul_hi_u32 s16, s24, s11
	s_mul_i32 s15, s24, s15
	s_mul_i32 s17, s25, s11
	s_add_i32 s15, s16, s15
	s_mul_i32 s16, s24, s11
	s_add_i32 s17, s15, s17
	s_lshl_b64 s[16:17], s[16:17], 3
	v_add_co_u32 v2, vcc_lo, v90, s16
	v_add_co_ci_u32_e64 v3, null, s17, v91, vcc_lo
	global_load_dwordx2 v[2:3], v[2:3], off
.LBB94_73:
	s_or_b32 exec_lo, exec_lo, s13
	v_add_nc_u32_e32 v4, 0x2180, v88
	s_waitcnt vmcnt(0)
	ds_write_b64 v4, v[2:3]
.LBB94_74:                              ; =>This Inner Loop Header: Depth=1
	s_or_b32 exec_lo, exec_lo, s2
	s_cmp_eq_u32 s12, 0
	v_add_co_u32 v2, vcc_lo, v106, v88
	s_cselect_b32 s13, -1, 0
	s_cmp_lg_u32 s12, 0
	v_add_co_ci_u32_e64 v3, null, 0, v107, vcc_lo
	s_cselect_b32 s2, -1, 0
	s_mov_b32 s15, -1
	s_and_b32 vcc_lo, exec_lo, s2
	s_waitcnt lgkmcnt(0)
	s_barrier
	buffer_gl0_inv
                                        ; implicit-def: $vgpr60_vgpr61
                                        ; implicit-def: $vgpr58_vgpr59
                                        ; implicit-def: $vgpr56_vgpr57
                                        ; implicit-def: $vgpr54_vgpr55
	s_cbranch_vccz .LBB94_84
; %bb.75:                               ;   in Loop: Header=BB94_74 Depth=1
	v_mov_b32_e32 v56, 0
	v_mov_b32_e32 v54, 0
	;; [unrolled: 1-line block ×4, first 2 shown]
	s_mov_b32 s15, exec_lo
	v_cmpx_gt_i32_e64 s12, v89
	s_cbranch_execz .LBB94_77
; %bb.76:                               ;   in Loop: Header=BB94_74 Depth=1
	global_load_dwordx2 v[54:55], v[2:3], off
.LBB94_77:                              ;   in Loop: Header=BB94_74 Depth=1
	s_or_b32 exec_lo, exec_lo, s15
	v_or_b32_e32 v4, 1, v89
	s_mov_b32 s15, exec_lo
	v_cmpx_gt_i32_e64 s12, v4
	s_cbranch_execz .LBB94_79
; %bb.78:                               ;   in Loop: Header=BB94_74 Depth=1
	v_add_co_u32 v4, vcc_lo, v112, v88
	v_add_co_ci_u32_e64 v5, null, 0, v113, vcc_lo
	global_load_dwordx2 v[56:57], v[4:5], off
.LBB94_79:                              ;   in Loop: Header=BB94_74 Depth=1
	s_or_b32 exec_lo, exec_lo, s15
	v_mov_b32_e32 v60, 0
	v_mov_b32_e32 v58, 0
	v_or_b32_e32 v4, 2, v89
	v_mov_b32_e32 v61, 0
	v_mov_b32_e32 v59, 0
	s_mov_b32 s15, exec_lo
	v_cmpx_gt_i32_e64 s12, v4
	s_cbranch_execz .LBB94_81
; %bb.80:                               ;   in Loop: Header=BB94_74 Depth=1
	v_add_co_u32 v4, vcc_lo, v108, v88
	v_add_co_ci_u32_e64 v5, null, 0, v109, vcc_lo
	global_load_dwordx2 v[58:59], v[4:5], off
.LBB94_81:                              ;   in Loop: Header=BB94_74 Depth=1
	s_or_b32 exec_lo, exec_lo, s15
	v_or_b32_e32 v4, 3, v89
	s_mov_b32 s15, exec_lo
	v_cmpx_gt_i32_e64 s12, v4
	s_cbranch_execz .LBB94_83
; %bb.82:                               ;   in Loop: Header=BB94_74 Depth=1
	v_add_co_u32 v4, vcc_lo, v110, v88
	v_add_co_ci_u32_e64 v5, null, 0, v111, vcc_lo
	global_load_dwordx2 v[60:61], v[4:5], off
.LBB94_83:                              ;   in Loop: Header=BB94_74 Depth=1
	s_or_b32 exec_lo, exec_lo, s15
	s_mov_b32 s15, 0
.LBB94_84:                              ;   in Loop: Header=BB94_74 Depth=1
	s_and_b32 vcc_lo, exec_lo, s15
	s_cbranch_vccz .LBB94_86
; %bb.85:                               ;   in Loop: Header=BB94_74 Depth=1
	v_add_co_u32 v4, vcc_lo, v112, v88
	v_add_co_ci_u32_e64 v5, null, 0, v113, vcc_lo
	v_add_co_u32 v6, vcc_lo, v108, v88
	v_add_co_ci_u32_e64 v7, null, 0, v109, vcc_lo
	;; [unrolled: 2-line block ×3, first 2 shown]
	global_load_dwordx2 v[54:55], v[2:3], off
	global_load_dwordx2 v[56:57], v[4:5], off
	;; [unrolled: 1-line block ×4, first 2 shown]
.LBB94_86:                              ;   in Loop: Header=BB94_74 Depth=1
	ds_read_b64 v[2:3], v93
	v_cndmask_b32_e64 v78, 0, 1, s2
                                        ; implicit-def: $vgpr68_vgpr69
                                        ; implicit-def: $vgpr66_vgpr67
                                        ; implicit-def: $vgpr64_vgpr65
                                        ; implicit-def: $vgpr62_vgpr63
	s_waitcnt vmcnt(0) lgkmcnt(0)
	v_mul_f64 v[10:11], v[54:55], v[2:3]
	v_mul_f64 v[12:13], v[56:57], v[2:3]
	;; [unrolled: 1-line block ×4, first 2 shown]
	ds_read_b128 v[6:9], v92
	ds_read_b128 v[2:5], v92 offset:16
	ds_write2_b64 v94, v[10:11], v[12:13] offset1:67
	ds_write2_b64 v94, v[14:15], v[16:17] offset0:134 offset1:201
	s_waitcnt lgkmcnt(0)
	s_barrier
	buffer_gl0_inv
	ds_read2_b64 v[22:25], v95 offset1:1
	ds_read2_b64 v[18:21], v95 offset0:2 offset1:3
	v_add_co_u32 v10, vcc_lo, v114, v88
	v_add_co_ci_u32_e64 v11, null, 0, v115, vcc_lo
	s_andn2_b32 vcc_lo, exec_lo, s2
	s_mov_b32 s2, -1
	s_waitcnt lgkmcnt(0)
	s_barrier
	buffer_gl0_inv
	s_cbranch_vccnz .LBB94_96
; %bb.87:                               ;   in Loop: Header=BB94_74 Depth=1
	v_mov_b32_e32 v64, 0
	v_mov_b32_e32 v62, 0
	v_add_nc_u32_e32 v12, 16, v89
	v_mov_b32_e32 v65, 0
	v_mov_b32_e32 v63, 0
	s_mov_b32 s2, exec_lo
	v_cmpx_gt_i32_e64 s12, v12
	s_cbranch_execz .LBB94_89
; %bb.88:                               ;   in Loop: Header=BB94_74 Depth=1
	global_load_dwordx2 v[62:63], v[10:11], off
.LBB94_89:                              ;   in Loop: Header=BB94_74 Depth=1
	s_or_b32 exec_lo, exec_lo, s2
	s_mov_b32 s2, exec_lo
	v_cmpx_gt_i32_e64 s12, v98
	s_cbranch_execz .LBB94_91
; %bb.90:                               ;   in Loop: Header=BB94_74 Depth=1
	v_add_co_u32 v12, vcc_lo, v116, v88
	v_add_co_ci_u32_e64 v13, null, 0, v117, vcc_lo
	global_load_dwordx2 v[64:65], v[12:13], off
.LBB94_91:                              ;   in Loop: Header=BB94_74 Depth=1
	s_or_b32 exec_lo, exec_lo, s2
	v_mov_b32_e32 v68, 0
	v_mov_b32_e32 v66, 0
	;; [unrolled: 1-line block ×4, first 2 shown]
	s_mov_b32 s2, exec_lo
	v_cmpx_gt_i32_e64 s12, v99
	s_cbranch_execz .LBB94_93
; %bb.92:                               ;   in Loop: Header=BB94_74 Depth=1
	v_add_co_u32 v12, vcc_lo, v118, v88
	v_add_co_ci_u32_e64 v13, null, 0, v119, vcc_lo
	global_load_dwordx2 v[66:67], v[12:13], off
.LBB94_93:                              ;   in Loop: Header=BB94_74 Depth=1
	s_or_b32 exec_lo, exec_lo, s2
	s_mov_b32 s2, exec_lo
	v_cmpx_gt_i32_e64 s12, v100
	s_cbranch_execz .LBB94_95
; %bb.94:                               ;   in Loop: Header=BB94_74 Depth=1
	v_add_co_u32 v12, vcc_lo, v120, v88
	v_add_co_ci_u32_e64 v13, null, 0, v121, vcc_lo
	global_load_dwordx2 v[68:69], v[12:13], off
.LBB94_95:                              ;   in Loop: Header=BB94_74 Depth=1
	s_or_b32 exec_lo, exec_lo, s2
	s_mov_b32 s2, 0
.LBB94_96:                              ;   in Loop: Header=BB94_74 Depth=1
	s_and_b32 vcc_lo, exec_lo, s2
	s_cbranch_vccz .LBB94_98
; %bb.97:                               ;   in Loop: Header=BB94_74 Depth=1
	v_add_co_u32 v12, vcc_lo, v116, v88
	v_add_co_ci_u32_e64 v13, null, 0, v117, vcc_lo
	v_add_co_u32 v14, vcc_lo, v118, v88
	v_add_co_ci_u32_e64 v15, null, 0, v119, vcc_lo
	;; [unrolled: 2-line block ×3, first 2 shown]
	global_load_dwordx2 v[62:63], v[10:11], off
	global_load_dwordx2 v[64:65], v[12:13], off
	;; [unrolled: 1-line block ×4, first 2 shown]
.LBB94_98:                              ;   in Loop: Header=BB94_74 Depth=1
	ds_read_b64 v[10:11], v93
	v_cmp_ne_u32_e32 vcc_lo, 1, v78
                                        ; implicit-def: $vgpr76_vgpr77
                                        ; implicit-def: $vgpr74_vgpr75
                                        ; implicit-def: $vgpr72_vgpr73
                                        ; implicit-def: $vgpr70_vgpr71
	s_and_b32 vcc_lo, exec_lo, vcc_lo
	s_waitcnt vmcnt(0) lgkmcnt(0)
	v_mul_f64 v[26:27], v[62:63], v[10:11]
	v_mul_f64 v[28:29], v[64:65], v[10:11]
	;; [unrolled: 1-line block ×4, first 2 shown]
	ds_read_b128 v[14:17], v92 offset:128
	ds_read_b128 v[10:13], v92 offset:144
	ds_write2_b64 v94, v[26:27], v[28:29] offset1:67
	ds_write2_b64 v94, v[30:31], v[32:33] offset0:134 offset1:201
	s_waitcnt lgkmcnt(0)
	s_barrier
	buffer_gl0_inv
	ds_read2_b64 v[38:41], v95 offset1:1
	ds_read2_b64 v[34:37], v95 offset0:2 offset1:3
	v_add_co_u32 v26, s2, v122, v88
	v_add_co_ci_u32_e64 v27, null, 0, v123, s2
	s_mov_b32 s2, -1
	s_waitcnt lgkmcnt(0)
	s_barrier
	buffer_gl0_inv
	s_cbranch_vccnz .LBB94_108
; %bb.99:                               ;   in Loop: Header=BB94_74 Depth=1
	v_mov_b32_e32 v72, 0
	v_mov_b32_e32 v70, 0
	;; [unrolled: 1-line block ×4, first 2 shown]
	s_mov_b32 s2, exec_lo
	v_cmpx_gt_i32_e64 s12, v101
	s_cbranch_execz .LBB94_101
; %bb.100:                              ;   in Loop: Header=BB94_74 Depth=1
	global_load_dwordx2 v[70:71], v[26:27], off
.LBB94_101:                             ;   in Loop: Header=BB94_74 Depth=1
	s_or_b32 exec_lo, exec_lo, s2
	s_mov_b32 s2, exec_lo
	v_cmpx_gt_i32_e64 s12, v102
	s_cbranch_execz .LBB94_103
; %bb.102:                              ;   in Loop: Header=BB94_74 Depth=1
	v_add_co_u32 v28, vcc_lo, v124, v88
	v_add_co_ci_u32_e64 v29, null, 0, v125, vcc_lo
	global_load_dwordx2 v[72:73], v[28:29], off
.LBB94_103:                             ;   in Loop: Header=BB94_74 Depth=1
	s_or_b32 exec_lo, exec_lo, s2
	v_mov_b32_e32 v76, 0
	v_mov_b32_e32 v74, 0
	;; [unrolled: 1-line block ×4, first 2 shown]
	s_mov_b32 s2, exec_lo
	v_cmpx_gt_i32_e64 s12, v103
	s_cbranch_execz .LBB94_105
; %bb.104:                              ;   in Loop: Header=BB94_74 Depth=1
	v_add_co_u32 v28, vcc_lo, v126, v88
	v_add_co_ci_u32_e64 v29, null, 0, v127, vcc_lo
	global_load_dwordx2 v[74:75], v[28:29], off
.LBB94_105:                             ;   in Loop: Header=BB94_74 Depth=1
	s_or_b32 exec_lo, exec_lo, s2
	s_mov_b32 s2, exec_lo
	v_cmpx_gt_i32_e64 s12, v104
	s_cbranch_execz .LBB94_107
; %bb.106:                              ;   in Loop: Header=BB94_74 Depth=1
	v_add_co_u32 v28, vcc_lo, v128, v88
	v_add_co_ci_u32_e64 v29, null, 0, v129, vcc_lo
	global_load_dwordx2 v[76:77], v[28:29], off
.LBB94_107:                             ;   in Loop: Header=BB94_74 Depth=1
	s_or_b32 exec_lo, exec_lo, s2
	s_mov_b32 s2, 0
.LBB94_108:                             ;   in Loop: Header=BB94_74 Depth=1
	s_and_b32 vcc_lo, exec_lo, s2
	s_cbranch_vccz .LBB94_110
; %bb.109:                              ;   in Loop: Header=BB94_74 Depth=1
	v_add_co_u32 v28, vcc_lo, v124, v88
	v_add_co_ci_u32_e64 v29, null, 0, v125, vcc_lo
	v_add_co_u32 v30, vcc_lo, v126, v88
	v_add_co_ci_u32_e64 v31, null, 0, v127, vcc_lo
	;; [unrolled: 2-line block ×3, first 2 shown]
	global_load_dwordx2 v[70:71], v[26:27], off
	global_load_dwordx2 v[72:73], v[28:29], off
	;; [unrolled: 1-line block ×4, first 2 shown]
.LBB94_110:                             ;   in Loop: Header=BB94_74 Depth=1
	ds_read_b64 v[26:27], v93
	v_cmp_ne_u32_e32 vcc_lo, 1, v78
	v_add_co_u32 v86, s2, v130, v88
	v_add_co_ci_u32_e64 v87, null, 0, v131, s2
	s_and_b32 vcc_lo, exec_lo, vcc_lo
	s_mov_b32 s2, -1
                                        ; implicit-def: $vgpr78_vgpr79
                                        ; implicit-def: $vgpr84_vgpr85
                                        ; implicit-def: $vgpr80_vgpr81
                                        ; implicit-def: $vgpr82_vgpr83
	s_waitcnt vmcnt(0) lgkmcnt(0)
	v_mul_f64 v[42:43], v[70:71], v[26:27]
	v_mul_f64 v[44:45], v[72:73], v[26:27]
	;; [unrolled: 1-line block ×4, first 2 shown]
	ds_read_b128 v[30:33], v92 offset:256
	ds_read_b128 v[26:29], v92 offset:272
	ds_write2_b64 v94, v[42:43], v[44:45] offset1:67
	ds_write2_b64 v94, v[46:47], v[48:49] offset0:134 offset1:201
	s_waitcnt lgkmcnt(0)
	s_barrier
	buffer_gl0_inv
	ds_read2_b64 v[46:49], v95 offset1:1
	ds_read2_b64 v[42:45], v95 offset0:2 offset1:3
	s_waitcnt lgkmcnt(0)
	s_barrier
	buffer_gl0_inv
	s_cbranch_vccnz .LBB94_120
; %bb.111:                              ;   in Loop: Header=BB94_74 Depth=1
	v_mov_b32_e32 v80, 0
	v_mov_b32_e32 v82, 0
	;; [unrolled: 1-line block ×4, first 2 shown]
	s_mov_b32 s2, exec_lo
	v_cmpx_gt_i32_e64 s12, v105
	s_cbranch_execz .LBB94_113
; %bb.112:                              ;   in Loop: Header=BB94_74 Depth=1
	global_load_dwordx2 v[82:83], v[86:87], off
.LBB94_113:                             ;   in Loop: Header=BB94_74 Depth=1
	s_or_b32 exec_lo, exec_lo, s2
	s_mov_b32 s2, exec_lo
	v_cmpx_gt_i32_e64 s12, v138
	s_cbranch_execz .LBB94_115
; %bb.114:                              ;   in Loop: Header=BB94_74 Depth=1
	v_add_co_u32 v78, vcc_lo, v132, v88
	v_add_co_ci_u32_e64 v79, null, 0, v133, vcc_lo
	global_load_dwordx2 v[80:81], v[78:79], off
.LBB94_115:                             ;   in Loop: Header=BB94_74 Depth=1
	s_or_b32 exec_lo, exec_lo, s2
	v_mov_b32_e32 v78, 0
	v_mov_b32_e32 v84, 0
	;; [unrolled: 1-line block ×4, first 2 shown]
	s_mov_b32 s2, exec_lo
	v_cmpx_gt_i32_e64 s12, v139
	s_cbranch_execz .LBB94_117
; %bb.116:                              ;   in Loop: Header=BB94_74 Depth=1
	v_add_co_u32 v84, vcc_lo, v134, v88
	v_add_co_ci_u32_e64 v85, null, 0, v135, vcc_lo
	global_load_dwordx2 v[84:85], v[84:85], off
.LBB94_117:                             ;   in Loop: Header=BB94_74 Depth=1
	s_or_b32 exec_lo, exec_lo, s2
	s_mov_b32 s2, exec_lo
	v_cmpx_gt_i32_e64 s12, v141
	s_cbranch_execz .LBB94_119
; %bb.118:                              ;   in Loop: Header=BB94_74 Depth=1
	v_add_co_u32 v78, vcc_lo, v136, v88
	v_add_co_ci_u32_e64 v79, null, 0, v137, vcc_lo
	global_load_dwordx2 v[78:79], v[78:79], off
.LBB94_119:                             ;   in Loop: Header=BB94_74 Depth=1
	s_or_b32 exec_lo, exec_lo, s2
	s_mov_b32 s2, 0
.LBB94_120:                             ;   in Loop: Header=BB94_74 Depth=1
	s_and_b32 vcc_lo, exec_lo, s2
	s_cbranch_vccz .LBB94_122
; %bb.121:                              ;   in Loop: Header=BB94_74 Depth=1
	s_waitcnt vmcnt(0)
	v_add_co_u32 v78, vcc_lo, v132, v88
	v_add_co_ci_u32_e64 v79, null, 0, v133, vcc_lo
	v_add_co_u32 v84, vcc_lo, v134, v88
	v_add_co_ci_u32_e64 v85, null, 0, v135, vcc_lo
	;; [unrolled: 2-line block ×3, first 2 shown]
	global_load_dwordx2 v[82:83], v[86:87], off
	global_load_dwordx2 v[80:81], v[78:79], off
	global_load_dwordx2 v[84:85], v[84:85], off
	global_load_dwordx2 v[78:79], v[142:143], off
.LBB94_122:                             ;   in Loop: Header=BB94_74 Depth=1
	v_add_f64 v[38:39], v[38:39], 0
	v_add_f64 v[22:23], v[22:23], 0
	;; [unrolled: 1-line block ×3, first 2 shown]
	v_cmp_gt_i32_e32 vcc_lo, s12, v0
	s_or_b32 s2, s13, vcc_lo
	s_and_b32 s12, s1, s2
	v_add_f64 v[38:39], v[38:39], v[40:41]
	v_add_f64 v[22:23], v[22:23], v[24:25]
	;; [unrolled: 1-line block ×8, first 2 shown]
	ds_read_b64 v[34:35], v93
	ds_read_b128 v[22:25], v92 offset:384
	ds_read_b128 v[18:21], v92 offset:400
	v_add_f64 v[42:43], v[42:43], v[44:45]
	s_waitcnt vmcnt(0) lgkmcnt(2)
	v_mul_f64 v[36:37], v[82:83], v[34:35]
	v_mul_f64 v[44:45], v[80:81], v[34:35]
	ds_write2_b64 v94, v[36:37], v[44:45] offset1:67
	v_mul_f64 v[36:37], v[84:85], v[34:35]
	v_mul_f64 v[34:35], v[78:79], v[34:35]
	ds_write2_b64 v94, v[36:37], v[34:35] offset0:134 offset1:201
	s_waitcnt lgkmcnt(0)
	s_barrier
	buffer_gl0_inv
	ds_read2_b64 v[34:37], v95 offset1:1
	s_waitcnt lgkmcnt(0)
	v_add_f64 v[34:35], v[34:35], 0
	v_add_f64 v[44:45], v[34:35], v[36:37]
	ds_read2_b64 v[34:37], v95 offset0:2 offset1:3
	s_waitcnt lgkmcnt(0)
	s_barrier
	buffer_gl0_inv
	v_add_f64 v[34:35], v[44:45], v[34:35]
	v_add_f64 v[34:35], v[34:35], v[36:37]
	ds_write2_b64 v140, v[40:41], v[38:39] offset1:16
	ds_write2_b64 v140, v[42:43], v[34:35] offset0:32 offset1:48
	s_waitcnt lgkmcnt(0)
	s_barrier
	buffer_gl0_inv
	s_and_saveexec_b32 s2, s12
	s_cbranch_execz .LBB94_124
; %bb.123:                              ;   in Loop: Header=BB94_74 Depth=1
	ds_read2_b64 v[34:37], v96 offset1:1
	ds_read2_b64 v[38:41], v96 offset0:2 offset1:3
	s_waitcnt lgkmcnt(1)
	v_add_f64 v[34:35], v[34:35], v[36:37]
	s_waitcnt lgkmcnt(0)
	v_add_f64 v[34:35], v[34:35], v[38:39]
	v_add_f64 v[42:43], v[34:35], v[40:41]
	ds_read2_b64 v[34:37], v96 offset0:4 offset1:5
	ds_read2_b64 v[38:41], v96 offset0:6 offset1:7
	s_waitcnt lgkmcnt(1)
	v_add_f64 v[34:35], v[42:43], v[34:35]
	v_add_f64 v[34:35], v[34:35], v[36:37]
	s_waitcnt lgkmcnt(0)
	v_add_f64 v[34:35], v[34:35], v[38:39]
	v_add_f64 v[42:43], v[34:35], v[40:41]
	ds_read2_b64 v[34:37], v96 offset0:8 offset1:9
	ds_read2_b64 v[38:41], v96 offset0:10 offset1:11
	s_waitcnt lgkmcnt(1)
	v_add_f64 v[34:35], v[42:43], v[34:35]
	v_add_f64 v[34:35], v[34:35], v[36:37]
	s_waitcnt lgkmcnt(0)
	v_add_f64 v[34:35], v[34:35], v[38:39]
	v_add_f64 v[38:39], v[34:35], v[40:41]
	ds_read2_b64 v[34:37], v96 offset0:12 offset1:13
	ds_read_b64 v[40:41], v96 offset:112
	s_waitcnt lgkmcnt(1)
	v_add_f64 v[34:35], v[38:39], v[34:35]
	v_add_nc_u32_e32 v38, s11, v0
	v_ashrrev_i32_e32 v39, 31, v38
	v_add_f64 v[34:35], v[34:35], v[36:37]
	ds_read_b64 v[36:37], v97
	s_waitcnt lgkmcnt(1)
	v_add_f64 v[34:35], v[34:35], v[40:41]
	s_waitcnt lgkmcnt(0)
	v_add_f64 v[34:35], v[34:35], v[36:37]
	v_lshlrev_b64 v[36:37], 3, v[38:39]
	v_add_co_u32 v36, vcc_lo, s3, v36
	v_add_co_ci_u32_e64 v37, null, s7, v37, vcc_lo
	global_store_dwordx2 v[36:37], v[34:35], off
.LBB94_124:                             ;   in Loop: Header=BB94_74 Depth=1
	s_or_b32 exec_lo, exec_lo, s2
	v_fma_f64 v[6:7], v[54:55], v[6:7], v[52:53]
	v_add_co_u32 v106, vcc_lo, v106, s4
	v_add_co_ci_u32_e64 v107, null, s5, v107, vcc_lo
	v_add_co_u32 v108, vcc_lo, v108, s4
	v_add_co_ci_u32_e64 v109, null, s5, v109, vcc_lo
	;; [unrolled: 2-line block ×5, first 2 shown]
	v_add_co_u32 v116, vcc_lo, v116, s4
	v_fma_f64 v[6:7], v[56:57], v[8:9], v[6:7]
	v_add_co_ci_u32_e64 v117, null, s5, v117, vcc_lo
	v_add_co_u32 v118, vcc_lo, v118, s4
	v_add_co_ci_u32_e64 v119, null, s5, v119, vcc_lo
	v_add_co_u32 v120, vcc_lo, v120, s4
	;; [unrolled: 2-line block ×5, first 2 shown]
	v_add_co_ci_u32_e64 v127, null, s5, v127, vcc_lo
	v_fma_f64 v[2:3], v[58:59], v[2:3], v[6:7]
	v_add_co_u32 v128, vcc_lo, v128, s4
	v_add_co_ci_u32_e64 v129, null, s5, v129, vcc_lo
	v_add_co_u32 v130, vcc_lo, v130, s4
	v_add_co_ci_u32_e64 v131, null, s5, v131, vcc_lo
	;; [unrolled: 2-line block ×5, first 2 shown]
	s_add_i32 s2, s6, 1
	v_fma_f64 v[2:3], v[60:61], v[4:5], v[2:3]
	s_add_i32 s6, s6, 2
	s_add_i32 s11, s11, 64
	s_cmp_ge_u32 s6, s9
	s_waitcnt_vscnt null, 0x0
	s_barrier
	buffer_gl0_inv
	v_fma_f64 v[2:3], v[62:63], v[14:15], v[2:3]
	v_fma_f64 v[2:3], v[64:65], v[16:17], v[2:3]
	;; [unrolled: 1-line block ×12, first 2 shown]
	s_cbranch_scc1 .LBB94_126
; %bb.125:                              ;   in Loop: Header=BB94_74 Depth=1
	s_mov_b32 s6, s2
	s_cmp_eq_u32 s8, s6
	s_cselect_b32 s12, s26, 0
	s_and_saveexec_b32 s2, s0
	s_cbranch_execnz .LBB94_71
	s_branch .LBB94_74
.LBB94_126:
	v_cmp_gt_i32_e32 vcc_lo, s10, v0
	v_mad_u32_u24 v1, 0x218, v1, v88
	s_or_b32 s1, s14, vcc_lo
	ds_write_b64 v1, v[52:53]
	s_and_b32 s0, s0, s1
	s_waitcnt lgkmcnt(0)
	s_barrier
	buffer_gl0_inv
	s_and_saveexec_b32 s1, s0
	s_cbranch_execz .LBB94_128
; %bb.127:
	ds_read2_b64 v[0:3], v88 offset1:67
	s_waitcnt lgkmcnt(0)
	v_add_f64 v[4:5], v[0:1], v[2:3]
	ds_read2_b64 v[0:3], v88 offset0:134 offset1:201
	s_waitcnt lgkmcnt(0)
	v_add_f64 v[0:1], v[4:5], v[0:1]
	v_add_f64 v[0:1], v[0:1], v[2:3]
	v_lshlrev_b64 v[2:3], 3, v[50:51]
	v_add_co_u32 v2, vcc_lo, s3, v2
	v_add_co_ci_u32_e64 v3, null, s7, v3, vcc_lo
	global_store_dwordx2 v[2:3], v[0:1], off
.LBB94_128:
	s_endpgm
	.section	.rodata,"a",@progbits
	.p2align	6, 0x0
	.amdhsa_kernel _ZL26rocblas_hemvn_kernel_upperILb0ELi64ELi4ELi33ELi32ELi16ElPKdS1_PdEviT6_lT7_lT5_lS4_lS5_lS3_lT8_i
		.amdhsa_group_segment_fixed_size 9600
		.amdhsa_private_segment_fixed_size 0
		.amdhsa_kernarg_size 376
		.amdhsa_user_sgpr_count 6
		.amdhsa_user_sgpr_private_segment_buffer 1
		.amdhsa_user_sgpr_dispatch_ptr 0
		.amdhsa_user_sgpr_queue_ptr 0
		.amdhsa_user_sgpr_kernarg_segment_ptr 1
		.amdhsa_user_sgpr_dispatch_id 0
		.amdhsa_user_sgpr_flat_scratch_init 0
		.amdhsa_user_sgpr_private_segment_size 0
		.amdhsa_wavefront_size32 1
		.amdhsa_uses_dynamic_stack 0
		.amdhsa_system_sgpr_private_segment_wavefront_offset 0
		.amdhsa_system_sgpr_workgroup_id_x 1
		.amdhsa_system_sgpr_workgroup_id_y 0
		.amdhsa_system_sgpr_workgroup_id_z 1
		.amdhsa_system_sgpr_workgroup_info 0
		.amdhsa_system_vgpr_workitem_id 1
		.amdhsa_next_free_vgpr 144
		.amdhsa_next_free_sgpr 32
		.amdhsa_reserve_vcc 1
		.amdhsa_reserve_flat_scratch 0
		.amdhsa_float_round_mode_32 0
		.amdhsa_float_round_mode_16_64 0
		.amdhsa_float_denorm_mode_32 3
		.amdhsa_float_denorm_mode_16_64 3
		.amdhsa_dx10_clamp 1
		.amdhsa_ieee_mode 1
		.amdhsa_fp16_overflow 0
		.amdhsa_workgroup_processor_mode 1
		.amdhsa_memory_ordered 1
		.amdhsa_forward_progress 1
		.amdhsa_shared_vgpr_count 0
		.amdhsa_exception_fp_ieee_invalid_op 0
		.amdhsa_exception_fp_denorm_src 0
		.amdhsa_exception_fp_ieee_div_zero 0
		.amdhsa_exception_fp_ieee_overflow 0
		.amdhsa_exception_fp_ieee_underflow 0
		.amdhsa_exception_fp_ieee_inexact 0
		.amdhsa_exception_int_div_zero 0
	.end_amdhsa_kernel
	.section	.text._ZL26rocblas_hemvn_kernel_upperILb0ELi64ELi4ELi33ELi32ELi16ElPKdS1_PdEviT6_lT7_lT5_lS4_lS5_lS3_lT8_i,"axG",@progbits,_ZL26rocblas_hemvn_kernel_upperILb0ELi64ELi4ELi33ELi32ELi16ElPKdS1_PdEviT6_lT7_lT5_lS4_lS5_lS3_lT8_i,comdat
.Lfunc_end94:
	.size	_ZL26rocblas_hemvn_kernel_upperILb0ELi64ELi4ELi33ELi32ELi16ElPKdS1_PdEviT6_lT7_lT5_lS4_lS5_lS3_lT8_i, .Lfunc_end94-_ZL26rocblas_hemvn_kernel_upperILb0ELi64ELi4ELi33ELi32ELi16ElPKdS1_PdEviT6_lT7_lT5_lS4_lS5_lS3_lT8_i
                                        ; -- End function
	.set _ZL26rocblas_hemvn_kernel_upperILb0ELi64ELi4ELi33ELi32ELi16ElPKdS1_PdEviT6_lT7_lT5_lS4_lS5_lS3_lT8_i.num_vgpr, 144
	.set _ZL26rocblas_hemvn_kernel_upperILb0ELi64ELi4ELi33ELi32ELi16ElPKdS1_PdEviT6_lT7_lT5_lS4_lS5_lS3_lT8_i.num_agpr, 0
	.set _ZL26rocblas_hemvn_kernel_upperILb0ELi64ELi4ELi33ELi32ELi16ElPKdS1_PdEviT6_lT7_lT5_lS4_lS5_lS3_lT8_i.numbered_sgpr, 32
	.set _ZL26rocblas_hemvn_kernel_upperILb0ELi64ELi4ELi33ELi32ELi16ElPKdS1_PdEviT6_lT7_lT5_lS4_lS5_lS3_lT8_i.num_named_barrier, 0
	.set _ZL26rocblas_hemvn_kernel_upperILb0ELi64ELi4ELi33ELi32ELi16ElPKdS1_PdEviT6_lT7_lT5_lS4_lS5_lS3_lT8_i.private_seg_size, 0
	.set _ZL26rocblas_hemvn_kernel_upperILb0ELi64ELi4ELi33ELi32ELi16ElPKdS1_PdEviT6_lT7_lT5_lS4_lS5_lS3_lT8_i.uses_vcc, 1
	.set _ZL26rocblas_hemvn_kernel_upperILb0ELi64ELi4ELi33ELi32ELi16ElPKdS1_PdEviT6_lT7_lT5_lS4_lS5_lS3_lT8_i.uses_flat_scratch, 0
	.set _ZL26rocblas_hemvn_kernel_upperILb0ELi64ELi4ELi33ELi32ELi16ElPKdS1_PdEviT6_lT7_lT5_lS4_lS5_lS3_lT8_i.has_dyn_sized_stack, 0
	.set _ZL26rocblas_hemvn_kernel_upperILb0ELi64ELi4ELi33ELi32ELi16ElPKdS1_PdEviT6_lT7_lT5_lS4_lS5_lS3_lT8_i.has_recursion, 0
	.set _ZL26rocblas_hemvn_kernel_upperILb0ELi64ELi4ELi33ELi32ELi16ElPKdS1_PdEviT6_lT7_lT5_lS4_lS5_lS3_lT8_i.has_indirect_call, 0
	.section	.AMDGPU.csdata,"",@progbits
; Kernel info:
; codeLenInByte = 8400
; TotalNumSgprs: 34
; NumVgprs: 144
; ScratchSize: 0
; MemoryBound: 0
; FloatMode: 240
; IeeeMode: 1
; LDSByteSize: 9600 bytes/workgroup (compile time only)
; SGPRBlocks: 0
; VGPRBlocks: 17
; NumSGPRsForWavesPerEU: 34
; NumVGPRsForWavesPerEU: 144
; Occupancy: 7
; WaveLimiterHint : 0
; COMPUTE_PGM_RSRC2:SCRATCH_EN: 0
; COMPUTE_PGM_RSRC2:USER_SGPR: 6
; COMPUTE_PGM_RSRC2:TRAP_HANDLER: 0
; COMPUTE_PGM_RSRC2:TGID_X_EN: 1
; COMPUTE_PGM_RSRC2:TGID_Y_EN: 0
; COMPUTE_PGM_RSRC2:TGID_Z_EN: 1
; COMPUTE_PGM_RSRC2:TIDIG_COMP_CNT: 1
	.section	.text._ZL36rocblas_hemvn_kernel_upper_block_sumILi64ElPKdPddEviT1_lS3_lT2_lT0_lPT3_i,"axG",@progbits,_ZL36rocblas_hemvn_kernel_upper_block_sumILi64ElPKdPddEviT1_lS3_lT2_lT0_lPT3_i,comdat
	.globl	_ZL36rocblas_hemvn_kernel_upper_block_sumILi64ElPKdPddEviT1_lS3_lT2_lT0_lPT3_i ; -- Begin function _ZL36rocblas_hemvn_kernel_upper_block_sumILi64ElPKdPddEviT1_lS3_lT2_lT0_lPT3_i
	.p2align	8
	.type	_ZL36rocblas_hemvn_kernel_upper_block_sumILi64ElPKdPddEviT1_lS3_lT2_lT0_lPT3_i,@function
_ZL36rocblas_hemvn_kernel_upper_block_sumILi64ElPKdPddEviT1_lS3_lT2_lT0_lPT3_i: ; @_ZL36rocblas_hemvn_kernel_upper_block_sumILi64ElPKdPddEviT1_lS3_lT2_lT0_lPT3_i
; %bb.0:
	s_load_dwordx8 s[8:15], s[4:5], 0x8
	s_waitcnt lgkmcnt(0)
	s_mul_i32 s1, s11, s7
	s_mul_hi_u32 s2, s10, s7
	s_mul_i32 s0, s10, s7
	s_add_i32 s1, s2, s1
	s_mul_i32 s2, s15, s7
	s_lshl_b64 s[0:1], s[0:1], 3
	s_mul_hi_u32 s3, s14, s7
	s_add_u32 s0, s8, s0
	s_addc_u32 s1, s9, s1
	s_add_i32 s3, s3, s2
	s_mul_i32 s2, s14, s7
	s_lshl_b64 s[2:3], s[2:3], 3
	s_add_u32 s8, s12, s2
	s_addc_u32 s9, s13, s3
	s_load_dwordx2 s[2:3], s[0:1], 0x0
	s_load_dwordx2 s[16:17], s[8:9], 0x0
	s_waitcnt lgkmcnt(0)
	v_cmp_eq_f64_e64 s0, s[2:3], 0
	v_cmp_eq_f64_e64 s1, s[16:17], 1.0
	s_and_b32 s0, s0, s1
	s_and_b32 vcc_lo, exec_lo, s0
	s_cbranch_vccnz .LBB95_19
; %bb.1:
	s_clause 0x2
	s_load_dwordx8 s[8:15], s[4:5], 0x30
	s_load_dwordx2 s[0:1], s[4:5], 0x28
	s_load_dword s18, s[4:5], 0x0
	v_cmp_neq_f64_e64 s19, s[2:3], 0
	v_lshl_or_b32 v0, s6, 6, v0
	s_waitcnt lgkmcnt(0)
	s_mul_i32 s13, s13, s7
	s_mul_hi_u32 s20, s12, s7
	s_mul_i32 s12, s12, s7
	s_add_i32 s13, s20, s13
	s_lshl_b64 s[12:13], s[12:13], 3
	s_add_u32 s12, s0, s12
	s_addc_u32 s13, s1, s13
	s_lshl_b64 s[0:1], s[8:9], 3
	s_add_u32 s8, s12, s0
	v_cmp_gt_i32_e64 s0, s18, v0
	s_addc_u32 s9, s13, s1
	s_and_b32 vcc_lo, exec_lo, s19
	s_mov_b32 s12, 0
	s_cbranch_vccnz .LBB95_6
; %bb.2:
	s_mov_b32 s1, 0
                                        ; implicit-def: $vgpr3_vgpr4
                                        ; implicit-def: $vgpr1_vgpr2
	s_and_saveexec_b32 s13, s0
	s_cbranch_execz .LBB95_7
; %bb.3:
	v_cmp_eq_f64_e64 s0, s[16:17], 0
	v_ashrrev_i32_e32 v1, 31, v0
	v_mul_lo_u32 v5, s11, v0
	v_mov_b32_e32 v3, 0
	v_mov_b32_e32 v4, 0
	v_mul_lo_u32 v6, s10, v1
	v_mad_u64_u32 v[1:2], null, s10, v0, 0
	v_add3_u32 v2, v2, v6, v5
	s_and_b32 vcc_lo, exec_lo, s0
	s_cbranch_vccnz .LBB95_5
; %bb.4:
	v_lshlrev_b64 v[3:4], 3, v[1:2]
	v_add_co_u32 v3, vcc_lo, s8, v3
	v_add_co_ci_u32_e64 v4, null, s9, v4, vcc_lo
	global_load_dwordx2 v[3:4], v[3:4], off
	s_waitcnt vmcnt(0)
	v_mul_f64 v[3:4], s[16:17], v[3:4]
.LBB95_5:
	s_mov_b32 s12, exec_lo
	s_or_b32 exec_lo, exec_lo, s13
	s_and_b32 vcc_lo, exec_lo, s1
	s_cbranch_vccnz .LBB95_8
	s_branch .LBB95_17
.LBB95_6:
                                        ; implicit-def: $vgpr3_vgpr4
                                        ; implicit-def: $vgpr1_vgpr2
	s_cbranch_execnz .LBB95_8
	s_branch .LBB95_17
.LBB95_7:
	s_or_b32 exec_lo, exec_lo, s13
	s_and_b32 vcc_lo, exec_lo, s1
	s_cbranch_vccz .LBB95_17
.LBB95_8:
	s_mov_b32 s13, exec_lo
                                        ; implicit-def: $vgpr3_vgpr4
                                        ; implicit-def: $vgpr1_vgpr2
	v_cmpx_gt_i32_e64 s18, v0
	s_cbranch_execz .LBB95_16
; %bb.9:
	v_mov_b32_e32 v5, 0
	v_mov_b32_e32 v6, 0
	v_ashrrev_i32_e32 v1, 31, v0
	s_cmp_lt_i32 s6, 0
	s_cbranch_scc1 .LBB95_12
; %bb.10:
	s_load_dword s0, s[4:5], 0x58
	s_ashr_i32 s19, s18, 31
	s_mul_hi_u32 s1, s18, s7
	s_mul_i32 s4, s19, s7
	v_lshlrev_b64 v[2:3], 3, v[0:1]
	s_add_i32 s1, s1, s4
	s_mul_i32 s4, s18, s7
	v_mov_b32_e32 v5, 0
	v_mov_b32_e32 v6, 0
	s_waitcnt lgkmcnt(0)
	s_mul_i32 s1, s1, s0
	s_mul_hi_u32 s5, s4, s0
	s_mul_i32 s0, s4, s0
	s_add_i32 s1, s5, s1
	s_lshl_b64 s[0:1], s[0:1], 3
	s_add_u32 s0, s14, s0
	s_addc_u32 s1, s15, s1
	v_add_co_u32 v2, vcc_lo, s0, v2
	v_add_co_ci_u32_e64 v3, null, s1, v3, vcc_lo
	s_add_i32 s4, s6, 1
	s_lshl_b64 s[0:1], s[18:19], 3
.LBB95_11:                              ; =>This Inner Loop Header: Depth=1
	global_load_dwordx2 v[7:8], v[2:3], off
	v_add_co_u32 v2, vcc_lo, v2, s0
	v_add_co_ci_u32_e64 v3, null, s1, v3, vcc_lo
	s_add_i32 s4, s4, -1
	s_cmp_eq_u32 s4, 0
	s_waitcnt vmcnt(0)
	v_add_f64 v[5:6], v[5:6], v[7:8]
	s_cbranch_scc0 .LBB95_11
.LBB95_12:
	v_cmp_eq_f64_e64 s0, s[16:17], 0
	v_mul_lo_u32 v7, s11, v0
	v_mul_lo_u32 v8, s10, v1
	s_and_b32 vcc_lo, exec_lo, s0
	s_cbranch_vccz .LBB95_20
; %bb.13:
	v_mad_u64_u32 v[1:2], null, s10, v0, 0
	v_mul_f64 v[3:4], s[2:3], v[5:6]
	v_add3_u32 v2, v2, v8, v7
	s_cbranch_execnz .LBB95_15
.LBB95_14:
	v_mad_u64_u32 v[1:2], null, s10, v0, 0
	v_add3_u32 v2, v2, v8, v7
	v_lshlrev_b64 v[3:4], 3, v[1:2]
	v_add_co_u32 v3, vcc_lo, s8, v3
	v_add_co_ci_u32_e64 v4, null, s9, v4, vcc_lo
	global_load_dwordx2 v[3:4], v[3:4], off
	s_waitcnt vmcnt(0)
	v_mul_f64 v[3:4], s[16:17], v[3:4]
	v_fma_f64 v[3:4], s[2:3], v[5:6], v[3:4]
.LBB95_15:
	s_or_b32 s12, s12, exec_lo
.LBB95_16:
	s_or_b32 exec_lo, exec_lo, s13
.LBB95_17:
	s_and_saveexec_b32 s0, s12
	s_cbranch_execz .LBB95_19
; %bb.18:
	v_lshlrev_b64 v[0:1], 3, v[1:2]
	v_add_co_u32 v0, vcc_lo, s8, v0
	v_add_co_ci_u32_e64 v1, null, s9, v1, vcc_lo
	global_store_dwordx2 v[0:1], v[3:4], off
.LBB95_19:
	s_endpgm
.LBB95_20:
                                        ; implicit-def: $vgpr3_vgpr4
                                        ; implicit-def: $vgpr1_vgpr2
	s_branch .LBB95_14
	.section	.rodata,"a",@progbits
	.p2align	6, 0x0
	.amdhsa_kernel _ZL36rocblas_hemvn_kernel_upper_block_sumILi64ElPKdPddEviT1_lS3_lT2_lT0_lPT3_i
		.amdhsa_group_segment_fixed_size 0
		.amdhsa_private_segment_fixed_size 0
		.amdhsa_kernarg_size 344
		.amdhsa_user_sgpr_count 6
		.amdhsa_user_sgpr_private_segment_buffer 1
		.amdhsa_user_sgpr_dispatch_ptr 0
		.amdhsa_user_sgpr_queue_ptr 0
		.amdhsa_user_sgpr_kernarg_segment_ptr 1
		.amdhsa_user_sgpr_dispatch_id 0
		.amdhsa_user_sgpr_flat_scratch_init 0
		.amdhsa_user_sgpr_private_segment_size 0
		.amdhsa_wavefront_size32 1
		.amdhsa_uses_dynamic_stack 0
		.amdhsa_system_sgpr_private_segment_wavefront_offset 0
		.amdhsa_system_sgpr_workgroup_id_x 1
		.amdhsa_system_sgpr_workgroup_id_y 0
		.amdhsa_system_sgpr_workgroup_id_z 1
		.amdhsa_system_sgpr_workgroup_info 0
		.amdhsa_system_vgpr_workitem_id 0
		.amdhsa_next_free_vgpr 9
		.amdhsa_next_free_sgpr 21
		.amdhsa_reserve_vcc 1
		.amdhsa_reserve_flat_scratch 0
		.amdhsa_float_round_mode_32 0
		.amdhsa_float_round_mode_16_64 0
		.amdhsa_float_denorm_mode_32 3
		.amdhsa_float_denorm_mode_16_64 3
		.amdhsa_dx10_clamp 1
		.amdhsa_ieee_mode 1
		.amdhsa_fp16_overflow 0
		.amdhsa_workgroup_processor_mode 1
		.amdhsa_memory_ordered 1
		.amdhsa_forward_progress 1
		.amdhsa_shared_vgpr_count 0
		.amdhsa_exception_fp_ieee_invalid_op 0
		.amdhsa_exception_fp_denorm_src 0
		.amdhsa_exception_fp_ieee_div_zero 0
		.amdhsa_exception_fp_ieee_overflow 0
		.amdhsa_exception_fp_ieee_underflow 0
		.amdhsa_exception_fp_ieee_inexact 0
		.amdhsa_exception_int_div_zero 0
	.end_amdhsa_kernel
	.section	.text._ZL36rocblas_hemvn_kernel_upper_block_sumILi64ElPKdPddEviT1_lS3_lT2_lT0_lPT3_i,"axG",@progbits,_ZL36rocblas_hemvn_kernel_upper_block_sumILi64ElPKdPddEviT1_lS3_lT2_lT0_lPT3_i,comdat
.Lfunc_end95:
	.size	_ZL36rocblas_hemvn_kernel_upper_block_sumILi64ElPKdPddEviT1_lS3_lT2_lT0_lPT3_i, .Lfunc_end95-_ZL36rocblas_hemvn_kernel_upper_block_sumILi64ElPKdPddEviT1_lS3_lT2_lT0_lPT3_i
                                        ; -- End function
	.set _ZL36rocblas_hemvn_kernel_upper_block_sumILi64ElPKdPddEviT1_lS3_lT2_lT0_lPT3_i.num_vgpr, 9
	.set _ZL36rocblas_hemvn_kernel_upper_block_sumILi64ElPKdPddEviT1_lS3_lT2_lT0_lPT3_i.num_agpr, 0
	.set _ZL36rocblas_hemvn_kernel_upper_block_sumILi64ElPKdPddEviT1_lS3_lT2_lT0_lPT3_i.numbered_sgpr, 21
	.set _ZL36rocblas_hemvn_kernel_upper_block_sumILi64ElPKdPddEviT1_lS3_lT2_lT0_lPT3_i.num_named_barrier, 0
	.set _ZL36rocblas_hemvn_kernel_upper_block_sumILi64ElPKdPddEviT1_lS3_lT2_lT0_lPT3_i.private_seg_size, 0
	.set _ZL36rocblas_hemvn_kernel_upper_block_sumILi64ElPKdPddEviT1_lS3_lT2_lT0_lPT3_i.uses_vcc, 1
	.set _ZL36rocblas_hemvn_kernel_upper_block_sumILi64ElPKdPddEviT1_lS3_lT2_lT0_lPT3_i.uses_flat_scratch, 0
	.set _ZL36rocblas_hemvn_kernel_upper_block_sumILi64ElPKdPddEviT1_lS3_lT2_lT0_lPT3_i.has_dyn_sized_stack, 0
	.set _ZL36rocblas_hemvn_kernel_upper_block_sumILi64ElPKdPddEviT1_lS3_lT2_lT0_lPT3_i.has_recursion, 0
	.set _ZL36rocblas_hemvn_kernel_upper_block_sumILi64ElPKdPddEviT1_lS3_lT2_lT0_lPT3_i.has_indirect_call, 0
	.section	.AMDGPU.csdata,"",@progbits
; Kernel info:
; codeLenInByte = 748
; TotalNumSgprs: 23
; NumVgprs: 9
; ScratchSize: 0
; MemoryBound: 0
; FloatMode: 240
; IeeeMode: 1
; LDSByteSize: 0 bytes/workgroup (compile time only)
; SGPRBlocks: 0
; VGPRBlocks: 1
; NumSGPRsForWavesPerEU: 23
; NumVGPRsForWavesPerEU: 9
; Occupancy: 16
; WaveLimiterHint : 0
; COMPUTE_PGM_RSRC2:SCRATCH_EN: 0
; COMPUTE_PGM_RSRC2:USER_SGPR: 6
; COMPUTE_PGM_RSRC2:TRAP_HANDLER: 0
; COMPUTE_PGM_RSRC2:TGID_X_EN: 1
; COMPUTE_PGM_RSRC2:TGID_Y_EN: 0
; COMPUTE_PGM_RSRC2:TGID_Z_EN: 1
; COMPUTE_PGM_RSRC2:TIDIG_COMP_CNT: 0
	.section	.text._ZL26rocblas_hemvn_kernel_upperILb0ELi64ELi4ELi33ELi32ELi16EiPKdS1_PdEviT6_lT7_lT5_lS4_lS5_lS3_lT8_i,"axG",@progbits,_ZL26rocblas_hemvn_kernel_upperILb0ELi64ELi4ELi33ELi32ELi16EiPKdS1_PdEviT6_lT7_lT5_lS4_lS5_lS3_lT8_i,comdat
	.globl	_ZL26rocblas_hemvn_kernel_upperILb0ELi64ELi4ELi33ELi32ELi16EiPKdS1_PdEviT6_lT7_lT5_lS4_lS5_lS3_lT8_i ; -- Begin function _ZL26rocblas_hemvn_kernel_upperILb0ELi64ELi4ELi33ELi32ELi16EiPKdS1_PdEviT6_lT7_lT5_lS4_lS5_lS3_lT8_i
	.p2align	8
	.type	_ZL26rocblas_hemvn_kernel_upperILb0ELi64ELi4ELi33ELi32ELi16EiPKdS1_PdEviT6_lT7_lT5_lS4_lS5_lS3_lT8_i,@function
_ZL26rocblas_hemvn_kernel_upperILb0ELi64ELi4ELi33ELi32ELi16EiPKdS1_PdEviT6_lT7_lT5_lS4_lS5_lS3_lT8_i: ; @_ZL26rocblas_hemvn_kernel_upperILb0ELi64ELi4ELi33ELi32ELi16EiPKdS1_PdEviT6_lT7_lT5_lS4_lS5_lS3_lT8_i
; %bb.0:
	s_load_dwordx2 s[2:3], s[4:5], 0x84
	s_add_u32 s0, s4, 0x78
	s_addc_u32 s1, s5, 0
	s_waitcnt lgkmcnt(0)
	s_lshr_b32 s8, s2, 16
	s_and_b32 s2, s2, 0xffff
	s_and_b32 s3, s3, 0xffff
	s_mul_i32 s2, s8, s2
	s_mul_i32 s2, s2, s3
	s_cmpk_lg_i32 s2, 0x100
	s_cbranch_scc1 .LBB96_128
; %bb.1:
	s_clause 0x1
	s_load_dwordx8 s[16:23], s[4:5], 0x8
	s_load_dwordx8 s[8:15], s[4:5], 0x50
	s_waitcnt lgkmcnt(0)
	s_mul_i32 s3, s19, s7
	s_mul_hi_u32 s19, s18, s7
	s_mul_i32 s2, s18, s7
	s_add_i32 s3, s19, s3
	s_mul_i32 s13, s13, s7
	s_lshl_b64 s[2:3], s[2:3], 3
	s_mul_hi_u32 s18, s12, s7
	s_add_u32 s2, s16, s2
	s_addc_u32 s3, s17, s3
	s_add_i32 s13, s18, s13
	s_mul_i32 s12, s12, s7
	s_lshl_b64 s[12:13], s[12:13], 3
	s_add_u32 s10, s10, s12
	s_addc_u32 s11, s11, s13
	s_load_dwordx2 s[2:3], s[2:3], 0x0
	s_load_dwordx2 s[10:11], s[10:11], 0x0
	s_waitcnt lgkmcnt(0)
	v_cmp_eq_f64_e64 s2, s[2:3], 0
	v_cmp_eq_f64_e64 s3, s[10:11], 1.0
	s_and_b32 s3, s2, s3
	s_and_b32 vcc_lo, exec_lo, s3
	s_cbranch_vccnz .LBB96_128
; %bb.2:
	s_and_b32 vcc_lo, exec_lo, s2
	s_cbranch_vccnz .LBB96_128
; %bb.3:
	s_clause 0x2
	s_load_dwordx4 s[16:19], s[4:5], 0x30
	s_load_dwordx2 s[2:3], s[4:5], 0x40
	s_load_dword s24, s[4:5], 0x48
	s_mul_i32 s9, s9, s7
	s_mul_hi_u32 s10, s8, s7
	s_mul_i32 s8, s8, s7
	s_add_i32 s9, s10, s9
	s_load_dword s26, s[0:1], 0x0
	s_lshl_b64 s[10:11], s[8:9], 3
	s_load_dword s9, s[4:5], 0x0
	s_waitcnt lgkmcnt(0)
	s_add_u32 s8, s18, s10
	s_addc_u32 s10, s19, s11
	s_lshl_b64 s[2:3], s[2:3], 3
	s_add_u32 s2, s8, s2
	s_addc_u32 s3, s10, s3
	s_lshl_b32 s18, s6, 6
	s_add_i32 s1, s26, -1
	v_add_nc_u32_e32 v58, s18, v0
	s_ashr_i32 s25, s9, 31
	s_lshr_b32 s0, s25, 26
	v_mul_lo_u32 v2, s24, v58
	s_add_i32 s0, s9, s0
	s_andn2_b32 s0, s0, 63
	s_sub_i32 s27, s9, s0
	v_cmp_eq_u32_e64 s0, 0, v1
	s_cmp_eq_u32 s6, s1
	v_ashrrev_i32_e32 v3, 31, v2
	s_cselect_b32 s10, s27, 0
	v_lshlrev_b64 v[2:3], 3, v[2:3]
	v_add_co_u32 v14, vcc_lo, s2, v2
	v_add_co_ci_u32_e64 v15, null, s3, v3, vcc_lo
	s_and_saveexec_b32 s1, s0
	s_cbranch_execz .LBB96_7
; %bb.4:
	v_cmp_gt_i32_e32 vcc_lo, s10, v0
	s_cmp_eq_u32 s10, 0
	v_mov_b32_e32 v2, 0
	v_mov_b32_e32 v3, 0
	s_cselect_b32 s2, -1, 0
	s_or_b32 s3, s2, vcc_lo
	s_and_saveexec_b32 s2, s3
	s_cbranch_execz .LBB96_6
; %bb.5:
	global_load_dwordx2 v[2:3], v[14:15], off
.LBB96_6:
	s_or_b32 exec_lo, exec_lo, s2
	v_lshlrev_b32_e32 v4, 3, v0
	s_waitcnt vmcnt(0)
	ds_write_b64 v4, v[2:3] offset:9088
.LBB96_7:
	s_or_b32 exec_lo, exec_lo, s1
	s_load_dword s12, s[4:5], 0x28
	v_lshl_add_u32 v24, v1, 6, v0
	v_and_b32_e32 v2, 31, v0
	s_mul_i32 s1, s17, s7
	s_mul_hi_u32 s3, s16, s7
	s_mul_i32 s2, s16, s7
	v_lshrrev_b32_e32 v13, 5, v24
	s_add_i32 s3, s3, s1
	v_lshlrev_b32_e32 v20, 3, v2
	s_lshl_b64 s[2:3], s[2:3], 3
	s_add_u32 s1, s20, s2
	s_addc_u32 s4, s21, s3
	s_lshl_b64 s[2:3], s[22:23], 3
	s_add_u32 s1, s1, s2
	s_addc_u32 s4, s4, s3
	s_ashr_i32 s19, s18, 31
	s_lshl_b64 s[2:3], s[18:19], 3
	s_waitcnt lgkmcnt(0)
	v_mad_u64_u32 v[3:4], null, s12, v13, v[2:3]
	s_add_u32 s5, s1, s2
	s_mul_i32 s2, s12, s18
	s_addc_u32 s4, s4, s3
	s_ashr_i32 s3, s2, 31
	v_cmp_gt_i32_e64 s1, s10, v2
	s_lshl_b64 s[2:3], s[2:3], 3
	v_ashrrev_i32_e32 v4, 31, v3
	s_cmp_eq_u32 s10, 0
	s_cselect_b32 s28, -1, 0
	s_cmp_lg_u32 s10, 0
	v_lshlrev_b64 v[16:17], 3, v[3:4]
	s_cselect_b32 s19, -1, 0
	v_add_co_u32 v3, vcc_lo, s5, v16
	v_add_co_ci_u32_e64 v4, null, s4, v17, vcc_lo
	s_and_b32 vcc_lo, exec_lo, s19
	v_add_co_u32 v5, s2, v3, s2
	v_add_co_ci_u32_e64 v6, null, s3, v4, s2
	s_cbranch_vccz .LBB96_17
; %bb.8:
	v_sub_co_u32 v3, vcc_lo, v5, v20
	s_ashr_i32 s11, s10, 31
	v_subrev_co_ci_u32_e64 v4, null, 0, v6, vcc_lo
	s_lshl_b64 s[2:3], s[10:11], 3
	v_mov_b32_e32 v9, 0
	v_add_co_u32 v3, vcc_lo, v3, s2
	v_add_co_ci_u32_e64 v4, null, s3, v4, vcc_lo
	v_mov_b32_e32 v7, 0
	v_add_co_u32 v3, vcc_lo, v3, -8
	v_add_co_ci_u32_e64 v4, null, -1, v4, vcc_lo
	v_mov_b32_e32 v10, 0
	v_cndmask_b32_e64 v3, v3, v5, s1
	v_mov_b32_e32 v8, 0
	v_cndmask_b32_e64 v4, v4, v6, s1
	s_mov_b32 s4, exec_lo
	v_cmpx_gt_i32_e64 s10, v13
	s_cbranch_execz .LBB96_10
; %bb.9:
	global_load_dwordx2 v[7:8], v[3:4], off
.LBB96_10:
	s_or_b32 exec_lo, exec_lo, s4
	v_add_nc_u32_e32 v12, 8, v13
	v_mul_u32_u24_e32 v11, 0x108, v13
	v_mad_u32_u24 v18, 0x108, v13, v20
	s_mov_b32 s4, exec_lo
	s_waitcnt vmcnt(0)
	ds_write_b64 v18, v[7:8]
	v_cmpx_gt_i32_e64 s10, v12
	s_cbranch_execz .LBB96_12
; %bb.11:
	s_lshl_b32 s16, s12, 3
	s_ashr_i32 s17, s16, 31
	s_lshl_b64 s[16:17], s[16:17], 3
	v_add_co_u32 v7, vcc_lo, v3, s16
	v_add_co_ci_u32_e64 v8, null, s17, v4, vcc_lo
	global_load_dwordx2 v[9:10], v[7:8], off
.LBB96_12:
	s_or_b32 exec_lo, exec_lo, s4
	v_add_nc_u32_e32 v18, v11, v20
	v_mov_b32_e32 v7, 0
	v_mov_b32_e32 v11, 0
	v_add_nc_u32_e32 v19, 16, v13
	v_mov_b32_e32 v8, 0
	v_mov_b32_e32 v12, 0
	s_mov_b32 s4, exec_lo
	s_waitcnt vmcnt(0)
	ds_write_b64 v18, v[9:10] offset:2112
	v_cmpx_gt_i32_e64 s10, v19
	s_cbranch_execz .LBB96_14
; %bb.13:
	s_lshl_b32 s16, s12, 4
	s_ashr_i32 s17, s16, 31
	s_lshl_b64 s[16:17], s[16:17], 3
	v_add_co_u32 v9, vcc_lo, v3, s16
	v_add_co_ci_u32_e64 v10, null, s17, v4, vcc_lo
	global_load_dwordx2 v[11:12], v[9:10], off
.LBB96_14:
	s_or_b32 exec_lo, exec_lo, s4
	v_add_nc_u32_e32 v9, 24, v13
	s_mov_b32 s4, exec_lo
	s_waitcnt vmcnt(0)
	ds_write_b64 v18, v[11:12] offset:4224
	v_cmpx_gt_i32_e64 s10, v9
	s_cbranch_execz .LBB96_16
; %bb.15:
	s_mul_i32 s16, s12, 24
	s_ashr_i32 s17, s16, 31
	s_lshl_b64 s[16:17], s[16:17], 3
	v_add_co_u32 v7, vcc_lo, v3, s16
	v_add_co_ci_u32_e64 v8, null, s17, v4, vcc_lo
	global_load_dwordx2 v[7:8], v[7:8], off
.LBB96_16:
	s_or_b32 exec_lo, exec_lo, s4
	v_add_co_u32 v3, vcc_lo, v3, v20
	v_add_co_ci_u32_e64 v4, null, 0, v4, vcc_lo
	s_waitcnt vmcnt(0)
	ds_write_b64 v18, v[7:8] offset:6336
	v_sub_co_u32 v3, vcc_lo, v3, s2
	v_subrev_co_ci_u32_e64 v4, null, s3, v4, vcc_lo
	v_add_co_u32 v3, vcc_lo, v3, 8
	v_add_co_ci_u32_e64 v4, null, 0, v4, vcc_lo
	v_cndmask_b32_e64 v3, v3, v5, s1
	v_cndmask_b32_e64 v4, v4, v6, s1
	v_mul_u32_u24_e32 v22, 0x108, v13
	s_branch .LBB96_19
.LBB96_17:
                                        ; implicit-def: $vgpr3_vgpr4
	v_mul_u32_u24_e32 v22, 0x108, v13
	s_cbranch_execz .LBB96_19
; %bb.18:
	s_lshl_b32 s2, s12, 3
	s_ashr_i32 s13, s12, 31
	s_ashr_i32 s3, s2, 31
	v_lshl_add_u32 v21, v2, 3, v22
	s_lshl_b64 s[2:3], s[2:3], 3
	v_add_co_u32 v3, vcc_lo, v5, s2
	v_add_co_ci_u32_e64 v4, null, s3, v6, vcc_lo
	s_lshl_b64 s[2:3], s[12:13], 6
	v_add_co_u32 v7, vcc_lo, v3, s2
	v_add_co_ci_u32_e64 v8, null, s3, v4, vcc_lo
	v_add_co_u32 v9, vcc_lo, v7, s2
	v_add_co_ci_u32_e64 v10, null, s3, v8, vcc_lo
	s_clause 0x3
	global_load_dwordx2 v[11:12], v[5:6], off
	global_load_dwordx2 v[18:19], v[3:4], off
	;; [unrolled: 1-line block ×4, first 2 shown]
	v_mov_b32_e32 v3, v5
	v_mov_b32_e32 v4, v6
	s_waitcnt vmcnt(3)
	ds_write_b64 v21, v[11:12]
	s_waitcnt vmcnt(2)
	ds_write_b64 v21, v[18:19] offset:2112
	s_waitcnt vmcnt(1)
	ds_write_b64 v21, v[7:8] offset:4224
	;; [unrolled: 2-line block ×3, first 2 shown]
.LBB96_19:
	v_lshlrev_b32_e32 v23, 2, v13
	v_lshl_or_b32 v5, v2, 8, v20
	v_mad_u32_u24 v6, 0x420, v13, v20
	s_waitcnt lgkmcnt(0)
	s_barrier
	v_cmp_gt_u32_e64 s2, v23, v2
	v_lshl_add_u32 v7, v23, 3, v5
	buffer_gl0_inv
	s_and_saveexec_b32 s1, s2
	s_cbranch_execz .LBB96_21
; %bb.20:
	ds_read_b64 v[8:9], v6
	s_waitcnt lgkmcnt(0)
	ds_write_b64 v7, v[8:9]
.LBB96_21:
	s_or_b32 exec_lo, exec_lo, s1
	v_or_b32_e32 v28, 1, v23
	v_cmp_ge_u32_e64 s3, v23, v2
	v_mad_u32_u24 v5, 0x108, v28, v20
	s_and_saveexec_b32 s1, s3
	s_cbranch_execz .LBB96_23
; %bb.22:
	ds_read_b64 v[8:9], v5
	s_waitcnt lgkmcnt(0)
	ds_write_b64 v7, v[8:9] offset:8
.LBB96_23:
	s_or_b32 exec_lo, exec_lo, s1
	v_or_b32_e32 v8, 2, v23
	v_cmp_gt_u32_e64 s4, v8, v2
	s_and_saveexec_b32 s1, s4
	s_cbranch_execz .LBB96_25
; %bb.24:
	v_mad_u32_u24 v8, 0x108, v8, v20
	ds_read_b64 v[8:9], v8
	s_waitcnt lgkmcnt(0)
	ds_write_b64 v7, v[8:9] offset:16
.LBB96_25:
	s_or_b32 exec_lo, exec_lo, s1
	v_or_b32_e32 v9, 3, v23
	s_mov_b32 s1, exec_lo
	v_cmp_gt_u32_e64 s5, v9, v2
	v_mul_u32_u24_e32 v8, 0x108, v9
	v_cmpx_le_u32_e64 v9, v2
	s_xor_b32 s1, exec_lo, s1
; %bb.26:
	v_mul_u32_u24_e32 v8, 0x108, v9
                                        ; implicit-def: $vgpr9
                                        ; implicit-def: $vgpr7
; %bb.27:
	s_andn2_saveexec_b32 s1, s1
	s_cbranch_execz .LBB96_29
; %bb.28:
	v_mad_u32_u24 v9, 0x108, v9, v20
	ds_read_b64 v[9:10], v9
	s_waitcnt lgkmcnt(0)
	ds_write_b64 v7, v[9:10] offset:24
.LBB96_29:
	s_or_b32 exec_lo, exec_lo, s1
	v_lshlrev_b32_e32 v30, 3, v23
	s_waitcnt lgkmcnt(0)
	s_barrier
	buffer_gl0_inv
	ds_read_b64 v[6:7], v6
	ds_read_b128 v[9:12], v30 offset:9088
	v_add_nc_u32_e32 v21, v20, v8
	ds_read_b128 v[31:34], v30 offset:9104
	ds_read_b64 v[18:19], v21
	v_mov_b32_e32 v59, 0
	v_mov_b32_e32 v60, 0
	v_cmp_gt_u32_e64 s1, 32, v24
	s_waitcnt lgkmcnt(2)
	v_fma_f64 v[9:10], v[6:7], v[9:10], 0
	ds_read2_b64 v[5:8], v5 offset1:33
	s_waitcnt lgkmcnt(0)
	s_barrier
	buffer_gl0_inv
	v_fma_f64 v[5:6], v[5:6], v[11:12], v[9:10]
	v_fma_f64 v[5:6], v[7:8], v[31:32], v[5:6]
	v_mul_u32_u24_e32 v7, 33, v2
	v_lshlrev_b32_e32 v25, 3, v7
	v_lshl_add_u32 v26, v13, 3, v25
	v_fma_f64 v[5:6], v[18:19], v[33:34], v[5:6]
	ds_write_b64 v26, v[5:6]
	s_waitcnt lgkmcnt(0)
	s_barrier
	buffer_gl0_inv
	s_and_saveexec_b32 s8, s1
	s_cbranch_execz .LBB96_31
; %bb.30:
	ds_read2_b64 v[5:8], v25 offset1:1
	ds_read2_b64 v[9:12], v25 offset0:2 offset1:3
	s_waitcnt lgkmcnt(1)
	v_add_f64 v[5:6], v[5:6], v[7:8]
	s_waitcnt lgkmcnt(0)
	v_add_f64 v[5:6], v[5:6], v[9:10]
	v_add_f64 v[18:19], v[5:6], v[11:12]
	ds_read2_b64 v[5:8], v25 offset0:4 offset1:5
	ds_read2_b64 v[9:12], v25 offset0:6 offset1:7
	s_waitcnt lgkmcnt(1)
	v_add_f64 v[5:6], v[18:19], v[5:6]
	v_add_f64 v[5:6], v[5:6], v[7:8]
	s_waitcnt lgkmcnt(0)
	v_add_f64 v[5:6], v[5:6], v[9:10]
	v_add_f64 v[59:60], v[5:6], v[11:12]
.LBB96_31:
	s_or_b32 exec_lo, exec_lo, s8
	s_lshl_b32 s20, s12, 5
	s_ashr_i32 s21, s20, 31
	s_barrier
	s_lshl_b64 s[16:17], s[20:21], 3
	buffer_gl0_inv
	v_add_co_u32 v7, vcc_lo, v3, s16
	v_add_co_ci_u32_e64 v8, null, s17, v4, vcc_lo
	v_add_co_u32 v5, vcc_lo, 0x100, v7
	v_add_co_ci_u32_e64 v6, null, 0, v8, vcc_lo
	s_and_b32 vcc_lo, exec_lo, s19
	s_cbranch_vccz .LBB96_41
; %bb.32:
	v_sub_co_u32 v3, vcc_lo, v7, v20
	s_ashr_i32 s11, s10, 31
	v_subrev_co_ci_u32_e64 v4, null, 0, v8, vcc_lo
	s_lshl_b64 s[22:23], s[10:11], 3
	v_or_b32_e32 v9, 32, v2
	v_add_co_u32 v3, vcc_lo, v3, s22
	v_add_co_ci_u32_e64 v4, null, s23, v4, vcc_lo
	v_mov_b32_e32 v11, 0
	v_add_co_u32 v3, vcc_lo, v3, -8
	v_add_co_ci_u32_e64 v4, null, -1, v4, vcc_lo
	v_cmp_gt_i32_e32 vcc_lo, s10, v9
	v_mov_b32_e32 v9, 0
	v_mov_b32_e32 v12, 0
	v_mov_b32_e32 v10, 0
	s_sub_i32 s11, s10, 32
	v_cndmask_b32_e32 v4, v4, v6, vcc_lo
	v_cndmask_b32_e32 v3, v3, v5, vcc_lo
	s_mov_b32 s13, exec_lo
	v_cmpx_gt_i32_e64 s11, v13
	s_cbranch_execz .LBB96_34
; %bb.33:
	global_load_dwordx2 v[9:10], v[3:4], off
.LBB96_34:
	s_or_b32 exec_lo, exec_lo, s13
	v_add_nc_u32_e32 v18, 8, v13
	v_mad_u32_u24 v19, 0x108, v13, v20
	s_mov_b32 s13, exec_lo
	s_waitcnt vmcnt(0)
	ds_write_b64 v19, v[9:10]
	v_cmpx_gt_i32_e64 s11, v18
	s_cbranch_execz .LBB96_36
; %bb.35:
	s_lshl_b32 s30, s12, 3
	s_ashr_i32 s31, s30, 31
	s_lshl_b64 s[30:31], s[30:31], 3
	v_add_co_u32 v9, s8, v3, s30
	v_add_co_ci_u32_e64 v10, null, s31, v4, s8
	global_load_dwordx2 v[11:12], v[9:10], off
.LBB96_36:
	s_or_b32 exec_lo, exec_lo, s13
	v_mov_b32_e32 v9, 0
	v_mov_b32_e32 v18, 0
	v_add_nc_u32_e32 v29, 16, v13
	v_add_nc_u32_e32 v27, v22, v20
	v_mov_b32_e32 v10, 0
	v_mov_b32_e32 v19, 0
	s_mov_b32 s13, exec_lo
	s_waitcnt vmcnt(0)
	ds_write_b64 v27, v[11:12] offset:2112
	v_cmpx_gt_i32_e64 s11, v29
	s_cbranch_execz .LBB96_38
; %bb.37:
	s_lshl_b32 s30, s12, 4
	s_ashr_i32 s31, s30, 31
	s_lshl_b64 s[30:31], s[30:31], 3
	v_add_co_u32 v11, s8, v3, s30
	v_add_co_ci_u32_e64 v12, null, s31, v4, s8
	global_load_dwordx2 v[18:19], v[11:12], off
.LBB96_38:
	s_or_b32 exec_lo, exec_lo, s13
	v_add_nc_u32_e32 v11, 24, v13
	s_waitcnt vmcnt(0)
	ds_write_b64 v27, v[18:19] offset:4224
	v_cmp_gt_i32_e64 s8, s11, v11
	s_and_saveexec_b32 s11, s8
	s_cbranch_execz .LBB96_40
; %bb.39:
	s_mul_i32 s30, s12, 24
	s_ashr_i32 s31, s30, 31
	s_lshl_b64 s[30:31], s[30:31], 3
	v_add_co_u32 v9, s8, v3, s30
	v_add_co_ci_u32_e64 v10, null, s31, v4, s8
	global_load_dwordx2 v[9:10], v[9:10], off
.LBB96_40:
	s_or_b32 exec_lo, exec_lo, s11
	v_add_co_u32 v3, s8, v3, v20
	v_add_co_ci_u32_e64 v4, null, 0, v4, s8
	s_waitcnt vmcnt(0)
	ds_write_b64 v27, v[9:10] offset:6336
	v_sub_co_u32 v3, s8, v3, s22
	v_subrev_co_ci_u32_e64 v4, null, s23, v4, s8
	v_add_co_u32 v3, s8, 0x108, v3
	v_add_co_ci_u32_e64 v4, null, 0, v4, s8
	v_cndmask_b32_e32 v3, v3, v5, vcc_lo
	v_cndmask_b32_e32 v4, v4, v6, vcc_lo
	v_mul_u32_u24_e32 v9, 0x420, v13
	v_mad_u32_u24 v27, 0x108, v13, v20
	s_branch .LBB96_43
.LBB96_41:
                                        ; implicit-def: $vgpr3_vgpr4
	v_mul_u32_u24_e32 v9, 0x420, v13
	v_mad_u32_u24 v27, 0x108, v13, v20
	s_cbranch_execz .LBB96_43
; %bb.42:
	s_lshl_b32 s22, s12, 3
	s_ashr_i32 s13, s12, 31
	s_ashr_i32 s23, s22, 31
	s_lshl_b64 s[22:23], s[22:23], 3
	v_add_co_u32 v3, vcc_lo, v7, s22
	v_add_co_ci_u32_e64 v4, null, s23, v8, vcc_lo
	s_lshl_b64 s[22:23], s[12:13], 6
	v_add_co_u32 v10, vcc_lo, v3, s22
	v_add_co_ci_u32_e64 v11, null, s23, v4, vcc_lo
	v_add_co_u32 v18, vcc_lo, v10, s22
	v_add_co_ci_u32_e64 v19, null, s23, v11, vcc_lo
	s_clause 0x3
	global_load_dwordx2 v[7:8], v[7:8], off offset:256
	global_load_dwordx2 v[31:32], v[3:4], off offset:256
	;; [unrolled: 1-line block ×4, first 2 shown]
	v_mov_b32_e32 v3, v5
	v_mov_b32_e32 v4, v6
	s_waitcnt vmcnt(3)
	ds_write_b64 v27, v[7:8]
	s_waitcnt vmcnt(2)
	ds_write_b64 v27, v[31:32] offset:2112
	s_waitcnt vmcnt(1)
	ds_write_b64 v27, v[10:11] offset:4224
	;; [unrolled: 2-line block ×3, first 2 shown]
.LBB96_43:
	v_mul_u32_u24_e32 v6, 0x108, v28
	v_add_nc_u32_e32 v28, v20, v9
	v_lshl_add_u32 v5, v23, 3, v25
	s_waitcnt lgkmcnt(0)
	s_barrier
	buffer_gl0_inv
	s_and_saveexec_b32 s8, s2
	s_cbranch_execnz .LBB96_60
; %bb.44:
	s_or_b32 exec_lo, exec_lo, s8
	v_add_nc_u32_e32 v29, v20, v6
	s_and_saveexec_b32 s2, s3
	s_cbranch_execnz .LBB96_61
.LBB96_45:
	s_or_b32 exec_lo, exec_lo, s2
	s_and_saveexec_b32 s2, s4
	s_cbranch_execnz .LBB96_62
.LBB96_46:
	s_or_b32 exec_lo, exec_lo, s2
	v_add_nc_u32_e32 v30, 0x2380, v30
	s_and_saveexec_b32 s2, s5
	s_cbranch_execz .LBB96_48
.LBB96_47:
	ds_read_b64 v[6:7], v21
	s_waitcnt lgkmcnt(0)
	ds_write_b64 v5, v[6:7] offset:24
.LBB96_48:
	s_or_b32 exec_lo, exec_lo, s2
	s_waitcnt lgkmcnt(0)
	s_barrier
	buffer_gl0_inv
	ds_read_b64 v[18:19], v28
	ds_read_b128 v[5:8], v30 offset:256
	ds_read_b128 v[9:12], v30 offset:272
	ds_read_b64 v[35:36], v21
	ds_read2_b64 v[31:34], v29 offset1:33
	v_cmp_eq_u32_e64 s2, 1, v13
	s_waitcnt lgkmcnt(0)
	s_barrier
	buffer_gl0_inv
	v_fma_f64 v[5:6], v[18:19], v[5:6], 0
	v_fma_f64 v[5:6], v[31:32], v[7:8], v[5:6]
	;; [unrolled: 1-line block ×4, first 2 shown]
	ds_write_b64 v26, v[5:6]
	s_waitcnt lgkmcnt(0)
	s_barrier
	buffer_gl0_inv
	s_and_saveexec_b32 s3, s2
	s_cbranch_execz .LBB96_50
; %bb.49:
	ds_read2_b64 v[5:8], v25 offset1:1
	ds_read2_b64 v[9:12], v25 offset0:2 offset1:3
	s_waitcnt lgkmcnt(1)
	v_add_f64 v[5:6], v[5:6], v[7:8]
	s_waitcnt lgkmcnt(0)
	v_add_f64 v[5:6], v[5:6], v[9:10]
	v_add_f64 v[18:19], v[5:6], v[11:12]
	ds_read2_b64 v[5:8], v25 offset0:4 offset1:5
	ds_read2_b64 v[9:12], v25 offset0:6 offset1:7
	s_waitcnt lgkmcnt(1)
	v_add_f64 v[5:6], v[18:19], v[5:6]
	v_add_f64 v[5:6], v[5:6], v[7:8]
	s_waitcnt lgkmcnt(0)
	v_add_f64 v[5:6], v[5:6], v[9:10]
	v_add_f64 v[59:60], v[5:6], v[11:12]
.LBB96_50:
	s_or_b32 exec_lo, exec_lo, s3
	v_add_co_u32 v5, vcc_lo, 0xffffff00, v3
	v_add_co_ci_u32_e64 v6, null, -1, v4, vcc_lo
	s_and_b32 vcc_lo, exec_lo, s19
	s_barrier
	buffer_gl0_inv
	s_cbranch_vccz .LBB96_63
; %bb.51:
	v_sub_co_u32 v7, vcc_lo, v3, v20
	s_ashr_i32 s11, s10, 31
	v_subrev_co_ci_u32_e64 v8, null, 0, v4, vcc_lo
	s_lshl_b64 s[4:5], s[10:11], 3
	v_mov_b32_e32 v11, 0
	v_add_co_u32 v7, vcc_lo, v7, s4
	v_add_co_ci_u32_e64 v8, null, s5, v8, vcc_lo
	v_mov_b32_e32 v9, 0
	v_add_co_u32 v7, vcc_lo, 0xfffffef8, v7
	v_add_co_ci_u32_e64 v8, null, -1, v8, vcc_lo
	v_cmp_gt_i32_e32 vcc_lo, s10, v2
	v_mov_b32_e32 v12, 0
	v_mov_b32_e32 v10, 0
	s_sub_i32 s8, s10, 32
	s_mov_b32 s11, exec_lo
	v_cndmask_b32_e32 v8, v8, v6, vcc_lo
	v_cndmask_b32_e32 v7, v7, v5, vcc_lo
	v_cmpx_gt_i32_e64 s8, v13
	s_cbranch_execz .LBB96_53
; %bb.52:
	global_load_dwordx2 v[9:10], v[7:8], off
.LBB96_53:
	s_or_b32 exec_lo, exec_lo, s11
	v_add_nc_u32_e32 v2, 8, v13
	s_mov_b32 s11, exec_lo
	s_waitcnt vmcnt(0)
	ds_write_b64 v27, v[9:10]
	v_cmpx_gt_i32_e64 s8, v2
	s_cbranch_execz .LBB96_55
; %bb.54:
	s_lshl_b32 s22, s12, 3
	s_ashr_i32 s23, s22, 31
	s_lshl_b64 s[22:23], s[22:23], 3
	v_add_co_u32 v9, s3, v7, s22
	v_add_co_ci_u32_e64 v10, null, s23, v8, s3
	global_load_dwordx2 v[11:12], v[9:10], off
.LBB96_55:
	s_or_b32 exec_lo, exec_lo, s11
	v_mov_b32_e32 v9, 0
	v_mov_b32_e32 v18, 0
	v_add_nc_u32_e32 v23, 16, v13
	v_add_nc_u32_e32 v22, v22, v20
	v_mov_b32_e32 v10, 0
	v_mov_b32_e32 v19, 0
	s_mov_b32 s11, exec_lo
	s_waitcnt vmcnt(0)
	ds_write_b64 v22, v[11:12] offset:2112
	v_cmpx_gt_i32_e64 s8, v23
	s_cbranch_execz .LBB96_57
; %bb.56:
	s_lshl_b32 s22, s12, 4
	s_ashr_i32 s23, s22, 31
	s_lshl_b64 s[22:23], s[22:23], 3
	v_add_co_u32 v11, s3, v7, s22
	v_add_co_ci_u32_e64 v12, null, s23, v8, s3
	global_load_dwordx2 v[18:19], v[11:12], off
.LBB96_57:
	s_or_b32 exec_lo, exec_lo, s11
	v_add_nc_u32_e32 v11, 24, v13
	s_waitcnt vmcnt(0)
	ds_write_b64 v22, v[18:19] offset:4224
	v_cmp_gt_i32_e64 s3, s8, v11
	s_and_saveexec_b32 s8, s3
	s_cbranch_execz .LBB96_59
; %bb.58:
	s_mul_i32 s22, s12, 24
	s_ashr_i32 s23, s22, 31
	s_lshl_b64 s[22:23], s[22:23], 3
	v_add_co_u32 v9, s3, v7, s22
	v_add_co_ci_u32_e64 v10, null, s23, v8, s3
	global_load_dwordx2 v[9:10], v[9:10], off
.LBB96_59:
	s_or_b32 exec_lo, exec_lo, s8
	v_add_co_u32 v7, s3, v7, v20
	v_add_co_ci_u32_e64 v8, null, 0, v8, s3
	s_waitcnt vmcnt(0)
	ds_write_b64 v22, v[9:10] offset:6336
	v_sub_co_u32 v7, s3, v7, s4
	v_subrev_co_ci_u32_e64 v8, null, s5, v8, s3
	v_add_co_u32 v7, s3, v7, 8
	v_add_co_ci_u32_e64 v8, null, 0, v8, s3
	v_cndmask_b32_e32 v18, v7, v5, vcc_lo
	v_cndmask_b32_e32 v19, v8, v6, vcc_lo
	s_branch .LBB96_65
.LBB96_60:
	ds_read_b64 v[7:8], v28
	s_waitcnt lgkmcnt(0)
	ds_write_b64 v5, v[7:8]
	s_or_b32 exec_lo, exec_lo, s8
	v_add_nc_u32_e32 v29, v20, v6
	s_and_saveexec_b32 s2, s3
	s_cbranch_execz .LBB96_45
.LBB96_61:
	ds_read_b64 v[6:7], v29
	s_waitcnt lgkmcnt(0)
	ds_write_b64 v5, v[6:7] offset:8
	s_or_b32 exec_lo, exec_lo, s2
	s_and_saveexec_b32 s2, s4
	s_cbranch_execz .LBB96_46
.LBB96_62:
	ds_read_b64 v[6:7], v29 offset:264
	s_waitcnt lgkmcnt(0)
	ds_write_b64 v5, v[6:7] offset:16
	s_or_b32 exec_lo, exec_lo, s2
	v_add_nc_u32_e32 v30, 0x2380, v30
	s_and_saveexec_b32 s2, s5
	s_cbranch_execnz .LBB96_47
	s_branch .LBB96_48
.LBB96_63:
                                        ; implicit-def: $vgpr18_vgpr19
                                        ; implicit-def: $vgpr2
                                        ; implicit-def: $vgpr23
                                        ; implicit-def: $vgpr11
	s_cbranch_execz .LBB96_65
; %bb.64:
	s_lshl_b32 s4, s12, 3
	s_ashr_i32 s13, s12, 31
	s_ashr_i32 s5, s4, 31
	v_mov_b32_e32 v19, v6
	s_lshl_b64 s[4:5], s[4:5], 3
	v_add_nc_u32_e32 v2, 8, v13
	v_add_co_u32 v7, vcc_lo, v3, s4
	v_add_co_ci_u32_e64 v8, null, s5, v4, vcc_lo
	s_lshl_b64 s[4:5], s[12:13], 6
	v_add_nc_u32_e32 v23, 16, v13
	v_add_co_u32 v9, vcc_lo, v7, s4
	v_add_co_ci_u32_e64 v10, null, s5, v8, vcc_lo
	v_mov_b32_e32 v18, v5
	v_add_co_u32 v11, vcc_lo, v9, s4
	v_add_co_ci_u32_e64 v12, null, s5, v10, vcc_lo
	s_clause 0x3
	global_load_dwordx2 v[3:4], v[3:4], off offset:-256
	global_load_dwordx2 v[7:8], v[7:8], off offset:-256
	;; [unrolled: 1-line block ×4, first 2 shown]
	v_add_nc_u32_e32 v11, 24, v13
	s_waitcnt vmcnt(3)
	ds_write_b64 v27, v[3:4]
	s_waitcnt vmcnt(2)
	ds_write_b64 v27, v[7:8] offset:2112
	s_waitcnt vmcnt(1)
	ds_write_b64 v27, v[9:10] offset:4224
	;; [unrolled: 2-line block ×3, first 2 shown]
.LBB96_65:
	v_lshlrev_b32_e32 v6, 3, v13
	v_lshlrev_b32_e32 v8, 3, v2
	s_waitcnt lgkmcnt(0)
	s_barrier
	buffer_gl0_inv
	v_add_nc_u32_e32 v3, v25, v6
	v_lshlrev_b32_e32 v10, 3, v23
	v_lshlrev_b32_e32 v12, 3, v11
	ds_read_b64 v[2:3], v3
	ds_read_b64 v[4:5], v8 offset:9088
	ds_read_b64 v[6:7], v6 offset:9088
	v_add_nc_u32_e32 v8, v25, v8
	ds_read_b64 v[20:21], v21
	v_add_nc_u32_e32 v13, v25, v10
	s_waitcnt lgkmcnt(1)
	v_fma_f64 v[2:3], v[2:3], v[6:7], 0
	ds_read_b64 v[6:7], v8
	ds_read_b64 v[8:9], v12 offset:9088
	ds_read_b64 v[10:11], v10 offset:9088
	s_waitcnt lgkmcnt(2)
	v_fma_f64 v[2:3], v[6:7], v[4:5], v[2:3]
	ds_read_b64 v[4:5], v13
	v_add_nc_u32_e32 v6, v25, v12
	s_waitcnt lgkmcnt(0)
	v_fma_f64 v[2:3], v[4:5], v[10:11], v[2:3]
	ds_read_b64 v[4:5], v6
	ds_read_b64 v[22:23], v28
	s_waitcnt lgkmcnt(1)
	v_fma_f64 v[27:28], v[4:5], v[8:9], v[2:3]
	ds_read_b128 v[10:13], v30 offset:256
	ds_read_b128 v[2:5], v30 offset:272
	ds_read2_b64 v[6:9], v29 offset1:33
	s_waitcnt lgkmcnt(0)
	s_barrier
	buffer_gl0_inv
	ds_write_b64 v26, v[27:28]
	s_waitcnt lgkmcnt(0)
	s_barrier
	buffer_gl0_inv
	s_and_saveexec_b32 s3, s2
	s_cbranch_execz .LBB96_67
; %bb.66:
	ds_read2_b64 v[27:30], v25 offset1:1
	ds_read2_b64 v[31:34], v25 offset0:2 offset1:3
	s_waitcnt lgkmcnt(1)
	v_add_f64 v[27:28], v[59:60], v[27:28]
	v_add_f64 v[27:28], v[27:28], v[29:30]
	s_waitcnt lgkmcnt(0)
	v_add_f64 v[27:28], v[27:28], v[31:32]
	v_add_f64 v[35:36], v[27:28], v[33:34]
	ds_read2_b64 v[27:30], v25 offset0:4 offset1:5
	ds_read2_b64 v[31:34], v25 offset0:6 offset1:7
	s_waitcnt lgkmcnt(1)
	v_add_f64 v[27:28], v[35:36], v[27:28]
	v_add_f64 v[27:28], v[27:28], v[29:30]
	s_waitcnt lgkmcnt(0)
	v_add_f64 v[27:28], v[27:28], v[31:32]
	v_add_f64 v[59:60], v[27:28], v[33:34]
.LBB96_67:
	s_or_b32 exec_lo, exec_lo, s3
	v_fma_f64 v[10:11], v[22:23], v[10:11], 0
	s_barrier
	buffer_gl0_inv
	v_fma_f64 v[6:7], v[6:7], v[12:13], v[10:11]
	v_fma_f64 v[2:3], v[8:9], v[2:3], v[6:7]
	v_fma_f64 v[2:3], v[20:21], v[4:5], v[2:3]
	ds_write_b64 v26, v[2:3]
	s_waitcnt lgkmcnt(0)
	s_barrier
	buffer_gl0_inv
	s_and_saveexec_b32 s2, s1
	s_cbranch_execz .LBB96_69
; %bb.68:
	ds_read2_b64 v[2:5], v25 offset1:1
	ds_read2_b64 v[6:9], v25 offset0:2 offset1:3
	s_waitcnt lgkmcnt(1)
	v_add_f64 v[2:3], v[59:60], v[2:3]
	v_add_f64 v[2:3], v[2:3], v[4:5]
	s_waitcnt lgkmcnt(0)
	v_add_f64 v[2:3], v[2:3], v[6:7]
	v_add_f64 v[10:11], v[2:3], v[8:9]
	ds_read2_b64 v[2:5], v25 offset0:4 offset1:5
	ds_read2_b64 v[6:9], v25 offset0:6 offset1:7
	s_waitcnt lgkmcnt(1)
	v_add_f64 v[2:3], v[10:11], v[2:3]
	v_add_f64 v[2:3], v[2:3], v[4:5]
	s_waitcnt lgkmcnt(0)
	v_add_f64 v[2:3], v[2:3], v[6:7]
	v_add_f64 v[59:60], v[2:3], v[8:9]
.LBB96_69:
	s_or_b32 exec_lo, exec_lo, s2
	s_mul_hi_u32 s1, s9, s7
	s_mul_i32 s25, s25, s7
	s_mul_i32 s2, s9, s7
	s_add_i32 s1, s1, s25
	s_mul_hi_u32 s3, s2, s26
	s_mul_i32 s1, s1, s26
	s_mul_i32 s2, s2, s26
	s_add_i32 s3, s3, s1
	s_mul_hi_i32 s5, s9, s6
	s_lshl_b64 s[2:3], s[2:3], 3
	s_mul_i32 s4, s9, s6
	s_add_u32 s1, s14, s2
	s_addc_u32 s8, s15, s3
	s_lshl_b64 s[2:3], s[4:5], 3
	v_lshlrev_b32_e32 v95, 3, v0
	s_add_u32 s7, s1, s2
	s_addc_u32 s11, s8, s3
	s_add_i32 s4, s6, 1
	s_cmp_ge_u32 s4, s26
	s_barrier
	buffer_gl0_inv
	s_cbranch_scc1 .LBB96_126
; %bb.70:
	v_lshlrev_b32_e32 v96, 2, v1
	s_mul_i32 s2, s24, s18
	v_lshrrev_b32_e32 v8, 4, v24
	v_and_b32_e32 v5, 48, v0
	s_ashr_i32 s3, s2, 31
	v_mad_u64_u32 v[2:3], null, s12, v96, v[0:1]
	s_lshl_b64 s[2:3], s[2:3], 3
	v_and_b32_e32 v4, 15, v0
	v_sub_co_u32 v97, vcc_lo, v14, s2
	v_lshlrev_b32_e32 v6, 5, v8
	v_lshlrev_b32_e32 v5, 3, v5
	v_ashrrev_i32_e32 v3, 31, v2
	v_or_b32_e32 v7, 0x78, v95
	v_subrev_co_ci_u32_e64 v98, null, s3, v15, vcc_lo
	v_add_co_u32 v99, vcc_lo, v18, s16
	v_add_co_ci_u32_e64 v100, null, s17, v19, vcc_lo
	v_sub_co_u32 v104, vcc_lo, 0, v16
	v_mad_u32_u24 v101, 0x218, v4, v6
	v_mad_u32_u24 v102, 0x218, v4, v5
	;; [unrolled: 1-line block ×3, first 2 shown]
	v_lshlrev_b64 v[4:5], 3, v[2:3]
	v_sub_co_ci_u32_e64 v105, null, 0, v17, vcc_lo
	v_add_co_u32 v6, vcc_lo, s20, v2
	v_add_co_ci_u32_e64 v7, null, s21, v3, vcc_lo
	v_sub_co_u32 v106, vcc_lo, v4, v16
	v_sub_co_ci_u32_e64 v107, null, v5, v17, vcc_lo
	v_lshlrev_b64 v[4:5], 3, v[6:7]
	s_lshl_b32 s2, s12, 4
	s_ashr_i32 s13, s12, 31
	s_lshl_b32 s30, s24, 6
	s_ashr_i32 s3, s2, 31
	s_lshl_b32 s22, s12, 1
	s_mul_i32 s34, s12, 3
	s_mul_i32 s24, s24, s4
	;; [unrolled: 1-line block ×3, first 2 shown]
	s_lshl_b64 s[18:19], s[12:13], 4
	s_add_i32 s29, s26, -2
	s_ashr_i32 s23, s22, 31
	s_ashr_i32 s35, s34, 31
	s_lshl_b64 s[14:15], s[12:13], 3
	s_lshl_b32 s4, s24, 6
	s_lshl_b64 s[8:9], s[2:3], 5
	s_mul_hi_i32 s33, s12, 24
	v_add_co_u32 v6, vcc_lo, s36, v4
	s_add_u32 s5, s18, s16
	v_add_co_ci_u32_e64 v7, null, s33, v5, vcc_lo
	s_addc_u32 s31, s19, s17
	v_add_co_u32 v108, vcc_lo, v18, s5
	s_add_u32 s37, s14, s16
	v_add_co_ci_u32_e64 v109, null, s31, v19, vcc_lo
	v_add_co_u32 v110, vcc_lo, v18, v6
	s_addc_u32 s38, s15, s17
	s_lshl_b64 s[22:23], s[22:23], 3
	v_add_co_ci_u32_e64 v111, null, v19, v7, vcc_lo
	v_add_co_u32 v112, vcc_lo, v18, s37
	s_add_u32 s39, s16, s22
	s_addc_u32 s40, s17, s23
	s_lshl_b64 s[24:25], s[34:35], 3
	v_add_co_ci_u32_e64 v113, null, s38, v19, vcc_lo
	v_add_co_u32 v114, vcc_lo, v18, s39
	s_add_u32 s39, s16, s24
	v_add_co_ci_u32_e64 v115, null, s40, v19, vcc_lo
	s_addc_u32 s40, s17, s25
	s_lshl_b64 s[34:35], s[2:3], 3
	v_add_co_u32 v116, vcc_lo, v18, s39
	s_add_u32 s39, s16, s34
	v_add_co_ci_u32_e64 v117, null, s40, v19, vcc_lo
	s_addc_u32 s40, s17, s35
	v_add_co_u32 v118, vcc_lo, v18, s39
	s_add_u32 s37, s37, s34
	s_addc_u32 s38, s38, s35
	v_add_co_ci_u32_e64 v119, null, s40, v19, vcc_lo
	v_add_co_u32 v120, vcc_lo, v18, s37
	s_add_u32 s37, s39, s22
	v_add_co_ci_u32_e64 v121, null, s38, v19, vcc_lo
	s_addc_u32 s38, s40, s23
	v_add_co_u32 v122, vcc_lo, v18, s37
	s_add_u32 s37, s39, s24
	v_add_co_ci_u32_e64 v123, null, s38, v19, vcc_lo
	s_addc_u32 s38, s40, s25
	s_add_u32 s34, s5, s34
	s_addc_u32 s35, s31, s35
	s_add_u32 s20, s20, s2
	s_addc_u32 s21, s21, s3
	v_add_co_u32 v2, vcc_lo, s20, v2
	v_add_co_ci_u32_e64 v3, null, s21, v3, vcc_lo
	v_add_co_u32 v124, vcc_lo, v18, s37
	v_add_co_ci_u32_e64 v125, null, s38, v19, vcc_lo
	v_lshlrev_b64 v[2:3], 3, v[2:3]
	v_add_co_u32 v126, vcc_lo, v18, s34
	s_lshl_b64 s[20:21], s[2:3], 4
	v_add_co_ci_u32_e64 v127, null, s35, v19, vcc_lo
	v_add_co_u32 v2, vcc_lo, s36, v2
	s_add_u32 s16, s20, s16
	v_add_co_ci_u32_e64 v3, null, s33, v3, vcc_lo
	s_addc_u32 s17, s21, s17
	s_add_u32 s34, s16, s14
	s_addc_u32 s35, s17, s15
	v_add_co_u32 v128, vcc_lo, v18, v2
	s_add_u32 s37, s16, s22
	s_addc_u32 s38, s17, s23
	v_add_co_ci_u32_e64 v129, null, v19, v3, vcc_lo
	s_add_u32 s39, s16, s24
	v_mad_i64_i32 v[2:3], null, s2, 24, v[4:5]
	s_addc_u32 s40, s17, s25
	s_add_u32 s5, s5, s20
	s_addc_u32 s31, s31, s21
	s_add_u32 s20, s36, s20
	s_addc_u32 s21, s33, s21
	v_add_co_u32 v9, vcc_lo, s20, v4
	v_add_co_ci_u32_e64 v10, null, s21, v5, vcc_lo
	v_add_co_u32 v130, vcc_lo, v18, v2
	s_mul_i32 s20, s12, 0x180
	s_mul_hi_i32 s21, s2, 24
	v_add_co_ci_u32_e64 v131, null, v19, v3, vcc_lo
	v_add_co_u32 v11, vcc_lo, v2, s14
	s_add_u32 s14, s20, s18
	v_add_co_ci_u32_e64 v12, null, s15, v3, vcc_lo
	s_addc_u32 s15, s21, s19
	s_add_u32 s2, s12, s2
	v_add_co_u32 v13, vcc_lo, v2, s22
	v_mad_u64_u32 v[6:7], null, s2, 24, v[4:5]
	v_add_co_ci_u32_e64 v14, null, s23, v3, vcc_lo
	v_add_co_u32 v15, vcc_lo, v2, s24
	v_add_co_ci_u32_e64 v16, null, s25, v3, vcc_lo
	v_add_co_u32 v4, vcc_lo, s14, v4
	v_add_co_ci_u32_e64 v5, null, s15, v5, vcc_lo
	v_add_co_u32 v132, vcc_lo, v18, s16
	v_mov_b32_e32 v2, v7
	v_add_co_ci_u32_e64 v133, null, s17, v19, vcc_lo
	v_add_co_u32 v134, vcc_lo, v18, v9
	s_addc_u32 s2, s13, s3
	v_add_co_ci_u32_e64 v135, null, v19, v10, vcc_lo
	v_add_co_u32 v136, vcc_lo, v18, v11
	v_mad_u64_u32 v[2:3], null, s2, 24, v[2:3]
	v_add_co_ci_u32_e64 v137, null, v19, v12, vcc_lo
	v_add_co_u32 v138, vcc_lo, v18, v13
	v_add_co_ci_u32_e64 v139, null, v19, v14, vcc_lo
	v_add_co_u32 v140, vcc_lo, v18, v15
	;; [unrolled: 2-line block ×6, first 2 shown]
	v_mul_i32_i24_e32 v2, 0xffffffe8, v8
	v_add_co_ci_u32_e64 v149, null, s38, v19, vcc_lo
	v_add_co_u32 v150, vcc_lo, v18, s39
	v_add_co_ci_u32_e64 v151, null, s40, v19, vcc_lo
	v_add_co_u32 v152, vcc_lo, v18, s5
	v_cmp_gt_u32_e64 s1, 64, v24
	v_add_co_ci_u32_e64 v153, null, s31, v19, vcc_lo
	v_add_nc_u32_e32 v154, v101, v2
	v_add_nc_u32_e32 v155, 0x2180, v95
	v_lshl_add_u32 v156, v1, 5, 0x2180
	v_add_nc_u32_e32 v157, 0x2380, v95
	v_mad_u32_u24 v158, 0x860, v1, v95
	v_or_b32_e32 v159, 1, v96
	v_or_b32_e32 v160, 2, v96
	v_or_b32_e32 v161, 3, v96
	v_add_nc_u32_e32 v162, 16, v96
	v_add_nc_u32_e32 v163, 17, v96
	;; [unrolled: 1-line block ×13, first 2 shown]
	s_cmp_eq_u32 s29, s6
	s_cselect_b32 s3, s27, 0
	s_and_saveexec_b32 s2, s0
	s_cbranch_execz .LBB96_74
.LBB96_71:
	v_cmp_gt_i32_e32 vcc_lo, s3, v0
	s_cmp_eq_u32 s3, 0
	v_mov_b32_e32 v2, 0
	v_mov_b32_e32 v3, 0
	s_cselect_b32 s5, -1, 0
	s_or_b32 s5, s5, vcc_lo
	s_and_saveexec_b32 s12, s5
	s_cbranch_execz .LBB96_73
; %bb.72:
	s_ashr_i32 s5, s4, 31
	s_lshl_b64 s[14:15], s[4:5], 3
	v_add_co_u32 v2, vcc_lo, v97, s14
	v_add_co_ci_u32_e64 v3, null, s15, v98, vcc_lo
	global_load_dwordx2 v[2:3], v[2:3], off
.LBB96_73:
	s_or_b32 exec_lo, exec_lo, s12
	s_waitcnt vmcnt(0)
	ds_write_b64 v155, v[2:3]
.LBB96_74:                              ; =>This Inner Loop Header: Depth=1
	s_or_b32 exec_lo, exec_lo, s2
	s_cmp_eq_u32 s3, 0
	v_add_co_u32 v2, vcc_lo, v99, v106
	s_cselect_b32 s5, -1, 0
	s_cmp_lg_u32 s3, 0
	v_add_co_ci_u32_e64 v3, null, v100, v107, vcc_lo
	s_cselect_b32 s2, -1, 0
	s_mov_b32 s12, -1
	s_and_b32 vcc_lo, exec_lo, s2
	s_waitcnt lgkmcnt(0)
	s_barrier
	buffer_gl0_inv
                                        ; implicit-def: $vgpr69_vgpr70
                                        ; implicit-def: $vgpr67_vgpr68
                                        ; implicit-def: $vgpr65_vgpr66
                                        ; implicit-def: $vgpr63_vgpr64
	s_cbranch_vccz .LBB96_84
; %bb.75:                               ;   in Loop: Header=BB96_74 Depth=1
	v_mov_b32_e32 v65, 0
	v_mov_b32_e32 v63, 0
	;; [unrolled: 1-line block ×4, first 2 shown]
	s_mov_b32 s12, exec_lo
	v_cmpx_gt_i32_e64 s3, v96
	s_cbranch_execz .LBB96_77
; %bb.76:                               ;   in Loop: Header=BB96_74 Depth=1
	global_load_dwordx2 v[63:64], v[2:3], off
.LBB96_77:                              ;   in Loop: Header=BB96_74 Depth=1
	s_or_b32 exec_lo, exec_lo, s12
	s_mov_b32 s12, exec_lo
	v_cmpx_gt_i32_e64 s3, v159
	s_cbranch_execz .LBB96_79
; %bb.78:                               ;   in Loop: Header=BB96_74 Depth=1
	v_add_co_u32 v4, vcc_lo, v112, v106
	v_add_co_ci_u32_e64 v5, null, v113, v107, vcc_lo
	global_load_dwordx2 v[65:66], v[4:5], off
.LBB96_79:                              ;   in Loop: Header=BB96_74 Depth=1
	s_or_b32 exec_lo, exec_lo, s12
	v_mov_b32_e32 v69, 0
	v_mov_b32_e32 v67, 0
	;; [unrolled: 1-line block ×4, first 2 shown]
	s_mov_b32 s12, exec_lo
	v_cmpx_gt_i32_e64 s3, v160
	s_cbranch_execz .LBB96_81
; %bb.80:                               ;   in Loop: Header=BB96_74 Depth=1
	v_add_co_u32 v4, vcc_lo, v114, v106
	v_add_co_ci_u32_e64 v5, null, v115, v107, vcc_lo
	global_load_dwordx2 v[67:68], v[4:5], off
.LBB96_81:                              ;   in Loop: Header=BB96_74 Depth=1
	s_or_b32 exec_lo, exec_lo, s12
	s_mov_b32 s12, exec_lo
	v_cmpx_gt_i32_e64 s3, v161
	s_cbranch_execz .LBB96_83
; %bb.82:                               ;   in Loop: Header=BB96_74 Depth=1
	v_add_co_u32 v4, vcc_lo, v116, v106
	v_add_co_ci_u32_e64 v5, null, v117, v107, vcc_lo
	global_load_dwordx2 v[69:70], v[4:5], off
.LBB96_83:                              ;   in Loop: Header=BB96_74 Depth=1
	s_or_b32 exec_lo, exec_lo, s12
	s_mov_b32 s12, 0
.LBB96_84:                              ;   in Loop: Header=BB96_74 Depth=1
	s_and_b32 vcc_lo, exec_lo, s12
	s_cbranch_vccz .LBB96_86
; %bb.85:                               ;   in Loop: Header=BB96_74 Depth=1
	v_add_co_u32 v4, vcc_lo, v112, v106
	v_add_co_ci_u32_e64 v5, null, v113, v107, vcc_lo
	v_add_co_u32 v6, vcc_lo, v108, v106
	v_add_co_ci_u32_e64 v7, null, v109, v107, vcc_lo
	;; [unrolled: 2-line block ×3, first 2 shown]
	global_load_dwordx2 v[63:64], v[2:3], off
	global_load_dwordx2 v[65:66], v[4:5], off
	;; [unrolled: 1-line block ×4, first 2 shown]
.LBB96_86:                              ;   in Loop: Header=BB96_74 Depth=1
	ds_read_b64 v[2:3], v157
	v_add_co_u32 v18, vcc_lo, v118, v106
	v_cndmask_b32_e64 v42, 0, 1, s2
	v_add_co_ci_u32_e64 v19, null, v119, v107, vcc_lo
	s_andn2_b32 vcc_lo, exec_lo, s2
	s_mov_b32 s2, -1
                                        ; implicit-def: $vgpr77_vgpr78
                                        ; implicit-def: $vgpr75_vgpr76
                                        ; implicit-def: $vgpr73_vgpr74
                                        ; implicit-def: $vgpr71_vgpr72
	s_waitcnt vmcnt(0) lgkmcnt(0)
	v_mul_f64 v[10:11], v[63:64], v[2:3]
	v_mul_f64 v[12:13], v[65:66], v[2:3]
	;; [unrolled: 1-line block ×4, first 2 shown]
	ds_read_b128 v[6:9], v156
	ds_read_b128 v[2:5], v156 offset:16
	ds_write2_b64 v158, v[10:11], v[12:13] offset1:67
	ds_write2_b64 v158, v[14:15], v[16:17] offset0:134 offset1:201
	s_waitcnt lgkmcnt(0)
	s_barrier
	buffer_gl0_inv
	ds_read2_b64 v[14:17], v101 offset1:1
	ds_read2_b64 v[10:13], v101 offset0:2 offset1:3
	s_waitcnt lgkmcnt(0)
	s_barrier
	buffer_gl0_inv
	s_cbranch_vccnz .LBB96_96
; %bb.87:                               ;   in Loop: Header=BB96_74 Depth=1
	v_mov_b32_e32 v73, 0
	v_mov_b32_e32 v71, 0
	v_mov_b32_e32 v74, 0
	v_mov_b32_e32 v72, 0
	s_mov_b32 s2, exec_lo
	v_cmpx_gt_i32_e64 s3, v162
	s_cbranch_execz .LBB96_89
; %bb.88:                               ;   in Loop: Header=BB96_74 Depth=1
	global_load_dwordx2 v[71:72], v[18:19], off
.LBB96_89:                              ;   in Loop: Header=BB96_74 Depth=1
	s_or_b32 exec_lo, exec_lo, s2
	s_mov_b32 s2, exec_lo
	v_cmpx_gt_i32_e64 s3, v163
	s_cbranch_execz .LBB96_91
; %bb.90:                               ;   in Loop: Header=BB96_74 Depth=1
	v_add_co_u32 v20, vcc_lo, v120, v106
	v_add_co_ci_u32_e64 v21, null, v121, v107, vcc_lo
	global_load_dwordx2 v[73:74], v[20:21], off
.LBB96_91:                              ;   in Loop: Header=BB96_74 Depth=1
	s_or_b32 exec_lo, exec_lo, s2
	v_mov_b32_e32 v77, 0
	v_mov_b32_e32 v75, 0
	;; [unrolled: 1-line block ×4, first 2 shown]
	s_mov_b32 s2, exec_lo
	v_cmpx_gt_i32_e64 s3, v164
	s_cbranch_execz .LBB96_93
; %bb.92:                               ;   in Loop: Header=BB96_74 Depth=1
	v_add_co_u32 v20, vcc_lo, v122, v106
	v_add_co_ci_u32_e64 v21, null, v123, v107, vcc_lo
	global_load_dwordx2 v[75:76], v[20:21], off
.LBB96_93:                              ;   in Loop: Header=BB96_74 Depth=1
	s_or_b32 exec_lo, exec_lo, s2
	s_mov_b32 s2, exec_lo
	v_cmpx_gt_i32_e64 s3, v165
	s_cbranch_execz .LBB96_95
; %bb.94:                               ;   in Loop: Header=BB96_74 Depth=1
	v_add_co_u32 v20, vcc_lo, v124, v106
	v_add_co_ci_u32_e64 v21, null, v125, v107, vcc_lo
	global_load_dwordx2 v[77:78], v[20:21], off
.LBB96_95:                              ;   in Loop: Header=BB96_74 Depth=1
	s_or_b32 exec_lo, exec_lo, s2
	s_mov_b32 s2, 0
.LBB96_96:                              ;   in Loop: Header=BB96_74 Depth=1
	s_and_b32 vcc_lo, exec_lo, s2
	s_cbranch_vccz .LBB96_98
; %bb.97:                               ;   in Loop: Header=BB96_74 Depth=1
	v_add_co_u32 v20, vcc_lo, v120, v106
	v_add_co_ci_u32_e64 v21, null, v121, v107, vcc_lo
	v_add_co_u32 v22, vcc_lo, v126, v106
	v_add_co_ci_u32_e64 v23, null, v127, v107, vcc_lo
	v_add_co_u32 v24, vcc_lo, v128, v104
	v_add_co_ci_u32_e64 v25, null, v129, v105, vcc_lo
	global_load_dwordx2 v[71:72], v[18:19], off
	global_load_dwordx2 v[73:74], v[20:21], off
	;; [unrolled: 1-line block ×4, first 2 shown]
.LBB96_98:                              ;   in Loop: Header=BB96_74 Depth=1
	ds_read_b64 v[18:19], v157
	v_cmp_ne_u32_e32 vcc_lo, 1, v42
	v_add_co_u32 v34, s2, v132, v106
	v_add_co_ci_u32_e64 v35, null, v133, v107, s2
	s_and_b32 vcc_lo, exec_lo, vcc_lo
	s_mov_b32 s2, -1
                                        ; implicit-def: $vgpr85_vgpr86
                                        ; implicit-def: $vgpr83_vgpr84
                                        ; implicit-def: $vgpr81_vgpr82
                                        ; implicit-def: $vgpr79_vgpr80
	s_waitcnt vmcnt(0) lgkmcnt(0)
	v_mul_f64 v[26:27], v[71:72], v[18:19]
	v_mul_f64 v[28:29], v[73:74], v[18:19]
	;; [unrolled: 1-line block ×4, first 2 shown]
	ds_read_b128 v[22:25], v156 offset:128
	ds_read_b128 v[18:21], v156 offset:144
	ds_write2_b64 v158, v[26:27], v[28:29] offset1:67
	ds_write2_b64 v158, v[30:31], v[32:33] offset0:134 offset1:201
	s_waitcnt lgkmcnt(0)
	s_barrier
	buffer_gl0_inv
	ds_read2_b64 v[30:33], v101 offset1:1
	ds_read2_b64 v[26:29], v101 offset0:2 offset1:3
	s_waitcnt lgkmcnt(0)
	s_barrier
	buffer_gl0_inv
	s_cbranch_vccnz .LBB96_108
; %bb.99:                               ;   in Loop: Header=BB96_74 Depth=1
	v_mov_b32_e32 v81, 0
	v_mov_b32_e32 v79, 0
	;; [unrolled: 1-line block ×4, first 2 shown]
	s_mov_b32 s2, exec_lo
	v_cmpx_gt_i32_e64 s3, v166
	s_cbranch_execz .LBB96_101
; %bb.100:                              ;   in Loop: Header=BB96_74 Depth=1
	global_load_dwordx2 v[79:80], v[34:35], off
.LBB96_101:                             ;   in Loop: Header=BB96_74 Depth=1
	s_or_b32 exec_lo, exec_lo, s2
	s_mov_b32 s2, exec_lo
	v_cmpx_gt_i32_e64 s3, v167
	s_cbranch_execz .LBB96_103
; %bb.102:                              ;   in Loop: Header=BB96_74 Depth=1
	v_add_co_u32 v36, vcc_lo, v146, v106
	v_add_co_ci_u32_e64 v37, null, v147, v107, vcc_lo
	global_load_dwordx2 v[81:82], v[36:37], off
.LBB96_103:                             ;   in Loop: Header=BB96_74 Depth=1
	s_or_b32 exec_lo, exec_lo, s2
	v_mov_b32_e32 v85, 0
	v_mov_b32_e32 v83, 0
	;; [unrolled: 1-line block ×4, first 2 shown]
	s_mov_b32 s2, exec_lo
	v_cmpx_gt_i32_e64 s3, v168
	s_cbranch_execz .LBB96_105
; %bb.104:                              ;   in Loop: Header=BB96_74 Depth=1
	v_add_co_u32 v36, vcc_lo, v148, v106
	v_add_co_ci_u32_e64 v37, null, v149, v107, vcc_lo
	global_load_dwordx2 v[83:84], v[36:37], off
.LBB96_105:                             ;   in Loop: Header=BB96_74 Depth=1
	s_or_b32 exec_lo, exec_lo, s2
	s_mov_b32 s2, exec_lo
	v_cmpx_gt_i32_e64 s3, v169
	s_cbranch_execz .LBB96_107
; %bb.106:                              ;   in Loop: Header=BB96_74 Depth=1
	v_add_co_u32 v36, vcc_lo, v150, v106
	v_add_co_ci_u32_e64 v37, null, v151, v107, vcc_lo
	global_load_dwordx2 v[85:86], v[36:37], off
.LBB96_107:                             ;   in Loop: Header=BB96_74 Depth=1
	s_or_b32 exec_lo, exec_lo, s2
	s_mov_b32 s2, 0
.LBB96_108:                             ;   in Loop: Header=BB96_74 Depth=1
	s_and_b32 vcc_lo, exec_lo, s2
	s_cbranch_vccz .LBB96_110
; %bb.109:                              ;   in Loop: Header=BB96_74 Depth=1
	v_add_co_u32 v36, vcc_lo, v146, v106
	v_add_co_ci_u32_e64 v37, null, v147, v107, vcc_lo
	v_add_co_u32 v38, vcc_lo, v152, v106
	v_add_co_ci_u32_e64 v39, null, v153, v107, vcc_lo
	;; [unrolled: 2-line block ×3, first 2 shown]
	global_load_dwordx2 v[79:80], v[34:35], off
	global_load_dwordx2 v[81:82], v[36:37], off
	;; [unrolled: 1-line block ×4, first 2 shown]
.LBB96_110:                             ;   in Loop: Header=BB96_74 Depth=1
	ds_read_b64 v[34:35], v157
	v_cmp_ne_u32_e32 vcc_lo, 1, v42
	v_add_co_u32 v42, s2, v130, v104
                                        ; implicit-def: $vgpr87_vgpr88
                                        ; implicit-def: $vgpr91_vgpr92
                                        ; implicit-def: $vgpr89_vgpr90
                                        ; implicit-def: $vgpr93_vgpr94
	s_and_b32 vcc_lo, exec_lo, vcc_lo
	s_waitcnt vmcnt(0) lgkmcnt(0)
	v_mul_f64 v[43:44], v[79:80], v[34:35]
	v_mul_f64 v[45:46], v[81:82], v[34:35]
	v_mul_f64 v[47:48], v[83:84], v[34:35]
	v_mul_f64 v[49:50], v[85:86], v[34:35]
	ds_read_b128 v[38:41], v156 offset:256
	ds_read_b128 v[34:37], v156 offset:272
	ds_write2_b64 v158, v[43:44], v[45:46] offset1:67
	ds_write2_b64 v158, v[47:48], v[49:50] offset0:134 offset1:201
	s_waitcnt lgkmcnt(0)
	s_barrier
	buffer_gl0_inv
	ds_read2_b64 v[54:57], v101 offset1:1
	ds_read2_b64 v[46:49], v101 offset0:2 offset1:3
	v_add_co_ci_u32_e64 v43, null, v131, v105, s2
	s_mov_b32 s2, -1
	s_waitcnt lgkmcnt(0)
	s_barrier
	buffer_gl0_inv
	s_cbranch_vccnz .LBB96_120
; %bb.111:                              ;   in Loop: Header=BB96_74 Depth=1
	v_mov_b32_e32 v89, 0
	v_mov_b32_e32 v93, 0
	;; [unrolled: 1-line block ×4, first 2 shown]
	s_mov_b32 s2, exec_lo
	v_cmpx_gt_i32_e64 s3, v170
	s_cbranch_execz .LBB96_113
; %bb.112:                              ;   in Loop: Header=BB96_74 Depth=1
	global_load_dwordx2 v[93:94], v[42:43], off
.LBB96_113:                             ;   in Loop: Header=BB96_74 Depth=1
	s_or_b32 exec_lo, exec_lo, s2
	s_mov_b32 s2, exec_lo
	v_cmpx_gt_i32_e64 s3, v171
	s_cbranch_execz .LBB96_115
; %bb.114:                              ;   in Loop: Header=BB96_74 Depth=1
	v_add_co_u32 v44, vcc_lo, v136, v104
	v_add_co_ci_u32_e64 v45, null, v137, v105, vcc_lo
	global_load_dwordx2 v[89:90], v[44:45], off
.LBB96_115:                             ;   in Loop: Header=BB96_74 Depth=1
	s_or_b32 exec_lo, exec_lo, s2
	v_mov_b32_e32 v87, 0
	v_mov_b32_e32 v91, 0
	;; [unrolled: 1-line block ×4, first 2 shown]
	s_mov_b32 s2, exec_lo
	v_cmpx_gt_i32_e64 s3, v172
	s_cbranch_execz .LBB96_117
; %bb.116:                              ;   in Loop: Header=BB96_74 Depth=1
	v_add_co_u32 v44, vcc_lo, v138, v104
	v_add_co_ci_u32_e64 v45, null, v139, v105, vcc_lo
	global_load_dwordx2 v[91:92], v[44:45], off
.LBB96_117:                             ;   in Loop: Header=BB96_74 Depth=1
	s_or_b32 exec_lo, exec_lo, s2
	s_mov_b32 s2, exec_lo
	v_cmpx_gt_i32_e64 s3, v173
	s_cbranch_execz .LBB96_119
; %bb.118:                              ;   in Loop: Header=BB96_74 Depth=1
	v_add_co_u32 v44, vcc_lo, v140, v104
	v_add_co_ci_u32_e64 v45, null, v141, v105, vcc_lo
	global_load_dwordx2 v[87:88], v[44:45], off
.LBB96_119:                             ;   in Loop: Header=BB96_74 Depth=1
	s_or_b32 exec_lo, exec_lo, s2
	s_mov_b32 s2, 0
.LBB96_120:                             ;   in Loop: Header=BB96_74 Depth=1
	s_and_b32 vcc_lo, exec_lo, s2
	s_cbranch_vccz .LBB96_122
; %bb.121:                              ;   in Loop: Header=BB96_74 Depth=1
	v_add_co_u32 v44, vcc_lo, v136, v104
	v_add_co_ci_u32_e64 v45, null, v137, v105, vcc_lo
	v_add_co_u32 v50, vcc_lo, v142, v104
	v_add_co_ci_u32_e64 v51, null, v143, v105, vcc_lo
	;; [unrolled: 2-line block ×3, first 2 shown]
	global_load_dwordx2 v[93:94], v[42:43], off
	global_load_dwordx2 v[89:90], v[44:45], off
	;; [unrolled: 1-line block ×4, first 2 shown]
.LBB96_122:                             ;   in Loop: Header=BB96_74 Depth=1
	ds_read_b64 v[42:43], v157
	v_add_f64 v[30:31], v[30:31], 0
	v_add_f64 v[14:15], v[14:15], 0
	;; [unrolled: 1-line block ×3, first 2 shown]
	v_cmp_gt_i32_e32 vcc_lo, s3, v0
	s_or_b32 s2, s5, vcc_lo
	s_and_b32 s3, s1, s2
	s_waitcnt vmcnt(0) lgkmcnt(0)
	v_mul_f64 v[174:175], v[93:94], v[42:43]
	v_mul_f64 v[176:177], v[89:90], v[42:43]
	;; [unrolled: 1-line block ×4, first 2 shown]
	ds_read_b128 v[50:53], v156 offset:384
	ds_read_b128 v[42:45], v156 offset:400
	v_add_f64 v[30:31], v[30:31], v[32:33]
	v_add_f64 v[14:15], v[14:15], v[16:17]
	;; [unrolled: 1-line block ×3, first 2 shown]
	ds_write2_b64 v158, v[174:175], v[176:177] offset1:67
	ds_write2_b64 v158, v[178:179], v[180:181] offset0:134 offset1:201
	s_waitcnt lgkmcnt(0)
	s_barrier
	buffer_gl0_inv
	ds_read2_b64 v[174:177], v101 offset1:1
	ds_read2_b64 v[178:181], v101 offset0:2 offset1:3
	v_add_f64 v[26:27], v[30:31], v[26:27]
	v_add_f64 v[10:11], v[14:15], v[10:11]
	;; [unrolled: 1-line block ×3, first 2 shown]
	s_waitcnt lgkmcnt(0)
	s_barrier
	buffer_gl0_inv
	v_add_f64 v[174:175], v[174:175], 0
	v_add_f64 v[26:27], v[26:27], v[28:29]
	;; [unrolled: 1-line block ×7, first 2 shown]
	ds_write2_b64 v154, v[10:11], v[26:27] offset1:16
	ds_write2_b64 v154, v[16:17], v[12:13] offset0:32 offset1:48
	s_waitcnt lgkmcnt(0)
	s_barrier
	buffer_gl0_inv
	s_and_saveexec_b32 s2, s3
	s_cbranch_execz .LBB96_124
; %bb.123:                              ;   in Loop: Header=BB96_74 Depth=1
	ds_read2_b64 v[10:13], v102 offset1:1
	ds_read2_b64 v[14:17], v102 offset0:2 offset1:3
	v_ashrrev_i32_e32 v62, 31, v61
	s_waitcnt lgkmcnt(1)
	v_add_f64 v[10:11], v[10:11], v[12:13]
	s_waitcnt lgkmcnt(0)
	v_add_f64 v[10:11], v[10:11], v[14:15]
	v_add_f64 v[26:27], v[10:11], v[16:17]
	ds_read2_b64 v[10:13], v102 offset0:4 offset1:5
	ds_read2_b64 v[14:17], v102 offset0:6 offset1:7
	s_waitcnt lgkmcnt(1)
	v_add_f64 v[10:11], v[26:27], v[10:11]
	v_add_f64 v[10:11], v[10:11], v[12:13]
	s_waitcnt lgkmcnt(0)
	v_add_f64 v[10:11], v[10:11], v[14:15]
	v_add_f64 v[26:27], v[10:11], v[16:17]
	ds_read2_b64 v[10:13], v102 offset0:8 offset1:9
	ds_read2_b64 v[14:17], v102 offset0:10 offset1:11
	s_waitcnt lgkmcnt(1)
	v_add_f64 v[10:11], v[26:27], v[10:11]
	v_add_f64 v[10:11], v[10:11], v[12:13]
	s_waitcnt lgkmcnt(0)
	v_add_f64 v[10:11], v[10:11], v[14:15]
	v_add_f64 v[14:15], v[10:11], v[16:17]
	ds_read2_b64 v[10:13], v102 offset0:12 offset1:13
	ds_read_b64 v[16:17], v102 offset:112
	s_waitcnt lgkmcnt(1)
	v_add_f64 v[10:11], v[14:15], v[10:11]
	v_add_f64 v[10:11], v[10:11], v[12:13]
	ds_read_b64 v[12:13], v103
	s_waitcnt lgkmcnt(1)
	v_add_f64 v[10:11], v[10:11], v[16:17]
	s_waitcnt lgkmcnt(0)
	v_add_f64 v[10:11], v[10:11], v[12:13]
	v_lshlrev_b64 v[12:13], 3, v[61:62]
	v_add_co_u32 v12, vcc_lo, s7, v12
	v_add_co_ci_u32_e64 v13, null, s11, v13, vcc_lo
	global_store_dwordx2 v[12:13], v[10:11], off
.LBB96_124:                             ;   in Loop: Header=BB96_74 Depth=1
	s_or_b32 exec_lo, exec_lo, s2
	v_fma_f64 v[6:7], v[63:64], v[6:7], v[59:60]
	v_add_co_u32 v99, vcc_lo, v99, s8
	v_add_co_ci_u32_e64 v100, null, s9, v100, vcc_lo
	v_add_co_u32 v108, vcc_lo, v108, s8
	v_add_co_ci_u32_e64 v109, null, s9, v109, vcc_lo
	;; [unrolled: 2-line block ×5, first 2 shown]
	v_add_co_u32 v116, vcc_lo, v116, s8
	v_fma_f64 v[6:7], v[65:66], v[8:9], v[6:7]
	v_add_co_ci_u32_e64 v117, null, s9, v117, vcc_lo
	v_add_co_u32 v118, vcc_lo, v118, s8
	v_add_co_ci_u32_e64 v119, null, s9, v119, vcc_lo
	v_add_co_u32 v120, vcc_lo, v120, s8
	v_add_co_ci_u32_e64 v121, null, s9, v121, vcc_lo
	v_add_co_u32 v122, vcc_lo, v122, s8
	v_add_co_ci_u32_e64 v123, null, s9, v123, vcc_lo
	v_add_co_u32 v124, vcc_lo, v124, s8
	v_add_co_ci_u32_e64 v125, null, s9, v125, vcc_lo
	v_add_co_u32 v126, vcc_lo, v126, s8
	v_add_co_ci_u32_e64 v127, null, s9, v127, vcc_lo
	v_fma_f64 v[2:3], v[67:68], v[2:3], v[6:7]
	v_add_co_u32 v128, vcc_lo, v128, s8
	v_add_co_ci_u32_e64 v129, null, s9, v129, vcc_lo
	v_add_co_u32 v132, vcc_lo, v132, s8
	v_add_co_ci_u32_e64 v133, null, s9, v133, vcc_lo
	;; [unrolled: 2-line block ×5, first 2 shown]
	v_add_co_u32 v152, vcc_lo, v152, s8
	v_fma_f64 v[2:3], v[69:70], v[4:5], v[2:3]
	v_add_co_ci_u32_e64 v153, null, s9, v153, vcc_lo
	v_add_co_u32 v134, vcc_lo, v134, s8
	v_add_co_ci_u32_e64 v135, null, s9, v135, vcc_lo
	v_add_co_u32 v130, vcc_lo, v130, s8
	v_add_co_ci_u32_e64 v131, null, s9, v131, vcc_lo
	v_add_co_u32 v136, vcc_lo, v136, s8
	v_add_co_ci_u32_e64 v137, null, s9, v137, vcc_lo
	v_add_co_u32 v138, vcc_lo, v138, s8
	v_add_co_ci_u32_e64 v139, null, s9, v139, vcc_lo
	v_add_co_u32 v140, vcc_lo, v140, s8
	v_add_co_ci_u32_e64 v141, null, s9, v141, vcc_lo
	v_fma_f64 v[2:3], v[71:72], v[22:23], v[2:3]
	v_add_co_u32 v142, vcc_lo, v142, s8
	v_add_co_ci_u32_e64 v143, null, s9, v143, vcc_lo
	v_add_co_u32 v144, vcc_lo, v144, s8
	v_add_nc_u32_e32 v61, 64, v61
	v_add_co_ci_u32_e64 v145, null, s9, v145, vcc_lo
	s_add_i32 s3, s6, 2
	s_add_i32 s2, s6, 1
	;; [unrolled: 1-line block ×3, first 2 shown]
	s_cmp_ge_u32 s3, s26
	s_waitcnt_vscnt null, 0x0
	s_barrier
	buffer_gl0_inv
	v_fma_f64 v[2:3], v[73:74], v[24:25], v[2:3]
	v_fma_f64 v[2:3], v[75:76], v[18:19], v[2:3]
	;; [unrolled: 1-line block ×11, first 2 shown]
	s_cbranch_scc1 .LBB96_126
; %bb.125:                              ;   in Loop: Header=BB96_74 Depth=1
	s_mov_b32 s6, s2
	s_cmp_eq_u32 s29, s6
	s_cselect_b32 s3, s27, 0
	s_and_saveexec_b32 s2, s0
	s_cbranch_execnz .LBB96_71
	s_branch .LBB96_74
.LBB96_126:
	v_cmp_gt_i32_e32 vcc_lo, s10, v0
	v_mad_u32_u24 v1, 0x218, v1, v95
	s_or_b32 s1, s28, vcc_lo
	ds_write_b64 v1, v[59:60]
	s_and_b32 s0, s0, s1
	s_waitcnt lgkmcnt(0)
	s_barrier
	buffer_gl0_inv
	s_and_saveexec_b32 s1, s0
	s_cbranch_execz .LBB96_128
; %bb.127:
	ds_read2_b64 v[0:3], v95 offset1:67
	v_ashrrev_i32_e32 v59, 31, v58
	s_waitcnt lgkmcnt(0)
	v_add_f64 v[4:5], v[0:1], v[2:3]
	ds_read2_b64 v[0:3], v95 offset0:134 offset1:201
	s_waitcnt lgkmcnt(0)
	v_add_f64 v[0:1], v[4:5], v[0:1]
	v_add_f64 v[0:1], v[0:1], v[2:3]
	v_lshlrev_b64 v[2:3], 3, v[58:59]
	v_add_co_u32 v2, vcc_lo, s7, v2
	v_add_co_ci_u32_e64 v3, null, s11, v3, vcc_lo
	global_store_dwordx2 v[2:3], v[0:1], off
.LBB96_128:
	s_endpgm
	.section	.rodata,"a",@progbits
	.p2align	6, 0x0
	.amdhsa_kernel _ZL26rocblas_hemvn_kernel_upperILb0ELi64ELi4ELi33ELi32ELi16EiPKdS1_PdEviT6_lT7_lT5_lS4_lS5_lS3_lT8_i
		.amdhsa_group_segment_fixed_size 9600
		.amdhsa_private_segment_fixed_size 0
		.amdhsa_kernarg_size 376
		.amdhsa_user_sgpr_count 6
		.amdhsa_user_sgpr_private_segment_buffer 1
		.amdhsa_user_sgpr_dispatch_ptr 0
		.amdhsa_user_sgpr_queue_ptr 0
		.amdhsa_user_sgpr_kernarg_segment_ptr 1
		.amdhsa_user_sgpr_dispatch_id 0
		.amdhsa_user_sgpr_flat_scratch_init 0
		.amdhsa_user_sgpr_private_segment_size 0
		.amdhsa_wavefront_size32 1
		.amdhsa_uses_dynamic_stack 0
		.amdhsa_system_sgpr_private_segment_wavefront_offset 0
		.amdhsa_system_sgpr_workgroup_id_x 1
		.amdhsa_system_sgpr_workgroup_id_y 0
		.amdhsa_system_sgpr_workgroup_id_z 1
		.amdhsa_system_sgpr_workgroup_info 0
		.amdhsa_system_vgpr_workitem_id 1
		.amdhsa_next_free_vgpr 182
		.amdhsa_next_free_sgpr 41
		.amdhsa_reserve_vcc 1
		.amdhsa_reserve_flat_scratch 0
		.amdhsa_float_round_mode_32 0
		.amdhsa_float_round_mode_16_64 0
		.amdhsa_float_denorm_mode_32 3
		.amdhsa_float_denorm_mode_16_64 3
		.amdhsa_dx10_clamp 1
		.amdhsa_ieee_mode 1
		.amdhsa_fp16_overflow 0
		.amdhsa_workgroup_processor_mode 1
		.amdhsa_memory_ordered 1
		.amdhsa_forward_progress 1
		.amdhsa_shared_vgpr_count 0
		.amdhsa_exception_fp_ieee_invalid_op 0
		.amdhsa_exception_fp_denorm_src 0
		.amdhsa_exception_fp_ieee_div_zero 0
		.amdhsa_exception_fp_ieee_overflow 0
		.amdhsa_exception_fp_ieee_underflow 0
		.amdhsa_exception_fp_ieee_inexact 0
		.amdhsa_exception_int_div_zero 0
	.end_amdhsa_kernel
	.section	.text._ZL26rocblas_hemvn_kernel_upperILb0ELi64ELi4ELi33ELi32ELi16EiPKdS1_PdEviT6_lT7_lT5_lS4_lS5_lS3_lT8_i,"axG",@progbits,_ZL26rocblas_hemvn_kernel_upperILb0ELi64ELi4ELi33ELi32ELi16EiPKdS1_PdEviT6_lT7_lT5_lS4_lS5_lS3_lT8_i,comdat
.Lfunc_end96:
	.size	_ZL26rocblas_hemvn_kernel_upperILb0ELi64ELi4ELi33ELi32ELi16EiPKdS1_PdEviT6_lT7_lT5_lS4_lS5_lS3_lT8_i, .Lfunc_end96-_ZL26rocblas_hemvn_kernel_upperILb0ELi64ELi4ELi33ELi32ELi16EiPKdS1_PdEviT6_lT7_lT5_lS4_lS5_lS3_lT8_i
                                        ; -- End function
	.set _ZL26rocblas_hemvn_kernel_upperILb0ELi64ELi4ELi33ELi32ELi16EiPKdS1_PdEviT6_lT7_lT5_lS4_lS5_lS3_lT8_i.num_vgpr, 182
	.set _ZL26rocblas_hemvn_kernel_upperILb0ELi64ELi4ELi33ELi32ELi16EiPKdS1_PdEviT6_lT7_lT5_lS4_lS5_lS3_lT8_i.num_agpr, 0
	.set _ZL26rocblas_hemvn_kernel_upperILb0ELi64ELi4ELi33ELi32ELi16EiPKdS1_PdEviT6_lT7_lT5_lS4_lS5_lS3_lT8_i.numbered_sgpr, 41
	.set _ZL26rocblas_hemvn_kernel_upperILb0ELi64ELi4ELi33ELi32ELi16EiPKdS1_PdEviT6_lT7_lT5_lS4_lS5_lS3_lT8_i.num_named_barrier, 0
	.set _ZL26rocblas_hemvn_kernel_upperILb0ELi64ELi4ELi33ELi32ELi16EiPKdS1_PdEviT6_lT7_lT5_lS4_lS5_lS3_lT8_i.private_seg_size, 0
	.set _ZL26rocblas_hemvn_kernel_upperILb0ELi64ELi4ELi33ELi32ELi16EiPKdS1_PdEviT6_lT7_lT5_lS4_lS5_lS3_lT8_i.uses_vcc, 1
	.set _ZL26rocblas_hemvn_kernel_upperILb0ELi64ELi4ELi33ELi32ELi16EiPKdS1_PdEviT6_lT7_lT5_lS4_lS5_lS3_lT8_i.uses_flat_scratch, 0
	.set _ZL26rocblas_hemvn_kernel_upperILb0ELi64ELi4ELi33ELi32ELi16EiPKdS1_PdEviT6_lT7_lT5_lS4_lS5_lS3_lT8_i.has_dyn_sized_stack, 0
	.set _ZL26rocblas_hemvn_kernel_upperILb0ELi64ELi4ELi33ELi32ELi16EiPKdS1_PdEviT6_lT7_lT5_lS4_lS5_lS3_lT8_i.has_recursion, 0
	.set _ZL26rocblas_hemvn_kernel_upperILb0ELi64ELi4ELi33ELi32ELi16EiPKdS1_PdEviT6_lT7_lT5_lS4_lS5_lS3_lT8_i.has_indirect_call, 0
	.section	.AMDGPU.csdata,"",@progbits
; Kernel info:
; codeLenInByte = 8468
; TotalNumSgprs: 43
; NumVgprs: 182
; ScratchSize: 0
; MemoryBound: 0
; FloatMode: 240
; IeeeMode: 1
; LDSByteSize: 9600 bytes/workgroup (compile time only)
; SGPRBlocks: 0
; VGPRBlocks: 22
; NumSGPRsForWavesPerEU: 43
; NumVGPRsForWavesPerEU: 182
; Occupancy: 5
; WaveLimiterHint : 1
; COMPUTE_PGM_RSRC2:SCRATCH_EN: 0
; COMPUTE_PGM_RSRC2:USER_SGPR: 6
; COMPUTE_PGM_RSRC2:TRAP_HANDLER: 0
; COMPUTE_PGM_RSRC2:TGID_X_EN: 1
; COMPUTE_PGM_RSRC2:TGID_Y_EN: 0
; COMPUTE_PGM_RSRC2:TGID_Z_EN: 1
; COMPUTE_PGM_RSRC2:TIDIG_COMP_CNT: 1
	.section	.text._ZL36rocblas_hemvn_kernel_upper_block_sumILi64EiPKdPddEviT1_lS3_lT2_lT0_lPT3_i,"axG",@progbits,_ZL36rocblas_hemvn_kernel_upper_block_sumILi64EiPKdPddEviT1_lS3_lT2_lT0_lPT3_i,comdat
	.globl	_ZL36rocblas_hemvn_kernel_upper_block_sumILi64EiPKdPddEviT1_lS3_lT2_lT0_lPT3_i ; -- Begin function _ZL36rocblas_hemvn_kernel_upper_block_sumILi64EiPKdPddEviT1_lS3_lT2_lT0_lPT3_i
	.p2align	8
	.type	_ZL36rocblas_hemvn_kernel_upper_block_sumILi64EiPKdPddEviT1_lS3_lT2_lT0_lPT3_i,@function
_ZL36rocblas_hemvn_kernel_upper_block_sumILi64EiPKdPddEviT1_lS3_lT2_lT0_lPT3_i: ; @_ZL36rocblas_hemvn_kernel_upper_block_sumILi64EiPKdPddEviT1_lS3_lT2_lT0_lPT3_i
; %bb.0:
	s_load_dwordx8 s[8:15], s[4:5], 0x8
	s_waitcnt lgkmcnt(0)
	s_mul_i32 s1, s11, s7
	s_mul_hi_u32 s2, s10, s7
	s_mul_i32 s0, s10, s7
	s_add_i32 s1, s2, s1
	s_mul_i32 s2, s15, s7
	s_lshl_b64 s[0:1], s[0:1], 3
	s_mul_hi_u32 s3, s14, s7
	s_add_u32 s0, s8, s0
	s_addc_u32 s1, s9, s1
	s_add_i32 s3, s3, s2
	s_mul_i32 s2, s14, s7
	s_lshl_b64 s[2:3], s[2:3], 3
	s_add_u32 s2, s12, s2
	s_addc_u32 s3, s13, s3
	s_load_dwordx2 s[8:9], s[0:1], 0x0
	s_load_dwordx2 s[10:11], s[2:3], 0x0
	s_waitcnt lgkmcnt(0)
	v_cmp_eq_f64_e64 s0, s[8:9], 0
	v_cmp_eq_f64_e64 s1, s[10:11], 1.0
	s_and_b32 s0, s0, s1
	s_and_b32 vcc_lo, exec_lo, s0
	s_cbranch_vccnz .LBB97_19
; %bb.1:
	s_clause 0x3
	s_load_dwordx4 s[0:3], s[4:5], 0x40
	s_load_dwordx4 s[20:23], s[4:5], 0x28
	s_load_dword s17, s[4:5], 0x38
	s_load_dword s12, s[4:5], 0x0
	v_cmp_neq_f64_e64 s13, s[8:9], 0
	v_lshl_or_b32 v0, s6, 6, v0
	s_mov_b32 s16, 0
	s_waitcnt lgkmcnt(0)
	s_mul_i32 s1, s1, s7
	s_mul_hi_u32 s14, s0, s7
	s_mul_i32 s0, s0, s7
	s_add_i32 s1, s14, s1
	s_lshl_b64 s[0:1], s[0:1], 3
	s_add_u32 s14, s20, s0
	s_addc_u32 s15, s21, s1
	s_lshl_b64 s[0:1], s[22:23], 3
	s_add_u32 s14, s14, s0
	v_cmp_gt_i32_e64 s0, s12, v0
	s_addc_u32 s15, s15, s1
	s_and_b32 vcc_lo, exec_lo, s13
	s_cbranch_vccnz .LBB97_6
; %bb.2:
	s_mov_b32 s1, 0
                                        ; implicit-def: $vgpr3_vgpr4
                                        ; implicit-def: $vgpr1_vgpr2
	s_and_saveexec_b32 s13, s0
	s_cbranch_execz .LBB97_7
; %bb.3:
	v_cmp_eq_f64_e64 s0, s[10:11], 0
	v_mul_lo_u32 v1, s17, v0
	v_mov_b32_e32 v3, 0
	v_mov_b32_e32 v4, 0
	v_ashrrev_i32_e32 v2, 31, v1
	s_and_b32 vcc_lo, exec_lo, s0
	s_cbranch_vccnz .LBB97_5
; %bb.4:
	v_lshlrev_b64 v[3:4], 3, v[1:2]
	v_add_co_u32 v3, vcc_lo, s14, v3
	v_add_co_ci_u32_e64 v4, null, s15, v4, vcc_lo
	global_load_dwordx2 v[3:4], v[3:4], off
	s_waitcnt vmcnt(0)
	v_mul_f64 v[3:4], s[10:11], v[3:4]
.LBB97_5:
	s_mov_b32 s16, exec_lo
	s_or_b32 exec_lo, exec_lo, s13
	s_and_b32 vcc_lo, exec_lo, s1
	s_cbranch_vccnz .LBB97_8
	s_branch .LBB97_17
.LBB97_6:
                                        ; implicit-def: $vgpr3_vgpr4
                                        ; implicit-def: $vgpr1_vgpr2
	s_cbranch_execnz .LBB97_8
	s_branch .LBB97_17
.LBB97_7:
	s_or_b32 exec_lo, exec_lo, s13
	s_and_b32 vcc_lo, exec_lo, s1
	s_cbranch_vccz .LBB97_17
.LBB97_8:
	s_mov_b32 s18, exec_lo
                                        ; implicit-def: $vgpr3_vgpr4
                                        ; implicit-def: $vgpr1_vgpr2
	v_cmpx_gt_i32_e64 s12, v0
	s_cbranch_execz .LBB97_16
; %bb.9:
	v_mov_b32_e32 v5, 0
	v_mov_b32_e32 v6, 0
	s_cmp_lt_i32 s6, 0
	s_cbranch_scc1 .LBB97_12
; %bb.10:
	s_load_dword s0, s[4:5], 0x58
	s_ashr_i32 s13, s12, 31
	s_mul_hi_u32 s1, s12, s7
	s_mul_i32 s4, s13, s7
	v_mov_b32_e32 v1, 0
	s_mul_i32 s5, s12, s7
	s_add_i32 s1, s1, s4
	v_mov_b32_e32 v5, 0
	v_mov_b32_e32 v6, 0
	v_lshlrev_b64 v[1:2], 3, v[0:1]
	s_waitcnt lgkmcnt(0)
	s_mul_i32 s1, s1, s0
	s_mul_hi_u32 s4, s5, s0
	s_mul_i32 s0, s5, s0
	s_add_i32 s1, s4, s1
	s_lshl_b64 s[0:1], s[0:1], 3
	s_add_u32 s0, s2, s0
	s_addc_u32 s1, s3, s1
	v_add_co_u32 v1, vcc_lo, s0, v1
	v_add_co_ci_u32_e64 v2, null, s1, v2, vcc_lo
	s_add_i32 s2, s6, 1
	s_lshl_b64 s[0:1], s[12:13], 3
.LBB97_11:                              ; =>This Inner Loop Header: Depth=1
	global_load_dwordx2 v[3:4], v[1:2], off
	v_add_co_u32 v1, vcc_lo, v1, s0
	v_add_co_ci_u32_e64 v2, null, s1, v2, vcc_lo
	s_add_i32 s2, s2, -1
	s_cmp_eq_u32 s2, 0
	s_waitcnt vmcnt(0)
	v_add_f64 v[5:6], v[5:6], v[3:4]
	s_cbranch_scc0 .LBB97_11
.LBB97_12:
	v_cmp_eq_f64_e64 s0, s[10:11], 0
	v_mul_lo_u32 v1, s17, v0
	v_ashrrev_i32_e32 v2, 31, v1
	s_and_b32 vcc_lo, exec_lo, s0
	s_cbranch_vccz .LBB97_20
; %bb.13:
	v_mul_f64 v[3:4], s[8:9], v[5:6]
	s_cbranch_execnz .LBB97_15
.LBB97_14:
	v_lshlrev_b64 v[3:4], 3, v[1:2]
	v_add_co_u32 v3, vcc_lo, s14, v3
	v_add_co_ci_u32_e64 v4, null, s15, v4, vcc_lo
	global_load_dwordx2 v[3:4], v[3:4], off
	s_waitcnt vmcnt(0)
	v_mul_f64 v[3:4], s[10:11], v[3:4]
	v_fma_f64 v[3:4], s[8:9], v[5:6], v[3:4]
.LBB97_15:
	s_or_b32 s16, s16, exec_lo
.LBB97_16:
	s_or_b32 exec_lo, exec_lo, s18
.LBB97_17:
	s_and_saveexec_b32 s0, s16
	s_cbranch_execz .LBB97_19
; %bb.18:
	v_lshlrev_b64 v[0:1], 3, v[1:2]
	v_add_co_u32 v0, vcc_lo, s14, v0
	v_add_co_ci_u32_e64 v1, null, s15, v1, vcc_lo
	global_store_dwordx2 v[0:1], v[3:4], off
.LBB97_19:
	s_endpgm
.LBB97_20:
                                        ; implicit-def: $vgpr3_vgpr4
	s_branch .LBB97_14
	.section	.rodata,"a",@progbits
	.p2align	6, 0x0
	.amdhsa_kernel _ZL36rocblas_hemvn_kernel_upper_block_sumILi64EiPKdPddEviT1_lS3_lT2_lT0_lPT3_i
		.amdhsa_group_segment_fixed_size 0
		.amdhsa_private_segment_fixed_size 0
		.amdhsa_kernarg_size 344
		.amdhsa_user_sgpr_count 6
		.amdhsa_user_sgpr_private_segment_buffer 1
		.amdhsa_user_sgpr_dispatch_ptr 0
		.amdhsa_user_sgpr_queue_ptr 0
		.amdhsa_user_sgpr_kernarg_segment_ptr 1
		.amdhsa_user_sgpr_dispatch_id 0
		.amdhsa_user_sgpr_flat_scratch_init 0
		.amdhsa_user_sgpr_private_segment_size 0
		.amdhsa_wavefront_size32 1
		.amdhsa_uses_dynamic_stack 0
		.amdhsa_system_sgpr_private_segment_wavefront_offset 0
		.amdhsa_system_sgpr_workgroup_id_x 1
		.amdhsa_system_sgpr_workgroup_id_y 0
		.amdhsa_system_sgpr_workgroup_id_z 1
		.amdhsa_system_sgpr_workgroup_info 0
		.amdhsa_system_vgpr_workitem_id 0
		.amdhsa_next_free_vgpr 7
		.amdhsa_next_free_sgpr 24
		.amdhsa_reserve_vcc 1
		.amdhsa_reserve_flat_scratch 0
		.amdhsa_float_round_mode_32 0
		.amdhsa_float_round_mode_16_64 0
		.amdhsa_float_denorm_mode_32 3
		.amdhsa_float_denorm_mode_16_64 3
		.amdhsa_dx10_clamp 1
		.amdhsa_ieee_mode 1
		.amdhsa_fp16_overflow 0
		.amdhsa_workgroup_processor_mode 1
		.amdhsa_memory_ordered 1
		.amdhsa_forward_progress 1
		.amdhsa_shared_vgpr_count 0
		.amdhsa_exception_fp_ieee_invalid_op 0
		.amdhsa_exception_fp_denorm_src 0
		.amdhsa_exception_fp_ieee_div_zero 0
		.amdhsa_exception_fp_ieee_overflow 0
		.amdhsa_exception_fp_ieee_underflow 0
		.amdhsa_exception_fp_ieee_inexact 0
		.amdhsa_exception_int_div_zero 0
	.end_amdhsa_kernel
	.section	.text._ZL36rocblas_hemvn_kernel_upper_block_sumILi64EiPKdPddEviT1_lS3_lT2_lT0_lPT3_i,"axG",@progbits,_ZL36rocblas_hemvn_kernel_upper_block_sumILi64EiPKdPddEviT1_lS3_lT2_lT0_lPT3_i,comdat
.Lfunc_end97:
	.size	_ZL36rocblas_hemvn_kernel_upper_block_sumILi64EiPKdPddEviT1_lS3_lT2_lT0_lPT3_i, .Lfunc_end97-_ZL36rocblas_hemvn_kernel_upper_block_sumILi64EiPKdPddEviT1_lS3_lT2_lT0_lPT3_i
                                        ; -- End function
	.set _ZL36rocblas_hemvn_kernel_upper_block_sumILi64EiPKdPddEviT1_lS3_lT2_lT0_lPT3_i.num_vgpr, 7
	.set _ZL36rocblas_hemvn_kernel_upper_block_sumILi64EiPKdPddEviT1_lS3_lT2_lT0_lPT3_i.num_agpr, 0
	.set _ZL36rocblas_hemvn_kernel_upper_block_sumILi64EiPKdPddEviT1_lS3_lT2_lT0_lPT3_i.numbered_sgpr, 24
	.set _ZL36rocblas_hemvn_kernel_upper_block_sumILi64EiPKdPddEviT1_lS3_lT2_lT0_lPT3_i.num_named_barrier, 0
	.set _ZL36rocblas_hemvn_kernel_upper_block_sumILi64EiPKdPddEviT1_lS3_lT2_lT0_lPT3_i.private_seg_size, 0
	.set _ZL36rocblas_hemvn_kernel_upper_block_sumILi64EiPKdPddEviT1_lS3_lT2_lT0_lPT3_i.uses_vcc, 1
	.set _ZL36rocblas_hemvn_kernel_upper_block_sumILi64EiPKdPddEviT1_lS3_lT2_lT0_lPT3_i.uses_flat_scratch, 0
	.set _ZL36rocblas_hemvn_kernel_upper_block_sumILi64EiPKdPddEviT1_lS3_lT2_lT0_lPT3_i.has_dyn_sized_stack, 0
	.set _ZL36rocblas_hemvn_kernel_upper_block_sumILi64EiPKdPddEviT1_lS3_lT2_lT0_lPT3_i.has_recursion, 0
	.set _ZL36rocblas_hemvn_kernel_upper_block_sumILi64EiPKdPddEviT1_lS3_lT2_lT0_lPT3_i.has_indirect_call, 0
	.section	.AMDGPU.csdata,"",@progbits
; Kernel info:
; codeLenInByte = 696
; TotalNumSgprs: 26
; NumVgprs: 7
; ScratchSize: 0
; MemoryBound: 0
; FloatMode: 240
; IeeeMode: 1
; LDSByteSize: 0 bytes/workgroup (compile time only)
; SGPRBlocks: 0
; VGPRBlocks: 0
; NumSGPRsForWavesPerEU: 26
; NumVGPRsForWavesPerEU: 7
; Occupancy: 16
; WaveLimiterHint : 0
; COMPUTE_PGM_RSRC2:SCRATCH_EN: 0
; COMPUTE_PGM_RSRC2:USER_SGPR: 6
; COMPUTE_PGM_RSRC2:TRAP_HANDLER: 0
; COMPUTE_PGM_RSRC2:TGID_X_EN: 1
; COMPUTE_PGM_RSRC2:TGID_Y_EN: 0
; COMPUTE_PGM_RSRC2:TGID_Z_EN: 1
; COMPUTE_PGM_RSRC2:TIDIG_COMP_CNT: 0
	.section	.text._ZL26rocblas_hemvn_kernel_upperILb0ELi64ELi4ELi33ELi32ELi16EldPKdPdEviT6_lT7_lT5_lS4_lS5_lS3_lT8_i,"axG",@progbits,_ZL26rocblas_hemvn_kernel_upperILb0ELi64ELi4ELi33ELi32ELi16EldPKdPdEviT6_lT7_lT5_lS4_lS5_lS3_lT8_i,comdat
	.globl	_ZL26rocblas_hemvn_kernel_upperILb0ELi64ELi4ELi33ELi32ELi16EldPKdPdEviT6_lT7_lT5_lS4_lS5_lS3_lT8_i ; -- Begin function _ZL26rocblas_hemvn_kernel_upperILb0ELi64ELi4ELi33ELi32ELi16EldPKdPdEviT6_lT7_lT5_lS4_lS5_lS3_lT8_i
	.p2align	8
	.type	_ZL26rocblas_hemvn_kernel_upperILb0ELi64ELi4ELi33ELi32ELi16EldPKdPdEviT6_lT7_lT5_lS4_lS5_lS3_lT8_i,@function
_ZL26rocblas_hemvn_kernel_upperILb0ELi64ELi4ELi33ELi32ELi16EldPKdPdEviT6_lT7_lT5_lS4_lS5_lS3_lT8_i: ; @_ZL26rocblas_hemvn_kernel_upperILb0ELi64ELi4ELi33ELi32ELi16EldPKdPdEviT6_lT7_lT5_lS4_lS5_lS3_lT8_i
; %bb.0:
	s_load_dwordx2 s[2:3], s[4:5], 0x84
	s_add_u32 s0, s4, 0x78
	s_addc_u32 s1, s5, 0
	s_waitcnt lgkmcnt(0)
	s_lshr_b32 s8, s2, 16
	s_and_b32 s2, s2, 0xffff
	s_and_b32 s3, s3, 0xffff
	s_mul_i32 s2, s8, s2
	s_mul_i32 s2, s2, s3
	s_cmpk_lg_i32 s2, 0x100
	s_cbranch_scc1 .LBB98_128
; %bb.1:
	s_clause 0x1
	s_load_dwordx2 s[2:3], s[4:5], 0x8
	s_load_dwordx2 s[8:9], s[4:5], 0x58
	s_waitcnt lgkmcnt(0)
	v_cmp_eq_f64_e64 s2, s[2:3], 0
	v_cmp_eq_f64_e64 s3, s[8:9], 1.0
	s_and_b32 s3, s2, s3
	s_and_b32 vcc_lo, exec_lo, s3
	s_cbranch_vccnz .LBB98_128
; %bb.2:
	s_and_b32 vcc_lo, exec_lo, s2
	s_cbranch_vccnz .LBB98_128
; %bb.3:
	s_clause 0x1
	s_load_dwordx16 s[8:23], s[4:5], 0x18
	s_load_dword s24, s[4:5], 0x0
	s_waitcnt lgkmcnt(0)
	s_mul_i32 s3, s23, s7
	s_mul_hi_u32 s23, s22, s7
	s_mul_i32 s2, s22, s7
	s_add_i32 s3, s23, s3
	s_load_dword s22, s[0:1], 0x0
	s_lshl_b64 s[2:3], s[2:3], 3
	s_add_u32 s16, s16, s2
	s_addc_u32 s17, s17, s3
	s_lshl_b64 s[2:3], s[18:19], 3
	s_add_u32 s2, s16, s2
	s_addc_u32 s3, s17, s3
	s_lshl_b32 s18, s6, 6
	s_ashr_i32 s25, s24, 31
	v_add_nc_u32_e32 v58, s18, v0
	s_lshr_b32 s0, s25, 26
	s_add_i32 s0, s24, s0
	v_ashrrev_i32_e32 v59, 31, v58
	v_mul_lo_u32 v4, s21, v58
	v_mad_u64_u32 v[2:3], null, s20, v58, 0
	s_andn2_b32 s0, s0, 63
	v_mul_lo_u32 v5, s20, v59
	s_waitcnt lgkmcnt(0)
	s_add_i32 s1, s22, -1
	s_sub_i32 s23, s24, s0
	v_cmp_eq_u32_e64 s0, 0, v1
	s_cmp_eq_u32 s6, s1
	s_cselect_b32 s16, s23, 0
	v_add3_u32 v3, v3, v5, v4
	v_lshlrev_b64 v[2:3], 3, v[2:3]
	v_add_co_u32 v16, vcc_lo, s2, v2
	v_add_co_ci_u32_e64 v17, null, s3, v3, vcc_lo
	s_and_saveexec_b32 s1, s0
	s_cbranch_execz .LBB98_7
; %bb.4:
	v_cmp_gt_i32_e32 vcc_lo, s16, v0
	s_cmp_eq_u32 s16, 0
	v_mov_b32_e32 v2, 0
	v_mov_b32_e32 v3, 0
	s_cselect_b32 s2, -1, 0
	s_or_b32 s3, s2, vcc_lo
	s_and_saveexec_b32 s2, s3
	s_cbranch_execz .LBB98_6
; %bb.5:
	global_load_dwordx2 v[2:3], v[16:17], off
.LBB98_6:
	s_or_b32 exec_lo, exec_lo, s2
	v_lshlrev_b32_e32 v4, 3, v0
	s_waitcnt vmcnt(0)
	ds_write_b64 v4, v[2:3] offset:9088
.LBB98_7:
	s_or_b32 exec_lo, exec_lo, s1
	v_lshl_add_u32 v24, v1, 6, v0
	v_and_b32_e32 v2, 31, v0
	v_mov_b32_e32 v3, 0
	s_mul_i32 s1, s15, s7
	s_mul_hi_u32 s3, s14, s7
	v_lshrrev_b32_e32 v13, 5, v24
	s_mul_i32 s2, s14, s7
	s_add_i32 s3, s3, s1
	s_mul_hi_u32 s1, s12, s18
	s_lshl_b64 s[2:3], s[2:3], 3
	v_mad_u64_u32 v[3:4], null, s12, v13, v[2:3]
	s_add_u32 s8, s8, s2
	s_addc_u32 s9, s9, s3
	s_lshl_b64 s[2:3], s[10:11], 3
	s_mul_i32 s10, s13, s18
	s_add_u32 s11, s8, s2
	s_addc_u32 s3, s9, s3
	v_mad_u64_u32 v[4:5], null, s13, v13, v[4:5]
	s_ashr_i32 s19, s18, 31
	s_mul_i32 s2, s12, s18
	s_lshl_b64 s[8:9], s[18:19], 3
	s_mul_i32 s14, s12, s19
	s_add_u32 s8, s11, s8
	s_addc_u32 s9, s3, s9
	v_lshlrev_b64 v[14:15], 3, v[3:4]
	s_add_i32 s1, s1, s14
	v_lshlrev_b32_e32 v20, 3, v2
	s_add_i32 s3, s1, s10
	v_cmp_gt_i32_e64 s1, s16, v2
	s_lshl_b64 s[2:3], s[2:3], 3
	v_add_co_u32 v3, vcc_lo, s8, v14
	v_add_co_ci_u32_e64 v4, null, s9, v15, vcc_lo
	s_cmp_eq_u32 s16, 0
	v_add_co_u32 v5, s2, v3, s2
	s_cselect_b32 s11, -1, 0
	s_cmp_lg_u32 s16, 0
	v_add_co_ci_u32_e64 v6, null, s3, v4, s2
	s_cselect_b32 s26, -1, 0
	s_and_b32 vcc_lo, exec_lo, s26
	s_cbranch_vccz .LBB98_17
; %bb.8:
	v_sub_co_u32 v3, vcc_lo, v5, v20
	s_ashr_i32 s17, s16, 31
	v_subrev_co_ci_u32_e64 v4, null, 0, v6, vcc_lo
	s_lshl_b64 s[2:3], s[16:17], 3
	v_mov_b32_e32 v9, 0
	v_add_co_u32 v3, vcc_lo, v3, s2
	v_add_co_ci_u32_e64 v4, null, s3, v4, vcc_lo
	v_mov_b32_e32 v7, 0
	v_add_co_u32 v3, vcc_lo, v3, -8
	v_add_co_ci_u32_e64 v4, null, -1, v4, vcc_lo
	v_mov_b32_e32 v10, 0
	v_cndmask_b32_e64 v3, v3, v5, s1
	v_mov_b32_e32 v8, 0
	v_cndmask_b32_e64 v4, v4, v6, s1
	s_mov_b32 s8, exec_lo
	v_cmpx_gt_i32_e64 s16, v13
	s_cbranch_execz .LBB98_10
; %bb.9:
	global_load_dwordx2 v[7:8], v[3:4], off
.LBB98_10:
	s_or_b32 exec_lo, exec_lo, s8
	v_lshlrev_b32_e32 v11, 3, v2
	v_add_nc_u32_e32 v18, 8, v13
	v_mul_u32_u24_e32 v12, 0x108, v13
	s_mov_b32 s8, exec_lo
	v_mad_u32_u24 v19, 0x108, v13, v11
	s_waitcnt vmcnt(0)
	ds_write_b64 v19, v[7:8]
	v_cmpx_gt_i32_e64 s16, v18
	s_cbranch_execz .LBB98_12
; %bb.11:
	s_lshl_b64 s[14:15], s[12:13], 6
	v_add_co_u32 v7, vcc_lo, v3, s14
	v_add_co_ci_u32_e64 v8, null, s15, v4, vcc_lo
	global_load_dwordx2 v[9:10], v[7:8], off
.LBB98_12:
	s_or_b32 exec_lo, exec_lo, s8
	v_add_nc_u32_e32 v18, v12, v11
	v_mov_b32_e32 v7, 0
	v_mov_b32_e32 v11, 0
	v_add_nc_u32_e32 v19, 16, v13
	v_mov_b32_e32 v8, 0
	v_mov_b32_e32 v12, 0
	s_mov_b32 s8, exec_lo
	s_waitcnt vmcnt(0)
	ds_write_b64 v18, v[9:10] offset:2112
	v_cmpx_gt_i32_e64 s16, v19
	s_cbranch_execz .LBB98_14
; %bb.13:
	s_lshl_b64 s[14:15], s[12:13], 7
	v_add_co_u32 v9, vcc_lo, v3, s14
	v_add_co_ci_u32_e64 v10, null, s15, v4, vcc_lo
	global_load_dwordx2 v[11:12], v[9:10], off
.LBB98_14:
	s_or_b32 exec_lo, exec_lo, s8
	v_add_nc_u32_e32 v9, 24, v13
	s_mov_b32 s8, exec_lo
	s_waitcnt vmcnt(0)
	ds_write_b64 v18, v[11:12] offset:4224
	v_cmpx_gt_i32_e64 s16, v9
	s_cbranch_execz .LBB98_16
; %bb.15:
	v_mad_u64_u32 v[7:8], null, 0xc0, s12, v[3:4]
	v_mad_u64_u32 v[8:9], null, 0xc0, s13, v[8:9]
	global_load_dwordx2 v[7:8], v[7:8], off
.LBB98_16:
	s_or_b32 exec_lo, exec_lo, s8
	v_add_co_u32 v3, vcc_lo, v3, v20
	v_add_co_ci_u32_e64 v4, null, 0, v4, vcc_lo
	s_waitcnt vmcnt(0)
	ds_write_b64 v18, v[7:8] offset:6336
	v_sub_co_u32 v3, vcc_lo, v3, s2
	v_subrev_co_ci_u32_e64 v4, null, s3, v4, vcc_lo
	v_add_co_u32 v3, vcc_lo, v3, 8
	v_add_co_ci_u32_e64 v4, null, 0, v4, vcc_lo
	v_cndmask_b32_e64 v3, v3, v5, s1
	v_cndmask_b32_e64 v4, v4, v6, s1
	v_mul_u32_u24_e32 v22, 0x108, v13
	s_branch .LBB98_19
.LBB98_17:
                                        ; implicit-def: $vgpr3_vgpr4
	v_mul_u32_u24_e32 v22, 0x108, v13
	s_cbranch_execz .LBB98_19
; %bb.18:
	s_lshl_b64 s[2:3], s[12:13], 6
	v_lshl_add_u32 v21, v2, 3, v22
	v_add_co_u32 v3, vcc_lo, v5, s2
	v_add_co_ci_u32_e64 v4, null, s3, v6, vcc_lo
	v_add_co_u32 v7, vcc_lo, v3, s2
	v_add_co_ci_u32_e64 v8, null, s3, v4, vcc_lo
	v_add_co_u32 v9, vcc_lo, v7, s2
	v_add_co_ci_u32_e64 v10, null, s3, v8, vcc_lo
	s_clause 0x3
	global_load_dwordx2 v[11:12], v[5:6], off
	global_load_dwordx2 v[18:19], v[3:4], off
	;; [unrolled: 1-line block ×4, first 2 shown]
	v_mov_b32_e32 v3, v5
	v_mov_b32_e32 v4, v6
	s_waitcnt vmcnt(3)
	ds_write_b64 v21, v[11:12]
	s_waitcnt vmcnt(2)
	ds_write_b64 v21, v[18:19] offset:2112
	s_waitcnt vmcnt(1)
	ds_write_b64 v21, v[7:8] offset:4224
	s_waitcnt vmcnt(0)
	ds_write_b64 v21, v[9:10] offset:6336
.LBB98_19:
	v_lshlrev_b32_e32 v23, 3, v2
	v_lshlrev_b32_e32 v27, 2, v13
	s_waitcnt lgkmcnt(0)
	s_barrier
	buffer_gl0_inv
	v_lshl_or_b32 v5, v2, 8, v23
	v_cmp_gt_u32_e64 s2, v27, v2
	v_mad_u32_u24 v6, 0x420, v13, v23
	v_lshl_add_u32 v7, v27, 3, v5
	s_and_saveexec_b32 s1, s2
	s_cbranch_execz .LBB98_21
; %bb.20:
	ds_read_b64 v[8:9], v6
	s_waitcnt lgkmcnt(0)
	ds_write_b64 v7, v[8:9]
.LBB98_21:
	s_or_b32 exec_lo, exec_lo, s1
	v_or_b32_e32 v28, 1, v27
	v_cmp_ge_u32_e64 s3, v27, v2
	v_mad_u32_u24 v5, 0x108, v28, v23
	s_and_saveexec_b32 s1, s3
	s_cbranch_execz .LBB98_23
; %bb.22:
	ds_read_b64 v[8:9], v5
	s_waitcnt lgkmcnt(0)
	ds_write_b64 v7, v[8:9] offset:8
.LBB98_23:
	s_or_b32 exec_lo, exec_lo, s1
	v_or_b32_e32 v8, 2, v27
	v_cmp_gt_u32_e64 s8, v8, v2
	s_and_saveexec_b32 s1, s8
	s_cbranch_execz .LBB98_25
; %bb.24:
	v_mad_u32_u24 v8, 0x108, v8, v23
	ds_read_b64 v[8:9], v8
	s_waitcnt lgkmcnt(0)
	ds_write_b64 v7, v[8:9] offset:16
.LBB98_25:
	s_or_b32 exec_lo, exec_lo, s1
	v_or_b32_e32 v9, 3, v27
	s_mov_b32 s1, exec_lo
	v_cmp_gt_u32_e64 s9, v9, v2
	v_mul_u32_u24_e32 v8, 0x108, v9
	v_cmpx_le_u32_e64 v9, v2
	s_xor_b32 s1, exec_lo, s1
; %bb.26:
	v_mul_u32_u24_e32 v8, 0x108, v9
                                        ; implicit-def: $vgpr9
                                        ; implicit-def: $vgpr7
; %bb.27:
	s_andn2_saveexec_b32 s1, s1
	s_cbranch_execz .LBB98_29
; %bb.28:
	v_mad_u32_u24 v9, 0x108, v9, v23
	ds_read_b64 v[9:10], v9
	s_waitcnt lgkmcnt(0)
	ds_write_b64 v7, v[9:10] offset:24
.LBB98_29:
	s_or_b32 exec_lo, exec_lo, s1
	v_lshlrev_b32_e32 v30, 3, v27
	s_waitcnt lgkmcnt(0)
	s_barrier
	buffer_gl0_inv
	ds_read_b64 v[6:7], v6
	ds_read_b128 v[9:12], v30 offset:9088
	v_add_nc_u32_e32 v21, v23, v8
	ds_read_b128 v[31:34], v30 offset:9104
	ds_read_b64 v[18:19], v21
	v_mov_b32_e32 v60, 0
	v_mov_b32_e32 v61, 0
	v_cmp_gt_u32_e64 s1, 32, v24
	s_waitcnt lgkmcnt(2)
	v_fma_f64 v[9:10], v[6:7], v[9:10], 0
	ds_read2_b64 v[5:8], v5 offset1:33
	s_waitcnt lgkmcnt(0)
	s_barrier
	buffer_gl0_inv
	v_fma_f64 v[5:6], v[5:6], v[11:12], v[9:10]
	v_fma_f64 v[5:6], v[7:8], v[31:32], v[5:6]
	v_mul_u32_u24_e32 v7, 33, v2
	v_lshlrev_b32_e32 v25, 3, v7
	v_lshl_add_u32 v26, v13, 3, v25
	v_fma_f64 v[5:6], v[18:19], v[33:34], v[5:6]
	ds_write_b64 v26, v[5:6]
	s_waitcnt lgkmcnt(0)
	s_barrier
	buffer_gl0_inv
	s_and_saveexec_b32 s10, s1
	s_cbranch_execz .LBB98_31
; %bb.30:
	ds_read2_b64 v[5:8], v25 offset1:1
	ds_read2_b64 v[9:12], v25 offset0:2 offset1:3
	s_waitcnt lgkmcnt(1)
	v_add_f64 v[5:6], v[5:6], v[7:8]
	s_waitcnt lgkmcnt(0)
	v_add_f64 v[5:6], v[5:6], v[9:10]
	v_add_f64 v[18:19], v[5:6], v[11:12]
	ds_read2_b64 v[5:8], v25 offset0:4 offset1:5
	ds_read2_b64 v[9:12], v25 offset0:6 offset1:7
	s_waitcnt lgkmcnt(1)
	v_add_f64 v[5:6], v[18:19], v[5:6]
	v_add_f64 v[5:6], v[5:6], v[7:8]
	s_waitcnt lgkmcnt(0)
	v_add_f64 v[5:6], v[5:6], v[9:10]
	v_add_f64 v[60:61], v[5:6], v[11:12]
.LBB98_31:
	s_or_b32 exec_lo, exec_lo, s10
	s_lshl_b64 s[14:15], s[12:13], 8
	v_add_co_u32 v7, vcc_lo, v3, s14
	v_add_co_ci_u32_e64 v8, null, s15, v4, vcc_lo
	s_barrier
	v_add_co_u32 v5, vcc_lo, 0x100, v7
	v_add_co_ci_u32_e64 v6, null, 0, v8, vcc_lo
	s_and_b32 vcc_lo, exec_lo, s26
	buffer_gl0_inv
	s_cbranch_vccz .LBB98_41
; %bb.32:
	v_sub_co_u32 v3, vcc_lo, v7, v20
	s_ashr_i32 s17, s16, 31
	v_subrev_co_ci_u32_e64 v4, null, 0, v8, vcc_lo
	s_lshl_b64 s[14:15], s[16:17], 3
	v_or_b32_e32 v9, 32, v2
	v_add_co_u32 v3, vcc_lo, v3, s14
	v_add_co_ci_u32_e64 v4, null, s15, v4, vcc_lo
	v_mov_b32_e32 v11, 0
	v_add_co_u32 v3, vcc_lo, v3, -8
	v_add_co_ci_u32_e64 v4, null, -1, v4, vcc_lo
	v_cmp_gt_i32_e32 vcc_lo, s16, v9
	v_mov_b32_e32 v9, 0
	v_mov_b32_e32 v12, 0
	;; [unrolled: 1-line block ×3, first 2 shown]
	s_sub_i32 s17, s16, 32
	v_cndmask_b32_e32 v4, v4, v6, vcc_lo
	v_cndmask_b32_e32 v3, v3, v5, vcc_lo
	s_mov_b32 s27, exec_lo
	v_cmpx_gt_i32_e64 s17, v13
	s_cbranch_execz .LBB98_34
; %bb.33:
	global_load_dwordx2 v[9:10], v[3:4], off
.LBB98_34:
	s_or_b32 exec_lo, exec_lo, s27
	v_add_nc_u32_e32 v18, 8, v13
	v_mad_u32_u24 v19, 0x108, v13, v23
	s_mov_b32 s27, exec_lo
	s_waitcnt vmcnt(0)
	ds_write_b64 v19, v[9:10]
	v_cmpx_gt_i32_e64 s17, v18
	s_cbranch_execz .LBB98_36
; %bb.35:
	s_lshl_b64 s[28:29], s[12:13], 6
	v_add_co_u32 v9, s10, v3, s28
	v_add_co_ci_u32_e64 v10, null, s29, v4, s10
	global_load_dwordx2 v[11:12], v[9:10], off
.LBB98_36:
	s_or_b32 exec_lo, exec_lo, s27
	v_mov_b32_e32 v9, 0
	v_mov_b32_e32 v18, 0
	v_add_nc_u32_e32 v31, 16, v13
	v_add_nc_u32_e32 v29, v22, v23
	v_mov_b32_e32 v10, 0
	v_mov_b32_e32 v19, 0
	s_mov_b32 s27, exec_lo
	s_waitcnt vmcnt(0)
	ds_write_b64 v29, v[11:12] offset:2112
	v_cmpx_gt_i32_e64 s17, v31
	s_cbranch_execz .LBB98_38
; %bb.37:
	s_lshl_b64 s[28:29], s[12:13], 7
	v_add_co_u32 v11, s10, v3, s28
	v_add_co_ci_u32_e64 v12, null, s29, v4, s10
	global_load_dwordx2 v[18:19], v[11:12], off
.LBB98_38:
	s_or_b32 exec_lo, exec_lo, s27
	v_add_nc_u32_e32 v11, 24, v13
	s_waitcnt vmcnt(0)
	ds_write_b64 v29, v[18:19] offset:4224
	v_cmp_gt_i32_e64 s10, s17, v11
	s_and_saveexec_b32 s17, s10
	s_cbranch_execz .LBB98_40
; %bb.39:
	v_mad_u64_u32 v[9:10], null, 0xc0, s12, v[3:4]
	v_mad_u64_u32 v[10:11], null, 0xc0, s13, v[10:11]
	global_load_dwordx2 v[9:10], v[9:10], off
.LBB98_40:
	s_or_b32 exec_lo, exec_lo, s17
	v_add_co_u32 v3, s10, v3, v20
	v_add_co_ci_u32_e64 v4, null, 0, v4, s10
	s_waitcnt vmcnt(0)
	ds_write_b64 v29, v[9:10] offset:6336
	v_sub_co_u32 v3, s10, v3, s14
	v_subrev_co_ci_u32_e64 v4, null, s15, v4, s10
	v_add_co_u32 v3, s10, 0x108, v3
	v_add_co_ci_u32_e64 v4, null, 0, v4, s10
	v_cndmask_b32_e32 v3, v3, v5, vcc_lo
	v_cndmask_b32_e32 v4, v4, v6, vcc_lo
	v_mul_u32_u24_e32 v9, 0x420, v13
	v_mad_u32_u24 v29, 0x108, v13, v23
	s_branch .LBB98_43
.LBB98_41:
                                        ; implicit-def: $vgpr3_vgpr4
	v_mul_u32_u24_e32 v9, 0x420, v13
	v_mad_u32_u24 v29, 0x108, v13, v23
	s_cbranch_execz .LBB98_43
; %bb.42:
	s_lshl_b64 s[14:15], s[12:13], 6
	v_add_co_u32 v3, vcc_lo, v7, s14
	v_add_co_ci_u32_e64 v4, null, s15, v8, vcc_lo
	v_add_co_u32 v10, vcc_lo, v3, s14
	v_add_co_ci_u32_e64 v11, null, s15, v4, vcc_lo
	;; [unrolled: 2-line block ×3, first 2 shown]
	s_clause 0x3
	global_load_dwordx2 v[7:8], v[7:8], off offset:256
	global_load_dwordx2 v[31:32], v[3:4], off offset:256
	global_load_dwordx2 v[10:11], v[10:11], off offset:256
	global_load_dwordx2 v[18:19], v[18:19], off offset:256
	v_mov_b32_e32 v3, v5
	v_mov_b32_e32 v4, v6
	s_waitcnt vmcnt(3)
	ds_write_b64 v29, v[7:8]
	s_waitcnt vmcnt(2)
	ds_write_b64 v29, v[31:32] offset:2112
	s_waitcnt vmcnt(1)
	ds_write_b64 v29, v[10:11] offset:4224
	;; [unrolled: 2-line block ×3, first 2 shown]
.LBB98_43:
	v_mul_u32_u24_e32 v6, 0x108, v28
	v_add_nc_u32_e32 v28, v23, v9
	v_lshl_add_u32 v5, v27, 3, v25
	s_waitcnt lgkmcnt(0)
	s_barrier
	buffer_gl0_inv
	s_and_saveexec_b32 s10, s2
	s_cbranch_execnz .LBB98_60
; %bb.44:
	s_or_b32 exec_lo, exec_lo, s10
	v_add_nc_u32_e32 v27, v23, v6
	s_and_saveexec_b32 s2, s3
	s_cbranch_execnz .LBB98_61
.LBB98_45:
	s_or_b32 exec_lo, exec_lo, s2
	s_and_saveexec_b32 s2, s8
	s_cbranch_execnz .LBB98_62
.LBB98_46:
	s_or_b32 exec_lo, exec_lo, s2
	v_add_nc_u32_e32 v30, 0x2380, v30
	s_and_saveexec_b32 s2, s9
	s_cbranch_execz .LBB98_48
.LBB98_47:
	ds_read_b64 v[6:7], v21
	s_waitcnt lgkmcnt(0)
	ds_write_b64 v5, v[6:7] offset:24
.LBB98_48:
	s_or_b32 exec_lo, exec_lo, s2
	s_waitcnt lgkmcnt(0)
	s_barrier
	buffer_gl0_inv
	ds_read_b64 v[18:19], v28
	ds_read_b128 v[5:8], v30 offset:256
	ds_read_b128 v[9:12], v30 offset:272
	ds_read_b64 v[35:36], v21
	ds_read2_b64 v[31:34], v27 offset1:33
	v_cmp_eq_u32_e64 s2, 1, v13
	s_waitcnt lgkmcnt(0)
	s_barrier
	buffer_gl0_inv
	v_fma_f64 v[5:6], v[18:19], v[5:6], 0
	v_fma_f64 v[5:6], v[31:32], v[7:8], v[5:6]
	;; [unrolled: 1-line block ×4, first 2 shown]
	ds_write_b64 v26, v[5:6]
	s_waitcnt lgkmcnt(0)
	s_barrier
	buffer_gl0_inv
	s_and_saveexec_b32 s3, s2
	s_cbranch_execz .LBB98_50
; %bb.49:
	ds_read2_b64 v[5:8], v25 offset1:1
	ds_read2_b64 v[9:12], v25 offset0:2 offset1:3
	s_waitcnt lgkmcnt(1)
	v_add_f64 v[5:6], v[5:6], v[7:8]
	s_waitcnt lgkmcnt(0)
	v_add_f64 v[5:6], v[5:6], v[9:10]
	v_add_f64 v[18:19], v[5:6], v[11:12]
	ds_read2_b64 v[5:8], v25 offset0:4 offset1:5
	ds_read2_b64 v[9:12], v25 offset0:6 offset1:7
	s_waitcnt lgkmcnt(1)
	v_add_f64 v[5:6], v[18:19], v[5:6]
	v_add_f64 v[5:6], v[5:6], v[7:8]
	s_waitcnt lgkmcnt(0)
	v_add_f64 v[5:6], v[5:6], v[9:10]
	v_add_f64 v[60:61], v[5:6], v[11:12]
.LBB98_50:
	s_or_b32 exec_lo, exec_lo, s3
	v_add_co_u32 v5, vcc_lo, 0xffffff00, v3
	v_add_co_ci_u32_e64 v6, null, -1, v4, vcc_lo
	s_and_b32 vcc_lo, exec_lo, s26
	s_barrier
	buffer_gl0_inv
	s_cbranch_vccz .LBB98_63
; %bb.51:
	v_sub_co_u32 v7, vcc_lo, v3, v20
	s_ashr_i32 s17, s16, 31
	v_subrev_co_ci_u32_e64 v8, null, 0, v4, vcc_lo
	s_lshl_b64 s[8:9], s[16:17], 3
	v_mov_b32_e32 v11, 0
	v_add_co_u32 v7, vcc_lo, v7, s8
	v_add_co_ci_u32_e64 v8, null, s9, v8, vcc_lo
	v_mov_b32_e32 v9, 0
	v_add_co_u32 v7, vcc_lo, 0xfffffef8, v7
	v_add_co_ci_u32_e64 v8, null, -1, v8, vcc_lo
	v_cmp_gt_i32_e32 vcc_lo, s16, v2
	v_mov_b32_e32 v12, 0
	v_mov_b32_e32 v10, 0
	s_sub_i32 s10, s16, 32
	s_mov_b32 s14, exec_lo
	v_cndmask_b32_e32 v8, v8, v6, vcc_lo
	v_cndmask_b32_e32 v7, v7, v5, vcc_lo
	v_cmpx_gt_i32_e64 s10, v13
	s_cbranch_execz .LBB98_53
; %bb.52:
	global_load_dwordx2 v[9:10], v[7:8], off
.LBB98_53:
	s_or_b32 exec_lo, exec_lo, s14
	v_add_nc_u32_e32 v31, 8, v13
	s_mov_b32 s14, exec_lo
	s_waitcnt vmcnt(0)
	ds_write_b64 v29, v[9:10]
	v_cmpx_gt_i32_e64 s10, v31
	s_cbranch_execz .LBB98_55
; %bb.54:
	s_lshl_b64 s[26:27], s[12:13], 6
	v_add_co_u32 v9, s3, v7, s26
	v_add_co_ci_u32_e64 v10, null, s27, v8, s3
	global_load_dwordx2 v[11:12], v[9:10], off
.LBB98_55:
	s_or_b32 exec_lo, exec_lo, s14
	v_mov_b32_e32 v9, 0
	v_mov_b32_e32 v18, 0
	v_add_nc_u32_e32 v2, 16, v13
	v_add_nc_u32_e32 v22, v22, v23
	v_mov_b32_e32 v10, 0
	v_mov_b32_e32 v19, 0
	s_mov_b32 s14, exec_lo
	s_waitcnt vmcnt(0)
	ds_write_b64 v22, v[11:12] offset:2112
	v_cmpx_gt_i32_e64 s10, v2
	s_cbranch_execz .LBB98_57
; %bb.56:
	s_lshl_b64 s[26:27], s[12:13], 7
	v_add_co_u32 v11, s3, v7, s26
	v_add_co_ci_u32_e64 v12, null, s27, v8, s3
	global_load_dwordx2 v[18:19], v[11:12], off
.LBB98_57:
	s_or_b32 exec_lo, exec_lo, s14
	v_add_nc_u32_e32 v11, 24, v13
	s_waitcnt vmcnt(0)
	ds_write_b64 v22, v[18:19] offset:4224
	v_cmp_gt_i32_e64 s3, s10, v11
	s_and_saveexec_b32 s10, s3
	s_cbranch_execz .LBB98_59
; %bb.58:
	v_mad_u64_u32 v[9:10], null, 0xc0, s12, v[7:8]
	v_mad_u64_u32 v[18:19], null, 0xc0, s13, v[10:11]
	v_mov_b32_e32 v10, v18
	global_load_dwordx2 v[9:10], v[9:10], off
.LBB98_59:
	s_or_b32 exec_lo, exec_lo, s10
	v_add_co_u32 v7, s3, v7, v20
	v_add_co_ci_u32_e64 v8, null, 0, v8, s3
	s_waitcnt vmcnt(0)
	ds_write_b64 v22, v[9:10] offset:6336
	v_sub_co_u32 v7, s3, v7, s8
	v_subrev_co_ci_u32_e64 v8, null, s9, v8, s3
	v_add_co_u32 v7, s3, v7, 8
	v_add_co_ci_u32_e64 v8, null, 0, v8, s3
	v_cndmask_b32_e32 v18, v7, v5, vcc_lo
	v_cndmask_b32_e32 v19, v8, v6, vcc_lo
	s_branch .LBB98_65
.LBB98_60:
	ds_read_b64 v[7:8], v28
	s_waitcnt lgkmcnt(0)
	ds_write_b64 v5, v[7:8]
	s_or_b32 exec_lo, exec_lo, s10
	v_add_nc_u32_e32 v27, v23, v6
	s_and_saveexec_b32 s2, s3
	s_cbranch_execz .LBB98_45
.LBB98_61:
	ds_read_b64 v[6:7], v27
	s_waitcnt lgkmcnt(0)
	ds_write_b64 v5, v[6:7] offset:8
	s_or_b32 exec_lo, exec_lo, s2
	s_and_saveexec_b32 s2, s8
	s_cbranch_execz .LBB98_46
.LBB98_62:
	ds_read_b64 v[6:7], v27 offset:264
	s_waitcnt lgkmcnt(0)
	ds_write_b64 v5, v[6:7] offset:16
	s_or_b32 exec_lo, exec_lo, s2
	v_add_nc_u32_e32 v30, 0x2380, v30
	s_and_saveexec_b32 s2, s9
	s_cbranch_execnz .LBB98_47
	s_branch .LBB98_48
.LBB98_63:
                                        ; implicit-def: $vgpr18_vgpr19
                                        ; implicit-def: $vgpr31
                                        ; implicit-def: $vgpr2
                                        ; implicit-def: $vgpr11
	s_cbranch_execz .LBB98_65
; %bb.64:
	s_lshl_b64 s[8:9], s[12:13], 6
	v_mov_b32_e32 v19, v6
	v_add_co_u32 v7, vcc_lo, v3, s8
	v_add_co_ci_u32_e64 v8, null, s9, v4, vcc_lo
	v_add_nc_u32_e32 v31, 8, v13
	v_add_co_u32 v9, vcc_lo, v7, s8
	v_add_co_ci_u32_e64 v10, null, s9, v8, vcc_lo
	v_add_nc_u32_e32 v2, 16, v13
	v_add_co_u32 v11, vcc_lo, v9, s8
	v_add_co_ci_u32_e64 v12, null, s9, v10, vcc_lo
	s_clause 0x3
	global_load_dwordx2 v[3:4], v[3:4], off offset:-256
	global_load_dwordx2 v[7:8], v[7:8], off offset:-256
	global_load_dwordx2 v[9:10], v[9:10], off offset:-256
	global_load_dwordx2 v[22:23], v[11:12], off offset:-256
	v_add_nc_u32_e32 v11, 24, v13
	v_mov_b32_e32 v18, v5
	s_waitcnt vmcnt(3)
	ds_write_b64 v29, v[3:4]
	s_waitcnt vmcnt(2)
	ds_write_b64 v29, v[7:8] offset:2112
	s_waitcnt vmcnt(1)
	ds_write_b64 v29, v[9:10] offset:4224
	;; [unrolled: 2-line block ×3, first 2 shown]
.LBB98_65:
	v_lshlrev_b32_e32 v7, 3, v13
	v_lshlrev_b32_e32 v9, 3, v31
	s_waitcnt lgkmcnt(0)
	s_barrier
	buffer_gl0_inv
	v_add_nc_u32_e32 v3, v25, v7
	v_lshlrev_b32_e32 v2, 3, v2
	v_lshlrev_b32_e32 v13, 3, v11
	ds_read_b64 v[3:4], v3
	ds_read_b64 v[5:6], v9 offset:9088
	ds_read_b64 v[7:8], v7 offset:9088
	v_add_nc_u32_e32 v9, v25, v9
	ds_read_b64 v[20:21], v21
	v_add_nc_u32_e32 v22, v25, v2
	s_waitcnt lgkmcnt(1)
	v_fma_f64 v[3:4], v[3:4], v[7:8], 0
	ds_read_b64 v[7:8], v9
	ds_read_b64 v[9:10], v13 offset:9088
	ds_read_b64 v[11:12], v2 offset:9088
	s_waitcnt lgkmcnt(2)
	v_fma_f64 v[2:3], v[7:8], v[5:6], v[3:4]
	ds_read_b64 v[4:5], v22
	v_add_nc_u32_e32 v6, v25, v13
	s_waitcnt lgkmcnt(0)
	v_fma_f64 v[2:3], v[4:5], v[11:12], v[2:3]
	ds_read_b64 v[4:5], v6
	ds_read_b64 v[22:23], v28
	s_waitcnt lgkmcnt(1)
	v_fma_f64 v[28:29], v[4:5], v[9:10], v[2:3]
	ds_read_b128 v[10:13], v30 offset:256
	ds_read_b128 v[2:5], v30 offset:272
	ds_read2_b64 v[6:9], v27 offset1:33
	s_waitcnt lgkmcnt(0)
	s_barrier
	buffer_gl0_inv
	ds_write_b64 v26, v[28:29]
	s_waitcnt lgkmcnt(0)
	s_barrier
	buffer_gl0_inv
	s_and_saveexec_b32 s3, s2
	s_cbranch_execz .LBB98_67
; %bb.66:
	ds_read2_b64 v[27:30], v25 offset1:1
	ds_read2_b64 v[31:34], v25 offset0:2 offset1:3
	s_waitcnt lgkmcnt(1)
	v_add_f64 v[27:28], v[60:61], v[27:28]
	v_add_f64 v[27:28], v[27:28], v[29:30]
	s_waitcnt lgkmcnt(0)
	v_add_f64 v[27:28], v[27:28], v[31:32]
	v_add_f64 v[35:36], v[27:28], v[33:34]
	ds_read2_b64 v[27:30], v25 offset0:4 offset1:5
	ds_read2_b64 v[31:34], v25 offset0:6 offset1:7
	s_waitcnt lgkmcnt(1)
	v_add_f64 v[27:28], v[35:36], v[27:28]
	v_add_f64 v[27:28], v[27:28], v[29:30]
	s_waitcnt lgkmcnt(0)
	v_add_f64 v[27:28], v[27:28], v[31:32]
	v_add_f64 v[60:61], v[27:28], v[33:34]
.LBB98_67:
	s_or_b32 exec_lo, exec_lo, s3
	v_fma_f64 v[10:11], v[22:23], v[10:11], 0
	s_barrier
	buffer_gl0_inv
	v_fma_f64 v[6:7], v[6:7], v[12:13], v[10:11]
	v_fma_f64 v[2:3], v[8:9], v[2:3], v[6:7]
	;; [unrolled: 1-line block ×3, first 2 shown]
	ds_write_b64 v26, v[2:3]
	s_waitcnt lgkmcnt(0)
	s_barrier
	buffer_gl0_inv
	s_and_saveexec_b32 s2, s1
	s_cbranch_execz .LBB98_69
; %bb.68:
	ds_read2_b64 v[2:5], v25 offset1:1
	ds_read2_b64 v[6:9], v25 offset0:2 offset1:3
	s_waitcnt lgkmcnt(1)
	v_add_f64 v[2:3], v[60:61], v[2:3]
	v_add_f64 v[2:3], v[2:3], v[4:5]
	s_waitcnt lgkmcnt(0)
	v_add_f64 v[2:3], v[2:3], v[6:7]
	v_add_f64 v[10:11], v[2:3], v[8:9]
	ds_read2_b64 v[2:5], v25 offset0:4 offset1:5
	ds_read2_b64 v[6:9], v25 offset0:6 offset1:7
	s_waitcnt lgkmcnt(1)
	v_add_f64 v[2:3], v[10:11], v[2:3]
	v_add_f64 v[2:3], v[2:3], v[4:5]
	s_waitcnt lgkmcnt(0)
	v_add_f64 v[2:3], v[2:3], v[6:7]
	v_add_f64 v[60:61], v[2:3], v[8:9]
.LBB98_69:
	s_or_b32 exec_lo, exec_lo, s2
	s_load_dwordx2 s[2:3], s[4:5], 0x68
	s_mul_hi_u32 s1, s24, s7
	s_mul_i32 s25, s25, s7
	s_mul_i32 s4, s24, s7
	s_add_i32 s1, s1, s25
	s_mul_hi_u32 s5, s4, s22
	s_mul_i32 s1, s1, s22
	s_mul_i32 s4, s4, s22
	s_add_i32 s5, s5, s1
	s_mul_hi_i32 s9, s24, s6
	s_lshl_b64 s[4:5], s[4:5], 3
	s_mul_i32 s8, s24, s6
	v_lshlrev_b32_e32 v94, 3, v0
	s_waitcnt lgkmcnt(0)
	s_barrier
	buffer_gl0_inv
	s_add_u32 s1, s2, s4
	s_addc_u32 s2, s3, s5
	s_lshl_b64 s[4:5], s[8:9], 3
	s_add_u32 s3, s1, s4
	s_addc_u32 s7, s2, s5
	s_add_i32 s1, s6, 1
	s_cmp_ge_u32 s1, s22
	s_cbranch_scc1 .LBB98_126
; %bb.70:
	v_lshrrev_b32_e32 v2, 4, v24
	v_lshlrev_b32_e32 v12, 5, v1
	v_and_b32_e32 v5, 48, v0
	v_and_b32_e32 v4, 15, v0
	v_or_b32_e32 v7, 0x78, v94
	v_lshlrev_b32_e32 v3, 5, v2
	v_add_nc_u32_e32 v6, 0x100, v12
	v_lshlrev_b32_e32 v5, 3, v5
	v_add_nc_u32_e32 v9, 0x110, v12
	s_mul_i32 s1, s20, s19
	s_mul_hi_u32 s2, s20, s18
	v_mad_u32_u24 v101, 0x218, v4, v3
	v_mul_i32_i24_e32 v13, 0xffffffe8, v2
	v_mad_u64_u32 v[2:3], null, s12, v6, 0
	v_mad_u32_u24 v102, 0x218, v4, v5
	v_mad_u32_u24 v103, 0x218, v4, v7
	v_mad_u64_u32 v[4:5], null, s12, v9, 0
	s_mul_i32 s4, s21, s18
	s_add_i32 s1, s2, s1
	v_add_nc_u32_e32 v25, 0x190, v12
	s_add_i32 s5, s1, s4
	s_mul_i32 s4, s20, s18
	v_cmp_gt_u32_e64 s1, 64, v24
	s_lshl_b64 s[4:5], s[4:5], 3
	v_mad_u64_u32 v[6:7], null, s13, v6, v[3:4]
	v_sub_co_u32 v96, vcc_lo, v16, s4
	v_mov_b32_e32 v3, v5
	v_subrev_co_ci_u32_e64 v97, null, s5, v17, vcc_lo
	v_add_nc_u32_e32 v16, 0x118, v12
	v_add_nc_u32_e32 v17, 0x108, v12
	v_mad_u64_u32 v[9:10], null, s13, v9, v[3:4]
	v_sub_co_u32 v20, vcc_lo, v2, v14
	v_mad_u64_u32 v[7:8], null, s12, v16, 0
	v_mad_u64_u32 v[10:11], null, s12, v17, 0
	v_sub_co_ci_u32_e64 v21, null, v6, v15, vcc_lo
	v_sub_co_u32 v22, vcc_lo, v4, v14
	v_mov_b32_e32 v2, v8
	v_add_nc_u32_e32 v8, 0x180, v12
	v_mov_b32_e32 v3, v11
	v_sub_co_ci_u32_e64 v23, null, v9, v15, vcc_lo
	v_add_nc_u32_e32 v9, 0x188, v12
	v_sub_co_u32 v11, vcc_lo, v7, v14
	v_mad_u64_u32 v[4:5], null, s13, v16, v[2:3]
	v_mad_u64_u32 v[5:6], null, s12, v8, 0
	v_add_nc_u32_e32 v26, 0x198, v12
	v_add_nc_u32_e32 v33, 0x210, v12
	;; [unrolled: 1-line block ×4, first 2 shown]
	v_mad_u64_u32 v[2:3], null, s13, v17, v[3:4]
	v_mov_b32_e32 v3, v6
	v_mad_u64_u32 v[6:7], null, s12, v9, 0
	v_sub_co_ci_u32_e64 v16, null, v4, v15, vcc_lo
	v_sub_co_u32 v17, vcc_lo, v10, v14
	v_sub_co_ci_u32_e64 v24, null, v2, v15, vcc_lo
	v_mad_u64_u32 v[2:3], null, s13, v8, v[3:4]
	v_mov_b32_e32 v3, v7
	v_mad_u64_u32 v[7:8], null, s12, v25, 0
	v_sub_co_u32 v27, vcc_lo, v5, v14
	v_mad_u64_u32 v[3:4], null, s13, v9, v[3:4]
	v_mad_u64_u32 v[9:10], null, s12, v26, 0
	v_sub_co_ci_u32_e64 v28, null, v2, v15, vcc_lo
	v_sub_co_u32 v29, vcc_lo, v6, v14
	v_mov_b32_e32 v2, v8
	v_sub_co_ci_u32_e64 v30, null, v3, v15, vcc_lo
	v_mov_b32_e32 v3, v10
	v_add_nc_u32_e32 v8, 0x200, v12
	v_add_nc_u32_e32 v10, 0x208, v12
	;; [unrolled: 1-line block ×3, first 2 shown]
	v_lshlrev_b32_e32 v95, 2, v1
	v_mad_u64_u32 v[4:5], null, s13, v25, v[2:3]
	v_mad_u64_u32 v[5:6], null, s12, v8, 0
	v_sub_co_u32 v25, vcc_lo, v7, v14
	v_add_nc_u32_e32 v99, 0x2380, v94
	v_mad_u32_u24 v100, 0x860, v1, v94
	v_mad_u64_u32 v[2:3], null, s13, v26, v[3:4]
	v_mov_b32_e32 v3, v6
	v_mad_u64_u32 v[6:7], null, s12, v10, 0
	v_sub_co_ci_u32_e64 v26, null, v4, v15, vcc_lo
	v_sub_co_u32 v31, vcc_lo, v9, v14
	v_sub_co_ci_u32_e64 v32, null, v2, v15, vcc_lo
	v_mad_u64_u32 v[2:3], null, s13, v8, v[3:4]
	v_mov_b32_e32 v3, v7
	v_mad_u64_u32 v[7:8], null, s12, v33, 0
	v_sub_co_u32 v35, vcc_lo, v5, v14
	v_mad_u64_u32 v[3:4], null, s13, v10, v[3:4]
	v_mad_u64_u32 v[9:10], null, s12, v34, 0
	v_sub_co_ci_u32_e64 v36, null, v2, v15, vcc_lo
	v_sub_co_u32 v37, vcc_lo, v6, v14
	v_mov_b32_e32 v2, v8
	v_sub_co_ci_u32_e64 v38, null, v3, v15, vcc_lo
	v_mov_b32_e32 v3, v10
	v_add_nc_u32_e32 v8, 0x280, v12
	v_add_nc_u32_e32 v10, 0x288, v12
	v_add_nc_u32_e32 v12, 0x298, v12
	v_or_b32_e32 v104, 1, v95
	v_mad_u64_u32 v[4:5], null, s13, v33, v[2:3]
	v_mad_u64_u32 v[5:6], null, s12, v8, 0
	v_sub_co_u32 v33, vcc_lo, v7, v14
	v_or_b32_e32 v105, 2, v95
	v_or_b32_e32 v106, 3, v95
	v_mad_u64_u32 v[2:3], null, s13, v34, v[3:4]
	v_mov_b32_e32 v3, v6
	v_mad_u64_u32 v[6:7], null, s12, v10, 0
	v_sub_co_ci_u32_e64 v34, null, v4, v15, vcc_lo
	v_sub_co_u32 v39, vcc_lo, v9, v14
	v_sub_co_ci_u32_e64 v40, null, v2, v15, vcc_lo
	v_mad_u64_u32 v[2:3], null, s13, v8, v[3:4]
	v_mov_b32_e32 v3, v7
	v_mad_u64_u32 v[7:8], null, s12, v41, 0
	v_sub_co_u32 v42, vcc_lo, v5, v14
	v_mad_u64_u32 v[3:4], null, s13, v10, v[3:4]
	v_mad_u64_u32 v[9:10], null, s12, v12, 0
	v_sub_co_ci_u32_e64 v43, null, v2, v15, vcc_lo
	v_sub_co_u32 v6, vcc_lo, v6, v14
	v_mov_b32_e32 v2, v8
	v_sub_co_ci_u32_e64 v8, null, v3, v15, vcc_lo
	v_mov_b32_e32 v3, v10
	v_add_nc_u32_e32 v107, 16, v95
	v_add_nc_u32_e32 v108, 17, v95
	;; [unrolled: 1-line block ×4, first 2 shown]
	v_mad_u64_u32 v[4:5], null, s13, v41, v[2:3]
	v_add_nc_u32_e32 v111, 32, v95
	v_add_nc_u32_e32 v112, 33, v95
	;; [unrolled: 1-line block ×6, first 2 shown]
	v_mad_u64_u32 v[2:3], null, s13, v12, v[3:4]
	v_sub_co_u32 v3, vcc_lo, v7, v14
	v_sub_co_ci_u32_e64 v4, null, v4, v15, vcc_lo
	v_sub_co_u32 v5, vcc_lo, v9, v14
	v_sub_co_ci_u32_e64 v2, null, v2, v15, vcc_lo
	v_add_co_u32 v116, vcc_lo, v18, v20
	v_add_co_ci_u32_e64 v117, null, v19, v21, vcc_lo
	v_add_co_u32 v118, vcc_lo, v18, v22
	v_add_co_ci_u32_e64 v119, null, v19, v23, vcc_lo
	;; [unrolled: 2-line block ×16, first 2 shown]
	v_add_nc_u32_e32 v149, 50, v95
	v_add_nc_u32_e32 v150, v101, v13
	v_add_nc_u32_e32 v151, 51, v95
	s_add_i32 s8, s22, -2
	s_add_i32 s9, s18, 64
	s_lshl_b64 s[4:5], s[12:13], 9
	s_cmp_eq_u32 s8, s6
	s_cselect_b32 s10, s23, 0
	s_and_saveexec_b32 s2, s0
	s_cbranch_execz .LBB98_74
.LBB98_71:
	v_cmp_gt_i32_e32 vcc_lo, s10, v0
	s_cmp_eq_u32 s10, 0
	v_mov_b32_e32 v2, 0
	v_mov_b32_e32 v3, 0
	s_cselect_b32 s12, -1, 0
	s_or_b32 s13, s12, vcc_lo
	s_and_saveexec_b32 s12, s13
	s_cbranch_execz .LBB98_73
; %bb.72:
	s_ashr_i32 s13, s9, 31
	s_mul_hi_u32 s14, s20, s9
	s_mul_i32 s13, s20, s13
	s_mul_i32 s15, s21, s9
	s_add_i32 s13, s14, s13
	s_mul_i32 s14, s20, s9
	s_add_i32 s15, s13, s15
	s_lshl_b64 s[14:15], s[14:15], 3
	v_add_co_u32 v2, vcc_lo, v96, s14
	v_add_co_ci_u32_e64 v3, null, s15, v97, vcc_lo
	global_load_dwordx2 v[2:3], v[2:3], off
.LBB98_73:
	s_or_b32 exec_lo, exec_lo, s12
	v_add_nc_u32_e32 v4, 0x2180, v94
	s_waitcnt vmcnt(0)
	ds_write_b64 v4, v[2:3]
.LBB98_74:                              ; =>This Inner Loop Header: Depth=1
	s_or_b32 exec_lo, exec_lo, s2
	s_cmp_eq_u32 s10, 0
	v_add_co_u32 v2, vcc_lo, v116, v94
	s_cselect_b32 s12, -1, 0
	s_cmp_lg_u32 s10, 0
	v_add_co_ci_u32_e64 v3, null, 0, v117, vcc_lo
	s_cselect_b32 s2, -1, 0
	s_mov_b32 s13, -1
	s_and_b32 vcc_lo, exec_lo, s2
	s_waitcnt lgkmcnt(0)
	s_barrier
	buffer_gl0_inv
                                        ; implicit-def: $vgpr68_vgpr69
                                        ; implicit-def: $vgpr66_vgpr67
                                        ; implicit-def: $vgpr64_vgpr65
                                        ; implicit-def: $vgpr62_vgpr63
	s_cbranch_vccz .LBB98_84
; %bb.75:                               ;   in Loop: Header=BB98_74 Depth=1
	v_mov_b32_e32 v64, 0
	v_mov_b32_e32 v62, 0
	;; [unrolled: 1-line block ×4, first 2 shown]
	s_mov_b32 s13, exec_lo
	v_cmpx_gt_i32_e64 s10, v95
	s_cbranch_execz .LBB98_77
; %bb.76:                               ;   in Loop: Header=BB98_74 Depth=1
	global_load_dwordx2 v[62:63], v[2:3], off
.LBB98_77:                              ;   in Loop: Header=BB98_74 Depth=1
	s_or_b32 exec_lo, exec_lo, s13
	s_mov_b32 s13, exec_lo
	v_cmpx_gt_i32_e64 s10, v104
	s_cbranch_execz .LBB98_79
; %bb.78:                               ;   in Loop: Header=BB98_74 Depth=1
	v_add_co_u32 v4, vcc_lo, v122, v94
	v_add_co_ci_u32_e64 v5, null, 0, v123, vcc_lo
	global_load_dwordx2 v[64:65], v[4:5], off
.LBB98_79:                              ;   in Loop: Header=BB98_74 Depth=1
	s_or_b32 exec_lo, exec_lo, s13
	v_mov_b32_e32 v68, 0
	v_mov_b32_e32 v66, 0
	;; [unrolled: 1-line block ×4, first 2 shown]
	s_mov_b32 s13, exec_lo
	v_cmpx_gt_i32_e64 s10, v105
	s_cbranch_execz .LBB98_81
; %bb.80:                               ;   in Loop: Header=BB98_74 Depth=1
	v_add_co_u32 v4, vcc_lo, v118, v94
	v_add_co_ci_u32_e64 v5, null, 0, v119, vcc_lo
	global_load_dwordx2 v[66:67], v[4:5], off
.LBB98_81:                              ;   in Loop: Header=BB98_74 Depth=1
	s_or_b32 exec_lo, exec_lo, s13
	s_mov_b32 s13, exec_lo
	v_cmpx_gt_i32_e64 s10, v106
	s_cbranch_execz .LBB98_83
; %bb.82:                               ;   in Loop: Header=BB98_74 Depth=1
	v_add_co_u32 v4, vcc_lo, v120, v94
	v_add_co_ci_u32_e64 v5, null, 0, v121, vcc_lo
	global_load_dwordx2 v[68:69], v[4:5], off
.LBB98_83:                              ;   in Loop: Header=BB98_74 Depth=1
	s_or_b32 exec_lo, exec_lo, s13
	s_mov_b32 s13, 0
.LBB98_84:                              ;   in Loop: Header=BB98_74 Depth=1
	s_and_b32 vcc_lo, exec_lo, s13
	s_cbranch_vccz .LBB98_86
; %bb.85:                               ;   in Loop: Header=BB98_74 Depth=1
	v_add_co_u32 v4, vcc_lo, v122, v94
	v_add_co_ci_u32_e64 v5, null, 0, v123, vcc_lo
	v_add_co_u32 v6, vcc_lo, v118, v94
	v_add_co_ci_u32_e64 v7, null, 0, v119, vcc_lo
	;; [unrolled: 2-line block ×3, first 2 shown]
	global_load_dwordx2 v[62:63], v[2:3], off
	global_load_dwordx2 v[64:65], v[4:5], off
	;; [unrolled: 1-line block ×4, first 2 shown]
.LBB98_86:                              ;   in Loop: Header=BB98_74 Depth=1
	ds_read_b64 v[2:3], v99
	v_add_co_u32 v18, vcc_lo, v124, v94
	v_cndmask_b32_e64 v42, 0, 1, s2
	v_add_co_ci_u32_e64 v19, null, 0, v125, vcc_lo
	s_andn2_b32 vcc_lo, exec_lo, s2
	s_mov_b32 s2, -1
                                        ; implicit-def: $vgpr76_vgpr77
                                        ; implicit-def: $vgpr74_vgpr75
                                        ; implicit-def: $vgpr72_vgpr73
                                        ; implicit-def: $vgpr70_vgpr71
	s_waitcnt vmcnt(0) lgkmcnt(0)
	v_mul_f64 v[10:11], v[62:63], v[2:3]
	v_mul_f64 v[12:13], v[64:65], v[2:3]
	;; [unrolled: 1-line block ×4, first 2 shown]
	ds_read_b128 v[6:9], v98
	ds_read_b128 v[2:5], v98 offset:16
	ds_write2_b64 v100, v[10:11], v[12:13] offset1:67
	ds_write2_b64 v100, v[14:15], v[16:17] offset0:134 offset1:201
	s_waitcnt lgkmcnt(0)
	s_barrier
	buffer_gl0_inv
	ds_read2_b64 v[14:17], v101 offset1:1
	ds_read2_b64 v[10:13], v101 offset0:2 offset1:3
	s_waitcnt lgkmcnt(0)
	s_barrier
	buffer_gl0_inv
	s_cbranch_vccnz .LBB98_96
; %bb.87:                               ;   in Loop: Header=BB98_74 Depth=1
	v_mov_b32_e32 v72, 0
	v_mov_b32_e32 v70, 0
	;; [unrolled: 1-line block ×4, first 2 shown]
	s_mov_b32 s2, exec_lo
	v_cmpx_gt_i32_e64 s10, v107
	s_cbranch_execz .LBB98_89
; %bb.88:                               ;   in Loop: Header=BB98_74 Depth=1
	global_load_dwordx2 v[70:71], v[18:19], off
.LBB98_89:                              ;   in Loop: Header=BB98_74 Depth=1
	s_or_b32 exec_lo, exec_lo, s2
	s_mov_b32 s2, exec_lo
	v_cmpx_gt_i32_e64 s10, v108
	s_cbranch_execz .LBB98_91
; %bb.90:                               ;   in Loop: Header=BB98_74 Depth=1
	v_add_co_u32 v20, vcc_lo, v126, v94
	v_add_co_ci_u32_e64 v21, null, 0, v127, vcc_lo
	global_load_dwordx2 v[72:73], v[20:21], off
.LBB98_91:                              ;   in Loop: Header=BB98_74 Depth=1
	s_or_b32 exec_lo, exec_lo, s2
	v_mov_b32_e32 v76, 0
	v_mov_b32_e32 v74, 0
	;; [unrolled: 1-line block ×4, first 2 shown]
	s_mov_b32 s2, exec_lo
	v_cmpx_gt_i32_e64 s10, v109
	s_cbranch_execz .LBB98_93
; %bb.92:                               ;   in Loop: Header=BB98_74 Depth=1
	v_add_co_u32 v20, vcc_lo, v128, v94
	v_add_co_ci_u32_e64 v21, null, 0, v129, vcc_lo
	global_load_dwordx2 v[74:75], v[20:21], off
.LBB98_93:                              ;   in Loop: Header=BB98_74 Depth=1
	s_or_b32 exec_lo, exec_lo, s2
	s_mov_b32 s2, exec_lo
	v_cmpx_gt_i32_e64 s10, v110
	s_cbranch_execz .LBB98_95
; %bb.94:                               ;   in Loop: Header=BB98_74 Depth=1
	v_add_co_u32 v20, vcc_lo, v130, v94
	v_add_co_ci_u32_e64 v21, null, 0, v131, vcc_lo
	global_load_dwordx2 v[76:77], v[20:21], off
.LBB98_95:                              ;   in Loop: Header=BB98_74 Depth=1
	s_or_b32 exec_lo, exec_lo, s2
	s_mov_b32 s2, 0
.LBB98_96:                              ;   in Loop: Header=BB98_74 Depth=1
	s_and_b32 vcc_lo, exec_lo, s2
	s_cbranch_vccz .LBB98_98
; %bb.97:                               ;   in Loop: Header=BB98_74 Depth=1
	v_add_co_u32 v20, vcc_lo, v126, v94
	v_add_co_ci_u32_e64 v21, null, 0, v127, vcc_lo
	v_add_co_u32 v22, vcc_lo, v128, v94
	v_add_co_ci_u32_e64 v23, null, 0, v129, vcc_lo
	;; [unrolled: 2-line block ×3, first 2 shown]
	global_load_dwordx2 v[70:71], v[18:19], off
	global_load_dwordx2 v[72:73], v[20:21], off
	global_load_dwordx2 v[74:75], v[22:23], off
	global_load_dwordx2 v[76:77], v[24:25], off
.LBB98_98:                              ;   in Loop: Header=BB98_74 Depth=1
	ds_read_b64 v[18:19], v99
	v_cmp_ne_u32_e32 vcc_lo, 1, v42
                                        ; implicit-def: $vgpr84_vgpr85
                                        ; implicit-def: $vgpr82_vgpr83
                                        ; implicit-def: $vgpr80_vgpr81
                                        ; implicit-def: $vgpr78_vgpr79
	s_and_b32 vcc_lo, exec_lo, vcc_lo
	s_waitcnt vmcnt(0) lgkmcnt(0)
	v_mul_f64 v[26:27], v[70:71], v[18:19]
	v_mul_f64 v[28:29], v[72:73], v[18:19]
	;; [unrolled: 1-line block ×4, first 2 shown]
	ds_read_b128 v[22:25], v98 offset:128
	ds_read_b128 v[18:21], v98 offset:144
	ds_write2_b64 v100, v[26:27], v[28:29] offset1:67
	ds_write2_b64 v100, v[30:31], v[32:33] offset0:134 offset1:201
	s_waitcnt lgkmcnt(0)
	s_barrier
	buffer_gl0_inv
	ds_read2_b64 v[38:41], v101 offset1:1
	ds_read2_b64 v[26:29], v101 offset0:2 offset1:3
	v_add_co_u32 v30, s2, v132, v94
	v_add_co_ci_u32_e64 v31, null, 0, v133, s2
	s_mov_b32 s2, -1
	s_waitcnt lgkmcnt(0)
	s_barrier
	buffer_gl0_inv
	s_cbranch_vccnz .LBB98_108
; %bb.99:                               ;   in Loop: Header=BB98_74 Depth=1
	v_mov_b32_e32 v80, 0
	v_mov_b32_e32 v78, 0
	;; [unrolled: 1-line block ×4, first 2 shown]
	s_mov_b32 s2, exec_lo
	v_cmpx_gt_i32_e64 s10, v111
	s_cbranch_execz .LBB98_101
; %bb.100:                              ;   in Loop: Header=BB98_74 Depth=1
	global_load_dwordx2 v[78:79], v[30:31], off
.LBB98_101:                             ;   in Loop: Header=BB98_74 Depth=1
	s_or_b32 exec_lo, exec_lo, s2
	s_mov_b32 s2, exec_lo
	v_cmpx_gt_i32_e64 s10, v112
	s_cbranch_execz .LBB98_103
; %bb.102:                              ;   in Loop: Header=BB98_74 Depth=1
	v_add_co_u32 v32, vcc_lo, v134, v94
	v_add_co_ci_u32_e64 v33, null, 0, v135, vcc_lo
	global_load_dwordx2 v[80:81], v[32:33], off
.LBB98_103:                             ;   in Loop: Header=BB98_74 Depth=1
	s_or_b32 exec_lo, exec_lo, s2
	v_mov_b32_e32 v84, 0
	v_mov_b32_e32 v82, 0
	;; [unrolled: 1-line block ×4, first 2 shown]
	s_mov_b32 s2, exec_lo
	v_cmpx_gt_i32_e64 s10, v113
	s_cbranch_execz .LBB98_105
; %bb.104:                              ;   in Loop: Header=BB98_74 Depth=1
	v_add_co_u32 v32, vcc_lo, v136, v94
	v_add_co_ci_u32_e64 v33, null, 0, v137, vcc_lo
	global_load_dwordx2 v[82:83], v[32:33], off
.LBB98_105:                             ;   in Loop: Header=BB98_74 Depth=1
	s_or_b32 exec_lo, exec_lo, s2
	s_mov_b32 s2, exec_lo
	v_cmpx_gt_i32_e64 s10, v114
	s_cbranch_execz .LBB98_107
; %bb.106:                              ;   in Loop: Header=BB98_74 Depth=1
	v_add_co_u32 v32, vcc_lo, v138, v94
	v_add_co_ci_u32_e64 v33, null, 0, v139, vcc_lo
	global_load_dwordx2 v[84:85], v[32:33], off
.LBB98_107:                             ;   in Loop: Header=BB98_74 Depth=1
	s_or_b32 exec_lo, exec_lo, s2
	s_mov_b32 s2, 0
.LBB98_108:                             ;   in Loop: Header=BB98_74 Depth=1
	s_and_b32 vcc_lo, exec_lo, s2
	s_cbranch_vccz .LBB98_110
; %bb.109:                              ;   in Loop: Header=BB98_74 Depth=1
	v_add_co_u32 v32, vcc_lo, v134, v94
	v_add_co_ci_u32_e64 v33, null, 0, v135, vcc_lo
	v_add_co_u32 v34, vcc_lo, v136, v94
	v_add_co_ci_u32_e64 v35, null, 0, v137, vcc_lo
	;; [unrolled: 2-line block ×3, first 2 shown]
	global_load_dwordx2 v[78:79], v[30:31], off
	global_load_dwordx2 v[80:81], v[32:33], off
	;; [unrolled: 1-line block ×4, first 2 shown]
.LBB98_110:                             ;   in Loop: Header=BB98_74 Depth=1
	ds_read_b64 v[30:31], v99
	v_cmp_ne_u32_e32 vcc_lo, 1, v42
	v_add_co_u32 v42, s2, v140, v94
                                        ; implicit-def: $vgpr86_vgpr87
                                        ; implicit-def: $vgpr92_vgpr93
                                        ; implicit-def: $vgpr88_vgpr89
                                        ; implicit-def: $vgpr90_vgpr91
	s_and_b32 vcc_lo, exec_lo, vcc_lo
	s_waitcnt vmcnt(0) lgkmcnt(0)
	v_mul_f64 v[43:44], v[78:79], v[30:31]
	v_mul_f64 v[45:46], v[80:81], v[30:31]
	;; [unrolled: 1-line block ×4, first 2 shown]
	ds_read_b128 v[34:37], v98 offset:256
	ds_read_b128 v[30:33], v98 offset:272
	ds_write2_b64 v100, v[43:44], v[45:46] offset1:67
	ds_write2_b64 v100, v[47:48], v[49:50] offset0:134 offset1:201
	s_waitcnt lgkmcnt(0)
	s_barrier
	buffer_gl0_inv
	ds_read2_b64 v[50:53], v101 offset1:1
	ds_read2_b64 v[46:49], v101 offset0:2 offset1:3
	v_add_co_ci_u32_e64 v43, null, 0, v141, s2
	s_mov_b32 s2, -1
	s_waitcnt lgkmcnt(0)
	s_barrier
	buffer_gl0_inv
	s_cbranch_vccnz .LBB98_120
; %bb.111:                              ;   in Loop: Header=BB98_74 Depth=1
	v_mov_b32_e32 v88, 0
	v_mov_b32_e32 v90, 0
	;; [unrolled: 1-line block ×4, first 2 shown]
	s_mov_b32 s2, exec_lo
	v_cmpx_gt_i32_e64 s10, v115
	s_cbranch_execz .LBB98_113
; %bb.112:                              ;   in Loop: Header=BB98_74 Depth=1
	global_load_dwordx2 v[90:91], v[42:43], off
.LBB98_113:                             ;   in Loop: Header=BB98_74 Depth=1
	s_or_b32 exec_lo, exec_lo, s2
	s_mov_b32 s2, exec_lo
	v_cmpx_gt_i32_e64 s10, v148
	s_cbranch_execz .LBB98_115
; %bb.114:                              ;   in Loop: Header=BB98_74 Depth=1
	v_add_co_u32 v44, vcc_lo, v142, v94
	v_add_co_ci_u32_e64 v45, null, 0, v143, vcc_lo
	global_load_dwordx2 v[88:89], v[44:45], off
.LBB98_115:                             ;   in Loop: Header=BB98_74 Depth=1
	s_or_b32 exec_lo, exec_lo, s2
	v_mov_b32_e32 v86, 0
	v_mov_b32_e32 v92, 0
	;; [unrolled: 1-line block ×4, first 2 shown]
	s_mov_b32 s2, exec_lo
	v_cmpx_gt_i32_e64 s10, v149
	s_cbranch_execz .LBB98_117
; %bb.116:                              ;   in Loop: Header=BB98_74 Depth=1
	v_add_co_u32 v44, vcc_lo, v144, v94
	v_add_co_ci_u32_e64 v45, null, 0, v145, vcc_lo
	global_load_dwordx2 v[92:93], v[44:45], off
.LBB98_117:                             ;   in Loop: Header=BB98_74 Depth=1
	s_or_b32 exec_lo, exec_lo, s2
	s_mov_b32 s2, exec_lo
	v_cmpx_gt_i32_e64 s10, v151
	s_cbranch_execz .LBB98_119
; %bb.118:                              ;   in Loop: Header=BB98_74 Depth=1
	v_add_co_u32 v44, vcc_lo, v146, v94
	v_add_co_ci_u32_e64 v45, null, 0, v147, vcc_lo
	global_load_dwordx2 v[86:87], v[44:45], off
.LBB98_119:                             ;   in Loop: Header=BB98_74 Depth=1
	s_or_b32 exec_lo, exec_lo, s2
	s_mov_b32 s2, 0
.LBB98_120:                             ;   in Loop: Header=BB98_74 Depth=1
	s_and_b32 vcc_lo, exec_lo, s2
	s_cbranch_vccz .LBB98_122
; %bb.121:                              ;   in Loop: Header=BB98_74 Depth=1
	v_add_co_u32 v44, vcc_lo, v142, v94
	v_add_co_ci_u32_e64 v45, null, 0, v143, vcc_lo
	v_add_co_u32 v54, vcc_lo, v144, v94
	v_add_co_ci_u32_e64 v55, null, 0, v145, vcc_lo
	;; [unrolled: 2-line block ×3, first 2 shown]
	global_load_dwordx2 v[90:91], v[42:43], off
	global_load_dwordx2 v[88:89], v[44:45], off
	;; [unrolled: 1-line block ×4, first 2 shown]
.LBB98_122:                             ;   in Loop: Header=BB98_74 Depth=1
	ds_read_b64 v[42:43], v99
	v_add_f64 v[38:39], v[38:39], 0
	v_add_f64 v[14:15], v[14:15], 0
	;; [unrolled: 1-line block ×3, first 2 shown]
	v_cmp_gt_i32_e32 vcc_lo, s10, v0
	s_or_b32 s2, s12, vcc_lo
	s_and_b32 s10, s1, s2
	s_waitcnt vmcnt(0) lgkmcnt(0)
	v_mul_f64 v[152:153], v[90:91], v[42:43]
	v_mul_f64 v[154:155], v[88:89], v[42:43]
	v_mul_f64 v[156:157], v[92:93], v[42:43]
	v_mul_f64 v[158:159], v[86:87], v[42:43]
	ds_read_b128 v[54:57], v98 offset:384
	ds_read_b128 v[42:45], v98 offset:400
	v_add_f64 v[38:39], v[38:39], v[40:41]
	v_add_f64 v[40:41], v[14:15], v[16:17]
	;; [unrolled: 1-line block ×3, first 2 shown]
	ds_write2_b64 v100, v[152:153], v[154:155] offset1:67
	ds_write2_b64 v100, v[156:157], v[158:159] offset0:134 offset1:201
	s_waitcnt lgkmcnt(0)
	s_barrier
	buffer_gl0_inv
	ds_read2_b64 v[152:155], v101 offset1:1
	ds_read2_b64 v[14:17], v101 offset0:2 offset1:3
	v_add_f64 v[26:27], v[38:39], v[26:27]
	v_add_f64 v[10:11], v[40:41], v[10:11]
	;; [unrolled: 1-line block ×3, first 2 shown]
	s_waitcnt lgkmcnt(0)
	s_barrier
	buffer_gl0_inv
	v_add_f64 v[152:153], v[152:153], 0
	v_add_f64 v[26:27], v[26:27], v[28:29]
	;; [unrolled: 1-line block ×7, first 2 shown]
	ds_write2_b64 v150, v[10:11], v[26:27] offset1:16
	ds_write2_b64 v150, v[38:39], v[12:13] offset0:32 offset1:48
	s_waitcnt lgkmcnt(0)
	s_barrier
	buffer_gl0_inv
	s_and_saveexec_b32 s2, s10
	s_cbranch_execz .LBB98_124
; %bb.123:                              ;   in Loop: Header=BB98_74 Depth=1
	ds_read2_b64 v[10:13], v102 offset1:1
	ds_read2_b64 v[14:17], v102 offset0:2 offset1:3
	s_waitcnt lgkmcnt(1)
	v_add_f64 v[10:11], v[10:11], v[12:13]
	s_waitcnt lgkmcnt(0)
	v_add_f64 v[10:11], v[10:11], v[14:15]
	v_add_f64 v[26:27], v[10:11], v[16:17]
	ds_read2_b64 v[10:13], v102 offset0:4 offset1:5
	ds_read2_b64 v[14:17], v102 offset0:6 offset1:7
	s_waitcnt lgkmcnt(1)
	v_add_f64 v[10:11], v[26:27], v[10:11]
	v_add_f64 v[10:11], v[10:11], v[12:13]
	s_waitcnt lgkmcnt(0)
	v_add_f64 v[10:11], v[10:11], v[14:15]
	v_add_f64 v[26:27], v[10:11], v[16:17]
	ds_read2_b64 v[10:13], v102 offset0:8 offset1:9
	ds_read2_b64 v[14:17], v102 offset0:10 offset1:11
	s_waitcnt lgkmcnt(1)
	v_add_f64 v[10:11], v[26:27], v[10:11]
	v_add_f64 v[10:11], v[10:11], v[12:13]
	s_waitcnt lgkmcnt(0)
	v_add_f64 v[10:11], v[10:11], v[14:15]
	v_add_f64 v[14:15], v[10:11], v[16:17]
	ds_read2_b64 v[10:13], v102 offset0:12 offset1:13
	ds_read_b64 v[16:17], v102 offset:112
	s_waitcnt lgkmcnt(1)
	v_add_f64 v[10:11], v[14:15], v[10:11]
	v_add_nc_u32_e32 v14, s9, v0
	v_ashrrev_i32_e32 v15, 31, v14
	v_add_f64 v[10:11], v[10:11], v[12:13]
	ds_read_b64 v[12:13], v103
	s_waitcnt lgkmcnt(1)
	v_add_f64 v[10:11], v[10:11], v[16:17]
	s_waitcnt lgkmcnt(0)
	v_add_f64 v[10:11], v[10:11], v[12:13]
	v_lshlrev_b64 v[12:13], 3, v[14:15]
	v_add_co_u32 v12, vcc_lo, s3, v12
	v_add_co_ci_u32_e64 v13, null, s7, v13, vcc_lo
	global_store_dwordx2 v[12:13], v[10:11], off
.LBB98_124:                             ;   in Loop: Header=BB98_74 Depth=1
	s_or_b32 exec_lo, exec_lo, s2
	v_fma_f64 v[6:7], v[62:63], v[6:7], v[60:61]
	v_add_co_u32 v116, vcc_lo, v116, s4
	v_add_co_ci_u32_e64 v117, null, s5, v117, vcc_lo
	v_add_co_u32 v118, vcc_lo, v118, s4
	v_add_co_ci_u32_e64 v119, null, s5, v119, vcc_lo
	;; [unrolled: 2-line block ×5, first 2 shown]
	v_add_co_u32 v126, vcc_lo, v126, s4
	v_fma_f64 v[6:7], v[64:65], v[8:9], v[6:7]
	v_add_co_ci_u32_e64 v127, null, s5, v127, vcc_lo
	v_add_co_u32 v128, vcc_lo, v128, s4
	v_add_co_ci_u32_e64 v129, null, s5, v129, vcc_lo
	v_add_co_u32 v130, vcc_lo, v130, s4
	;; [unrolled: 2-line block ×5, first 2 shown]
	v_add_co_ci_u32_e64 v137, null, s5, v137, vcc_lo
	v_fma_f64 v[2:3], v[66:67], v[2:3], v[6:7]
	v_add_co_u32 v138, vcc_lo, v138, s4
	v_add_co_ci_u32_e64 v139, null, s5, v139, vcc_lo
	v_add_co_u32 v140, vcc_lo, v140, s4
	v_add_co_ci_u32_e64 v141, null, s5, v141, vcc_lo
	;; [unrolled: 2-line block ×5, first 2 shown]
	s_add_i32 s2, s6, 1
	v_fma_f64 v[2:3], v[68:69], v[4:5], v[2:3]
	s_add_i32 s6, s6, 2
	s_add_i32 s9, s9, 64
	s_cmp_ge_u32 s6, s22
	s_waitcnt_vscnt null, 0x0
	s_barrier
	buffer_gl0_inv
	v_fma_f64 v[2:3], v[70:71], v[22:23], v[2:3]
	v_fma_f64 v[2:3], v[72:73], v[24:25], v[2:3]
	;; [unrolled: 1-line block ×12, first 2 shown]
	s_cbranch_scc1 .LBB98_126
; %bb.125:                              ;   in Loop: Header=BB98_74 Depth=1
	s_mov_b32 s6, s2
	s_cmp_eq_u32 s8, s6
	s_cselect_b32 s10, s23, 0
	s_and_saveexec_b32 s2, s0
	s_cbranch_execnz .LBB98_71
	s_branch .LBB98_74
.LBB98_126:
	v_cmp_gt_i32_e32 vcc_lo, s16, v0
	v_mad_u32_u24 v1, 0x218, v1, v94
	s_or_b32 s1, s11, vcc_lo
	ds_write_b64 v1, v[60:61]
	s_and_b32 s0, s0, s1
	s_waitcnt lgkmcnt(0)
	s_barrier
	buffer_gl0_inv
	s_and_saveexec_b32 s1, s0
	s_cbranch_execz .LBB98_128
; %bb.127:
	ds_read2_b64 v[0:3], v94 offset1:67
	s_waitcnt lgkmcnt(0)
	v_add_f64 v[4:5], v[0:1], v[2:3]
	ds_read2_b64 v[0:3], v94 offset0:134 offset1:201
	s_waitcnt lgkmcnt(0)
	v_add_f64 v[0:1], v[4:5], v[0:1]
	v_add_f64 v[0:1], v[0:1], v[2:3]
	v_lshlrev_b64 v[2:3], 3, v[58:59]
	v_add_co_u32 v2, vcc_lo, s3, v2
	v_add_co_ci_u32_e64 v3, null, s7, v3, vcc_lo
	global_store_dwordx2 v[2:3], v[0:1], off
.LBB98_128:
	s_endpgm
	.section	.rodata,"a",@progbits
	.p2align	6, 0x0
	.amdhsa_kernel _ZL26rocblas_hemvn_kernel_upperILb0ELi64ELi4ELi33ELi32ELi16EldPKdPdEviT6_lT7_lT5_lS4_lS5_lS3_lT8_i
		.amdhsa_group_segment_fixed_size 9600
		.amdhsa_private_segment_fixed_size 0
		.amdhsa_kernarg_size 376
		.amdhsa_user_sgpr_count 6
		.amdhsa_user_sgpr_private_segment_buffer 1
		.amdhsa_user_sgpr_dispatch_ptr 0
		.amdhsa_user_sgpr_queue_ptr 0
		.amdhsa_user_sgpr_kernarg_segment_ptr 1
		.amdhsa_user_sgpr_dispatch_id 0
		.amdhsa_user_sgpr_flat_scratch_init 0
		.amdhsa_user_sgpr_private_segment_size 0
		.amdhsa_wavefront_size32 1
		.amdhsa_uses_dynamic_stack 0
		.amdhsa_system_sgpr_private_segment_wavefront_offset 0
		.amdhsa_system_sgpr_workgroup_id_x 1
		.amdhsa_system_sgpr_workgroup_id_y 0
		.amdhsa_system_sgpr_workgroup_id_z 1
		.amdhsa_system_sgpr_workgroup_info 0
		.amdhsa_system_vgpr_workitem_id 1
		.amdhsa_next_free_vgpr 160
		.amdhsa_next_free_sgpr 30
		.amdhsa_reserve_vcc 1
		.amdhsa_reserve_flat_scratch 0
		.amdhsa_float_round_mode_32 0
		.amdhsa_float_round_mode_16_64 0
		.amdhsa_float_denorm_mode_32 3
		.amdhsa_float_denorm_mode_16_64 3
		.amdhsa_dx10_clamp 1
		.amdhsa_ieee_mode 1
		.amdhsa_fp16_overflow 0
		.amdhsa_workgroup_processor_mode 1
		.amdhsa_memory_ordered 1
		.amdhsa_forward_progress 1
		.amdhsa_shared_vgpr_count 0
		.amdhsa_exception_fp_ieee_invalid_op 0
		.amdhsa_exception_fp_denorm_src 0
		.amdhsa_exception_fp_ieee_div_zero 0
		.amdhsa_exception_fp_ieee_overflow 0
		.amdhsa_exception_fp_ieee_underflow 0
		.amdhsa_exception_fp_ieee_inexact 0
		.amdhsa_exception_int_div_zero 0
	.end_amdhsa_kernel
	.section	.text._ZL26rocblas_hemvn_kernel_upperILb0ELi64ELi4ELi33ELi32ELi16EldPKdPdEviT6_lT7_lT5_lS4_lS5_lS3_lT8_i,"axG",@progbits,_ZL26rocblas_hemvn_kernel_upperILb0ELi64ELi4ELi33ELi32ELi16EldPKdPdEviT6_lT7_lT5_lS4_lS5_lS3_lT8_i,comdat
.Lfunc_end98:
	.size	_ZL26rocblas_hemvn_kernel_upperILb0ELi64ELi4ELi33ELi32ELi16EldPKdPdEviT6_lT7_lT5_lS4_lS5_lS3_lT8_i, .Lfunc_end98-_ZL26rocblas_hemvn_kernel_upperILb0ELi64ELi4ELi33ELi32ELi16EldPKdPdEviT6_lT7_lT5_lS4_lS5_lS3_lT8_i
                                        ; -- End function
	.set _ZL26rocblas_hemvn_kernel_upperILb0ELi64ELi4ELi33ELi32ELi16EldPKdPdEviT6_lT7_lT5_lS4_lS5_lS3_lT8_i.num_vgpr, 160
	.set _ZL26rocblas_hemvn_kernel_upperILb0ELi64ELi4ELi33ELi32ELi16EldPKdPdEviT6_lT7_lT5_lS4_lS5_lS3_lT8_i.num_agpr, 0
	.set _ZL26rocblas_hemvn_kernel_upperILb0ELi64ELi4ELi33ELi32ELi16EldPKdPdEviT6_lT7_lT5_lS4_lS5_lS3_lT8_i.numbered_sgpr, 30
	.set _ZL26rocblas_hemvn_kernel_upperILb0ELi64ELi4ELi33ELi32ELi16EldPKdPdEviT6_lT7_lT5_lS4_lS5_lS3_lT8_i.num_named_barrier, 0
	.set _ZL26rocblas_hemvn_kernel_upperILb0ELi64ELi4ELi33ELi32ELi16EldPKdPdEviT6_lT7_lT5_lS4_lS5_lS3_lT8_i.private_seg_size, 0
	.set _ZL26rocblas_hemvn_kernel_upperILb0ELi64ELi4ELi33ELi32ELi16EldPKdPdEviT6_lT7_lT5_lS4_lS5_lS3_lT8_i.uses_vcc, 1
	.set _ZL26rocblas_hemvn_kernel_upperILb0ELi64ELi4ELi33ELi32ELi16EldPKdPdEviT6_lT7_lT5_lS4_lS5_lS3_lT8_i.uses_flat_scratch, 0
	.set _ZL26rocblas_hemvn_kernel_upperILb0ELi64ELi4ELi33ELi32ELi16EldPKdPdEviT6_lT7_lT5_lS4_lS5_lS3_lT8_i.has_dyn_sized_stack, 0
	.set _ZL26rocblas_hemvn_kernel_upperILb0ELi64ELi4ELi33ELi32ELi16EldPKdPdEviT6_lT7_lT5_lS4_lS5_lS3_lT8_i.has_recursion, 0
	.set _ZL26rocblas_hemvn_kernel_upperILb0ELi64ELi4ELi33ELi32ELi16EldPKdPdEviT6_lT7_lT5_lS4_lS5_lS3_lT8_i.has_indirect_call, 0
	.section	.AMDGPU.csdata,"",@progbits
; Kernel info:
; codeLenInByte = 8336
; TotalNumSgprs: 32
; NumVgprs: 160
; ScratchSize: 0
; MemoryBound: 0
; FloatMode: 240
; IeeeMode: 1
; LDSByteSize: 9600 bytes/workgroup (compile time only)
; SGPRBlocks: 0
; VGPRBlocks: 19
; NumSGPRsForWavesPerEU: 32
; NumVGPRsForWavesPerEU: 160
; Occupancy: 6
; WaveLimiterHint : 1
; COMPUTE_PGM_RSRC2:SCRATCH_EN: 0
; COMPUTE_PGM_RSRC2:USER_SGPR: 6
; COMPUTE_PGM_RSRC2:TRAP_HANDLER: 0
; COMPUTE_PGM_RSRC2:TGID_X_EN: 1
; COMPUTE_PGM_RSRC2:TGID_Y_EN: 0
; COMPUTE_PGM_RSRC2:TGID_Z_EN: 1
; COMPUTE_PGM_RSRC2:TIDIG_COMP_CNT: 1
	.section	.text._ZL36rocblas_hemvn_kernel_upper_block_sumILi64EldPddEviT1_lS1_lT2_lT0_lPT3_i,"axG",@progbits,_ZL36rocblas_hemvn_kernel_upper_block_sumILi64EldPddEviT1_lS1_lT2_lT0_lPT3_i,comdat
	.globl	_ZL36rocblas_hemvn_kernel_upper_block_sumILi64EldPddEviT1_lS1_lT2_lT0_lPT3_i ; -- Begin function _ZL36rocblas_hemvn_kernel_upper_block_sumILi64EldPddEviT1_lS1_lT2_lT0_lPT3_i
	.p2align	8
	.type	_ZL36rocblas_hemvn_kernel_upper_block_sumILi64EldPddEviT1_lS1_lT2_lT0_lPT3_i,@function
_ZL36rocblas_hemvn_kernel_upper_block_sumILi64EldPddEviT1_lS1_lT2_lT0_lPT3_i: ; @_ZL36rocblas_hemvn_kernel_upper_block_sumILi64EldPddEviT1_lS1_lT2_lT0_lPT3_i
; %bb.0:
	s_clause 0x1
	s_load_dwordx2 s[2:3], s[4:5], 0x8
	s_load_dwordx2 s[16:17], s[4:5], 0x18
	s_waitcnt lgkmcnt(0)
	v_cmp_eq_f64_e64 s0, s[2:3], 0
	v_cmp_eq_f64_e64 s1, s[16:17], 1.0
	s_and_b32 s0, s0, s1
	s_and_b32 vcc_lo, exec_lo, s0
	s_cbranch_vccnz .LBB99_19
; %bb.1:
	s_clause 0x2
	s_load_dwordx8 s[8:15], s[4:5], 0x30
	s_load_dwordx2 s[0:1], s[4:5], 0x28
	s_load_dword s18, s[4:5], 0x0
	v_cmp_neq_f64_e64 s19, s[2:3], 0
	v_lshl_or_b32 v0, s6, 6, v0
	s_waitcnt lgkmcnt(0)
	s_mul_i32 s13, s13, s7
	s_mul_hi_u32 s20, s12, s7
	s_mul_i32 s12, s12, s7
	s_add_i32 s13, s20, s13
	s_lshl_b64 s[12:13], s[12:13], 3
	s_add_u32 s12, s0, s12
	s_addc_u32 s13, s1, s13
	s_lshl_b64 s[0:1], s[8:9], 3
	s_add_u32 s8, s12, s0
	v_cmp_gt_i32_e64 s0, s18, v0
	s_addc_u32 s9, s13, s1
	s_and_b32 vcc_lo, exec_lo, s19
	s_mov_b32 s12, 0
	s_cbranch_vccnz .LBB99_6
; %bb.2:
	s_mov_b32 s1, 0
                                        ; implicit-def: $vgpr3_vgpr4
                                        ; implicit-def: $vgpr1_vgpr2
	s_and_saveexec_b32 s13, s0
	s_cbranch_execz .LBB99_7
; %bb.3:
	v_cmp_eq_f64_e64 s0, s[16:17], 0
	v_ashrrev_i32_e32 v1, 31, v0
	v_mul_lo_u32 v5, s11, v0
	v_mov_b32_e32 v3, 0
	v_mov_b32_e32 v4, 0
	v_mul_lo_u32 v6, s10, v1
	v_mad_u64_u32 v[1:2], null, s10, v0, 0
	v_add3_u32 v2, v2, v6, v5
	s_and_b32 vcc_lo, exec_lo, s0
	s_cbranch_vccnz .LBB99_5
; %bb.4:
	v_lshlrev_b64 v[3:4], 3, v[1:2]
	v_add_co_u32 v3, vcc_lo, s8, v3
	v_add_co_ci_u32_e64 v4, null, s9, v4, vcc_lo
	global_load_dwordx2 v[3:4], v[3:4], off
	s_waitcnt vmcnt(0)
	v_mul_f64 v[3:4], s[16:17], v[3:4]
.LBB99_5:
	s_mov_b32 s12, exec_lo
	s_or_b32 exec_lo, exec_lo, s13
	s_and_b32 vcc_lo, exec_lo, s1
	s_cbranch_vccnz .LBB99_8
	s_branch .LBB99_17
.LBB99_6:
                                        ; implicit-def: $vgpr3_vgpr4
                                        ; implicit-def: $vgpr1_vgpr2
	s_cbranch_execnz .LBB99_8
	s_branch .LBB99_17
.LBB99_7:
	s_or_b32 exec_lo, exec_lo, s13
	s_and_b32 vcc_lo, exec_lo, s1
	s_cbranch_vccz .LBB99_17
.LBB99_8:
	s_mov_b32 s13, exec_lo
                                        ; implicit-def: $vgpr3_vgpr4
                                        ; implicit-def: $vgpr1_vgpr2
	v_cmpx_gt_i32_e64 s18, v0
	s_cbranch_execz .LBB99_16
; %bb.9:
	v_mov_b32_e32 v5, 0
	v_mov_b32_e32 v6, 0
	v_ashrrev_i32_e32 v1, 31, v0
	s_cmp_lt_i32 s6, 0
	s_cbranch_scc1 .LBB99_12
; %bb.10:
	s_load_dword s0, s[4:5], 0x58
	s_ashr_i32 s19, s18, 31
	s_mul_hi_u32 s1, s18, s7
	s_mul_i32 s4, s19, s7
	v_lshlrev_b64 v[2:3], 3, v[0:1]
	s_add_i32 s1, s1, s4
	s_mul_i32 s4, s18, s7
	v_mov_b32_e32 v5, 0
	v_mov_b32_e32 v6, 0
	s_waitcnt lgkmcnt(0)
	s_mul_i32 s1, s1, s0
	s_mul_hi_u32 s5, s4, s0
	s_mul_i32 s0, s4, s0
	s_add_i32 s1, s5, s1
	s_lshl_b64 s[0:1], s[0:1], 3
	s_add_u32 s0, s14, s0
	s_addc_u32 s1, s15, s1
	v_add_co_u32 v2, vcc_lo, s0, v2
	v_add_co_ci_u32_e64 v3, null, s1, v3, vcc_lo
	s_add_i32 s4, s6, 1
	s_lshl_b64 s[0:1], s[18:19], 3
.LBB99_11:                              ; =>This Inner Loop Header: Depth=1
	global_load_dwordx2 v[7:8], v[2:3], off
	v_add_co_u32 v2, vcc_lo, v2, s0
	v_add_co_ci_u32_e64 v3, null, s1, v3, vcc_lo
	s_add_i32 s4, s4, -1
	s_cmp_eq_u32 s4, 0
	s_waitcnt vmcnt(0)
	v_add_f64 v[5:6], v[5:6], v[7:8]
	s_cbranch_scc0 .LBB99_11
.LBB99_12:
	v_cmp_eq_f64_e64 s0, s[16:17], 0
	v_mul_lo_u32 v7, s11, v0
	v_mul_lo_u32 v8, s10, v1
	s_and_b32 vcc_lo, exec_lo, s0
	s_cbranch_vccz .LBB99_20
; %bb.13:
	v_mad_u64_u32 v[1:2], null, s10, v0, 0
	v_mul_f64 v[3:4], s[2:3], v[5:6]
	v_add3_u32 v2, v2, v8, v7
	s_cbranch_execnz .LBB99_15
.LBB99_14:
	v_mad_u64_u32 v[1:2], null, s10, v0, 0
	v_add3_u32 v2, v2, v8, v7
	v_lshlrev_b64 v[3:4], 3, v[1:2]
	v_add_co_u32 v3, vcc_lo, s8, v3
	v_add_co_ci_u32_e64 v4, null, s9, v4, vcc_lo
	global_load_dwordx2 v[3:4], v[3:4], off
	s_waitcnt vmcnt(0)
	v_mul_f64 v[3:4], s[16:17], v[3:4]
	v_fma_f64 v[3:4], s[2:3], v[5:6], v[3:4]
.LBB99_15:
	s_or_b32 s12, s12, exec_lo
.LBB99_16:
	s_or_b32 exec_lo, exec_lo, s13
.LBB99_17:
	s_and_saveexec_b32 s0, s12
	s_cbranch_execz .LBB99_19
; %bb.18:
	v_lshlrev_b64 v[0:1], 3, v[1:2]
	v_add_co_u32 v0, vcc_lo, s8, v0
	v_add_co_ci_u32_e64 v1, null, s9, v1, vcc_lo
	global_store_dwordx2 v[0:1], v[3:4], off
.LBB99_19:
	s_endpgm
.LBB99_20:
                                        ; implicit-def: $vgpr3_vgpr4
                                        ; implicit-def: $vgpr1_vgpr2
	s_branch .LBB99_14
	.section	.rodata,"a",@progbits
	.p2align	6, 0x0
	.amdhsa_kernel _ZL36rocblas_hemvn_kernel_upper_block_sumILi64EldPddEviT1_lS1_lT2_lT0_lPT3_i
		.amdhsa_group_segment_fixed_size 0
		.amdhsa_private_segment_fixed_size 0
		.amdhsa_kernarg_size 344
		.amdhsa_user_sgpr_count 6
		.amdhsa_user_sgpr_private_segment_buffer 1
		.amdhsa_user_sgpr_dispatch_ptr 0
		.amdhsa_user_sgpr_queue_ptr 0
		.amdhsa_user_sgpr_kernarg_segment_ptr 1
		.amdhsa_user_sgpr_dispatch_id 0
		.amdhsa_user_sgpr_flat_scratch_init 0
		.amdhsa_user_sgpr_private_segment_size 0
		.amdhsa_wavefront_size32 1
		.amdhsa_uses_dynamic_stack 0
		.amdhsa_system_sgpr_private_segment_wavefront_offset 0
		.amdhsa_system_sgpr_workgroup_id_x 1
		.amdhsa_system_sgpr_workgroup_id_y 0
		.amdhsa_system_sgpr_workgroup_id_z 1
		.amdhsa_system_sgpr_workgroup_info 0
		.amdhsa_system_vgpr_workitem_id 0
		.amdhsa_next_free_vgpr 9
		.amdhsa_next_free_sgpr 21
		.amdhsa_reserve_vcc 1
		.amdhsa_reserve_flat_scratch 0
		.amdhsa_float_round_mode_32 0
		.amdhsa_float_round_mode_16_64 0
		.amdhsa_float_denorm_mode_32 3
		.amdhsa_float_denorm_mode_16_64 3
		.amdhsa_dx10_clamp 1
		.amdhsa_ieee_mode 1
		.amdhsa_fp16_overflow 0
		.amdhsa_workgroup_processor_mode 1
		.amdhsa_memory_ordered 1
		.amdhsa_forward_progress 1
		.amdhsa_shared_vgpr_count 0
		.amdhsa_exception_fp_ieee_invalid_op 0
		.amdhsa_exception_fp_denorm_src 0
		.amdhsa_exception_fp_ieee_div_zero 0
		.amdhsa_exception_fp_ieee_overflow 0
		.amdhsa_exception_fp_ieee_underflow 0
		.amdhsa_exception_fp_ieee_inexact 0
		.amdhsa_exception_int_div_zero 0
	.end_amdhsa_kernel
	.section	.text._ZL36rocblas_hemvn_kernel_upper_block_sumILi64EldPddEviT1_lS1_lT2_lT0_lPT3_i,"axG",@progbits,_ZL36rocblas_hemvn_kernel_upper_block_sumILi64EldPddEviT1_lS1_lT2_lT0_lPT3_i,comdat
.Lfunc_end99:
	.size	_ZL36rocblas_hemvn_kernel_upper_block_sumILi64EldPddEviT1_lS1_lT2_lT0_lPT3_i, .Lfunc_end99-_ZL36rocblas_hemvn_kernel_upper_block_sumILi64EldPddEviT1_lS1_lT2_lT0_lPT3_i
                                        ; -- End function
	.set _ZL36rocblas_hemvn_kernel_upper_block_sumILi64EldPddEviT1_lS1_lT2_lT0_lPT3_i.num_vgpr, 9
	.set _ZL36rocblas_hemvn_kernel_upper_block_sumILi64EldPddEviT1_lS1_lT2_lT0_lPT3_i.num_agpr, 0
	.set _ZL36rocblas_hemvn_kernel_upper_block_sumILi64EldPddEviT1_lS1_lT2_lT0_lPT3_i.numbered_sgpr, 21
	.set _ZL36rocblas_hemvn_kernel_upper_block_sumILi64EldPddEviT1_lS1_lT2_lT0_lPT3_i.num_named_barrier, 0
	.set _ZL36rocblas_hemvn_kernel_upper_block_sumILi64EldPddEviT1_lS1_lT2_lT0_lPT3_i.private_seg_size, 0
	.set _ZL36rocblas_hemvn_kernel_upper_block_sumILi64EldPddEviT1_lS1_lT2_lT0_lPT3_i.uses_vcc, 1
	.set _ZL36rocblas_hemvn_kernel_upper_block_sumILi64EldPddEviT1_lS1_lT2_lT0_lPT3_i.uses_flat_scratch, 0
	.set _ZL36rocblas_hemvn_kernel_upper_block_sumILi64EldPddEviT1_lS1_lT2_lT0_lPT3_i.has_dyn_sized_stack, 0
	.set _ZL36rocblas_hemvn_kernel_upper_block_sumILi64EldPddEviT1_lS1_lT2_lT0_lPT3_i.has_recursion, 0
	.set _ZL36rocblas_hemvn_kernel_upper_block_sumILi64EldPddEviT1_lS1_lT2_lT0_lPT3_i.has_indirect_call, 0
	.section	.AMDGPU.csdata,"",@progbits
; Kernel info:
; codeLenInByte = 684
; TotalNumSgprs: 23
; NumVgprs: 9
; ScratchSize: 0
; MemoryBound: 0
; FloatMode: 240
; IeeeMode: 1
; LDSByteSize: 0 bytes/workgroup (compile time only)
; SGPRBlocks: 0
; VGPRBlocks: 1
; NumSGPRsForWavesPerEU: 23
; NumVGPRsForWavesPerEU: 9
; Occupancy: 16
; WaveLimiterHint : 0
; COMPUTE_PGM_RSRC2:SCRATCH_EN: 0
; COMPUTE_PGM_RSRC2:USER_SGPR: 6
; COMPUTE_PGM_RSRC2:TRAP_HANDLER: 0
; COMPUTE_PGM_RSRC2:TGID_X_EN: 1
; COMPUTE_PGM_RSRC2:TGID_Y_EN: 0
; COMPUTE_PGM_RSRC2:TGID_Z_EN: 1
; COMPUTE_PGM_RSRC2:TIDIG_COMP_CNT: 0
	.section	.text._ZL26rocblas_hemvn_kernel_upperILb0ELi64ELi4ELi33ELi32ELi16EidPKdPdEviT6_lT7_lT5_lS4_lS5_lS3_lT8_i,"axG",@progbits,_ZL26rocblas_hemvn_kernel_upperILb0ELi64ELi4ELi33ELi32ELi16EidPKdPdEviT6_lT7_lT5_lS4_lS5_lS3_lT8_i,comdat
	.globl	_ZL26rocblas_hemvn_kernel_upperILb0ELi64ELi4ELi33ELi32ELi16EidPKdPdEviT6_lT7_lT5_lS4_lS5_lS3_lT8_i ; -- Begin function _ZL26rocblas_hemvn_kernel_upperILb0ELi64ELi4ELi33ELi32ELi16EidPKdPdEviT6_lT7_lT5_lS4_lS5_lS3_lT8_i
	.p2align	8
	.type	_ZL26rocblas_hemvn_kernel_upperILb0ELi64ELi4ELi33ELi32ELi16EidPKdPdEviT6_lT7_lT5_lS4_lS5_lS3_lT8_i,@function
_ZL26rocblas_hemvn_kernel_upperILb0ELi64ELi4ELi33ELi32ELi16EidPKdPdEviT6_lT7_lT5_lS4_lS5_lS3_lT8_i: ; @_ZL26rocblas_hemvn_kernel_upperILb0ELi64ELi4ELi33ELi32ELi16EidPKdPdEviT6_lT7_lT5_lS4_lS5_lS3_lT8_i
; %bb.0:
	s_load_dwordx2 s[0:1], s[4:5], 0x84
	s_add_u32 s12, s4, 0x78
	s_addc_u32 s13, s5, 0
	s_waitcnt lgkmcnt(0)
	s_lshr_b32 s2, s0, 16
	s_and_b32 s0, s0, 0xffff
	s_and_b32 s1, s1, 0xffff
	s_mul_i32 s0, s2, s0
	s_mul_i32 s0, s0, s1
	s_cmpk_lg_i32 s0, 0x100
	s_cbranch_scc1 .LBB100_128
; %bb.1:
	s_clause 0x1
	s_load_dwordx2 s[8:9], s[4:5], 0x8
	s_load_dwordx4 s[0:3], s[4:5], 0x50
	s_waitcnt lgkmcnt(0)
	v_cmp_eq_f64_e64 s8, s[8:9], 0
	v_cmp_eq_f64_e64 s2, s[2:3], 1.0
	s_and_b32 s2, s8, s2
	s_and_b32 vcc_lo, exec_lo, s2
	s_cbranch_vccnz .LBB100_128
; %bb.2:
	s_and_b32 vcc_lo, exec_lo, s8
	s_cbranch_vccnz .LBB100_128
; %bb.3:
	s_clause 0x2
	s_load_dwordx4 s[8:11], s[4:5], 0x30
	s_load_dwordx2 s[2:3], s[4:5], 0x40
	s_load_dword s24, s[4:5], 0x48
	s_mul_i32 s1, s1, s7
	s_mul_hi_u32 s14, s0, s7
	s_mul_i32 s0, s0, s7
	s_add_i32 s1, s14, s1
	s_load_dword s25, s[4:5], 0x0
	s_lshl_b64 s[0:1], s[0:1], 3
	s_load_dword s26, s[12:13], 0x0
	s_waitcnt lgkmcnt(0)
	s_add_u32 s10, s10, s0
	s_addc_u32 s11, s11, s1
	s_lshl_b64 s[0:1], s[2:3], 3
	s_add_u32 s0, s10, s0
	s_addc_u32 s1, s11, s1
	s_lshl_b32 s16, s6, 6
	s_ashr_i32 s11, s25, 31
	v_add_nc_u32_e32 v58, s16, v0
	s_lshr_b32 s2, s11, 26
	s_add_i32 s3, s26, -1
	s_add_i32 s2, s25, s2
	v_mul_lo_u32 v2, s24, v58
	s_andn2_b32 s2, s2, 63
	s_sub_i32 s27, s25, s2
	s_cmp_eq_u32 s6, s3
	s_cselect_b32 s12, s27, 0
	v_ashrrev_i32_e32 v3, 31, v2
	v_lshlrev_b64 v[2:3], 3, v[2:3]
	v_add_co_u32 v14, vcc_lo, s0, v2
	v_add_co_ci_u32_e64 v15, null, s1, v3, vcc_lo
	v_cmp_eq_u32_e64 s0, 0, v1
	s_and_saveexec_b32 s1, s0
	s_cbranch_execz .LBB100_7
; %bb.4:
	v_cmp_gt_i32_e32 vcc_lo, s12, v0
	s_cmp_eq_u32 s12, 0
	v_mov_b32_e32 v2, 0
	v_mov_b32_e32 v3, 0
	s_cselect_b32 s2, -1, 0
	s_or_b32 s3, s2, vcc_lo
	s_and_saveexec_b32 s2, s3
	s_cbranch_execz .LBB100_6
; %bb.5:
	global_load_dwordx2 v[2:3], v[14:15], off
.LBB100_6:
	s_or_b32 exec_lo, exec_lo, s2
	v_lshlrev_b32_e32 v4, 3, v0
	s_waitcnt vmcnt(0)
	ds_write_b64 v4, v[2:3] offset:9088
.LBB100_7:
	s_or_b32 exec_lo, exec_lo, s1
	s_clause 0x1
	s_load_dwordx4 s[20:23], s[4:5], 0x18
	s_load_dword s14, s[4:5], 0x28
	v_lshl_add_u32 v24, v1, 6, v0
	v_and_b32_e32 v2, 31, v0
	s_mul_i32 s1, s9, s7
	s_mul_hi_u32 s3, s8, s7
	s_mul_i32 s2, s8, s7
	v_lshrrev_b32_e32 v13, 5, v24
	s_add_i32 s3, s3, s1
	v_lshlrev_b32_e32 v20, 3, v2
	s_lshl_b64 s[2:3], s[2:3], 3
	s_waitcnt lgkmcnt(0)
	s_add_u32 s1, s20, s2
	v_mad_u64_u32 v[3:4], null, s14, v13, v[2:3]
	s_addc_u32 s8, s21, s3
	s_lshl_b64 s[2:3], s[22:23], 3
	s_add_u32 s1, s1, s2
	s_addc_u32 s9, s8, s3
	s_ashr_i32 s17, s16, 31
	v_ashrrev_i32_e32 v4, 31, v3
	s_lshl_b64 s[2:3], s[16:17], 3
	s_mul_i32 s8, s14, s16
	s_add_u32 s10, s1, s2
	s_addc_u32 s13, s9, s3
	v_lshlrev_b64 v[16:17], 3, v[3:4]
	s_ashr_i32 s9, s8, 31
	v_cmp_gt_i32_e64 s1, s12, v2
	s_lshl_b64 s[2:3], s[8:9], 3
	s_cmp_eq_u32 s12, 0
	s_cselect_b32 s28, -1, 0
	v_add_co_u32 v3, vcc_lo, s10, v16
	v_add_co_ci_u32_e64 v4, null, s13, v17, vcc_lo
	s_cmp_lg_u32 s12, 0
	v_add_co_u32 v5, s2, v3, s2
	v_add_co_ci_u32_e64 v6, null, s3, v4, s2
	s_cselect_b32 s17, -1, 0
	s_and_b32 vcc_lo, exec_lo, s17
	s_cbranch_vccz .LBB100_17
; %bb.8:
	v_sub_co_u32 v3, vcc_lo, v5, v20
	s_ashr_i32 s13, s12, 31
	v_subrev_co_ci_u32_e64 v4, null, 0, v6, vcc_lo
	s_lshl_b64 s[2:3], s[12:13], 3
	v_mov_b32_e32 v9, 0
	v_add_co_u32 v3, vcc_lo, v3, s2
	v_add_co_ci_u32_e64 v4, null, s3, v4, vcc_lo
	v_mov_b32_e32 v7, 0
	v_add_co_u32 v3, vcc_lo, v3, -8
	v_add_co_ci_u32_e64 v4, null, -1, v4, vcc_lo
	v_mov_b32_e32 v10, 0
	v_cndmask_b32_e64 v3, v3, v5, s1
	v_mov_b32_e32 v8, 0
	v_cndmask_b32_e64 v4, v4, v6, s1
	s_mov_b32 s8, exec_lo
	v_cmpx_gt_i32_e64 s12, v13
	s_cbranch_execz .LBB100_10
; %bb.9:
	global_load_dwordx2 v[7:8], v[3:4], off
.LBB100_10:
	s_or_b32 exec_lo, exec_lo, s8
	v_add_nc_u32_e32 v12, 8, v13
	v_mul_u32_u24_e32 v11, 0x108, v13
	v_mad_u32_u24 v18, 0x108, v13, v20
	s_mov_b32 s8, exec_lo
	s_waitcnt vmcnt(0)
	ds_write_b64 v18, v[7:8]
	v_cmpx_gt_i32_e64 s12, v12
	s_cbranch_execz .LBB100_12
; %bb.11:
	s_lshl_b32 s18, s14, 3
	s_ashr_i32 s19, s18, 31
	s_lshl_b64 s[18:19], s[18:19], 3
	v_add_co_u32 v7, vcc_lo, v3, s18
	v_add_co_ci_u32_e64 v8, null, s19, v4, vcc_lo
	global_load_dwordx2 v[9:10], v[7:8], off
.LBB100_12:
	s_or_b32 exec_lo, exec_lo, s8
	v_add_nc_u32_e32 v18, v11, v20
	v_mov_b32_e32 v7, 0
	v_mov_b32_e32 v11, 0
	v_add_nc_u32_e32 v19, 16, v13
	v_mov_b32_e32 v8, 0
	v_mov_b32_e32 v12, 0
	s_mov_b32 s8, exec_lo
	s_waitcnt vmcnt(0)
	ds_write_b64 v18, v[9:10] offset:2112
	v_cmpx_gt_i32_e64 s12, v19
	s_cbranch_execz .LBB100_14
; %bb.13:
	s_lshl_b32 s18, s14, 4
	s_ashr_i32 s19, s18, 31
	s_lshl_b64 s[18:19], s[18:19], 3
	v_add_co_u32 v9, vcc_lo, v3, s18
	v_add_co_ci_u32_e64 v10, null, s19, v4, vcc_lo
	global_load_dwordx2 v[11:12], v[9:10], off
.LBB100_14:
	s_or_b32 exec_lo, exec_lo, s8
	v_add_nc_u32_e32 v9, 24, v13
	s_mov_b32 s8, exec_lo
	s_waitcnt vmcnt(0)
	ds_write_b64 v18, v[11:12] offset:4224
	v_cmpx_gt_i32_e64 s12, v9
	s_cbranch_execz .LBB100_16
; %bb.15:
	s_mul_i32 s18, s14, 24
	s_ashr_i32 s19, s18, 31
	s_lshl_b64 s[18:19], s[18:19], 3
	v_add_co_u32 v7, vcc_lo, v3, s18
	v_add_co_ci_u32_e64 v8, null, s19, v4, vcc_lo
	global_load_dwordx2 v[7:8], v[7:8], off
.LBB100_16:
	s_or_b32 exec_lo, exec_lo, s8
	v_add_co_u32 v3, vcc_lo, v3, v20
	v_add_co_ci_u32_e64 v4, null, 0, v4, vcc_lo
	s_waitcnt vmcnt(0)
	ds_write_b64 v18, v[7:8] offset:6336
	v_sub_co_u32 v3, vcc_lo, v3, s2
	v_subrev_co_ci_u32_e64 v4, null, s3, v4, vcc_lo
	v_add_co_u32 v3, vcc_lo, v3, 8
	v_add_co_ci_u32_e64 v4, null, 0, v4, vcc_lo
	v_cndmask_b32_e64 v3, v3, v5, s1
	v_cndmask_b32_e64 v4, v4, v6, s1
	v_mul_u32_u24_e32 v22, 0x108, v13
	s_branch .LBB100_19
.LBB100_17:
                                        ; implicit-def: $vgpr3_vgpr4
	v_mul_u32_u24_e32 v22, 0x108, v13
	s_cbranch_execz .LBB100_19
; %bb.18:
	s_lshl_b32 s2, s14, 3
	s_ashr_i32 s15, s14, 31
	s_ashr_i32 s3, s2, 31
	v_lshl_add_u32 v21, v2, 3, v22
	s_lshl_b64 s[2:3], s[2:3], 3
	v_add_co_u32 v3, vcc_lo, v5, s2
	v_add_co_ci_u32_e64 v4, null, s3, v6, vcc_lo
	s_lshl_b64 s[2:3], s[14:15], 6
	v_add_co_u32 v7, vcc_lo, v3, s2
	v_add_co_ci_u32_e64 v8, null, s3, v4, vcc_lo
	v_add_co_u32 v9, vcc_lo, v7, s2
	v_add_co_ci_u32_e64 v10, null, s3, v8, vcc_lo
	s_clause 0x3
	global_load_dwordx2 v[11:12], v[5:6], off
	global_load_dwordx2 v[18:19], v[3:4], off
	;; [unrolled: 1-line block ×4, first 2 shown]
	v_mov_b32_e32 v3, v5
	v_mov_b32_e32 v4, v6
	s_waitcnt vmcnt(3)
	ds_write_b64 v21, v[11:12]
	s_waitcnt vmcnt(2)
	ds_write_b64 v21, v[18:19] offset:2112
	s_waitcnt vmcnt(1)
	ds_write_b64 v21, v[7:8] offset:4224
	;; [unrolled: 2-line block ×3, first 2 shown]
.LBB100_19:
	v_lshlrev_b32_e32 v23, 2, v13
	v_lshl_or_b32 v5, v2, 8, v20
	v_mad_u32_u24 v6, 0x420, v13, v20
	s_waitcnt lgkmcnt(0)
	s_barrier
	v_cmp_gt_u32_e64 s2, v23, v2
	v_lshl_add_u32 v7, v23, 3, v5
	buffer_gl0_inv
	s_and_saveexec_b32 s1, s2
	s_cbranch_execz .LBB100_21
; %bb.20:
	ds_read_b64 v[8:9], v6
	s_waitcnt lgkmcnt(0)
	ds_write_b64 v7, v[8:9]
.LBB100_21:
	s_or_b32 exec_lo, exec_lo, s1
	v_or_b32_e32 v28, 1, v23
	v_cmp_ge_u32_e64 s3, v23, v2
	v_mad_u32_u24 v5, 0x108, v28, v20
	s_and_saveexec_b32 s1, s3
	s_cbranch_execz .LBB100_23
; %bb.22:
	ds_read_b64 v[8:9], v5
	s_waitcnt lgkmcnt(0)
	ds_write_b64 v7, v[8:9] offset:8
.LBB100_23:
	s_or_b32 exec_lo, exec_lo, s1
	v_or_b32_e32 v8, 2, v23
	v_cmp_gt_u32_e64 s8, v8, v2
	s_and_saveexec_b32 s1, s8
	s_cbranch_execz .LBB100_25
; %bb.24:
	v_mad_u32_u24 v8, 0x108, v8, v20
	ds_read_b64 v[8:9], v8
	s_waitcnt lgkmcnt(0)
	ds_write_b64 v7, v[8:9] offset:16
.LBB100_25:
	s_or_b32 exec_lo, exec_lo, s1
	v_or_b32_e32 v9, 3, v23
	s_mov_b32 s1, exec_lo
	v_cmp_gt_u32_e64 s9, v9, v2
	v_mul_u32_u24_e32 v8, 0x108, v9
	v_cmpx_le_u32_e64 v9, v2
	s_xor_b32 s1, exec_lo, s1
; %bb.26:
	v_mul_u32_u24_e32 v8, 0x108, v9
                                        ; implicit-def: $vgpr9
                                        ; implicit-def: $vgpr7
; %bb.27:
	s_andn2_saveexec_b32 s1, s1
	s_cbranch_execz .LBB100_29
; %bb.28:
	v_mad_u32_u24 v9, 0x108, v9, v20
	ds_read_b64 v[9:10], v9
	s_waitcnt lgkmcnt(0)
	ds_write_b64 v7, v[9:10] offset:24
.LBB100_29:
	s_or_b32 exec_lo, exec_lo, s1
	v_lshlrev_b32_e32 v30, 3, v23
	s_waitcnt lgkmcnt(0)
	s_barrier
	buffer_gl0_inv
	ds_read_b64 v[6:7], v6
	ds_read_b128 v[9:12], v30 offset:9088
	v_add_nc_u32_e32 v21, v20, v8
	ds_read_b128 v[31:34], v30 offset:9104
	ds_read_b64 v[18:19], v21
	v_mov_b32_e32 v59, 0
	v_mov_b32_e32 v60, 0
	v_cmp_gt_u32_e64 s1, 32, v24
	s_waitcnt lgkmcnt(2)
	v_fma_f64 v[9:10], v[6:7], v[9:10], 0
	ds_read2_b64 v[5:8], v5 offset1:33
	s_waitcnt lgkmcnt(0)
	s_barrier
	buffer_gl0_inv
	v_fma_f64 v[5:6], v[5:6], v[11:12], v[9:10]
	v_fma_f64 v[5:6], v[7:8], v[31:32], v[5:6]
	v_mul_u32_u24_e32 v7, 33, v2
	v_lshlrev_b32_e32 v25, 3, v7
	v_lshl_add_u32 v26, v13, 3, v25
	v_fma_f64 v[5:6], v[18:19], v[33:34], v[5:6]
	ds_write_b64 v26, v[5:6]
	s_waitcnt lgkmcnt(0)
	s_barrier
	buffer_gl0_inv
	s_and_saveexec_b32 s10, s1
	s_cbranch_execz .LBB100_31
; %bb.30:
	ds_read2_b64 v[5:8], v25 offset1:1
	ds_read2_b64 v[9:12], v25 offset0:2 offset1:3
	s_waitcnt lgkmcnt(1)
	v_add_f64 v[5:6], v[5:6], v[7:8]
	s_waitcnt lgkmcnt(0)
	v_add_f64 v[5:6], v[5:6], v[9:10]
	v_add_f64 v[18:19], v[5:6], v[11:12]
	ds_read2_b64 v[5:8], v25 offset0:4 offset1:5
	ds_read2_b64 v[9:12], v25 offset0:6 offset1:7
	s_waitcnt lgkmcnt(1)
	v_add_f64 v[5:6], v[18:19], v[5:6]
	v_add_f64 v[5:6], v[5:6], v[7:8]
	s_waitcnt lgkmcnt(0)
	v_add_f64 v[5:6], v[5:6], v[9:10]
	v_add_f64 v[59:60], v[5:6], v[11:12]
.LBB100_31:
	s_or_b32 exec_lo, exec_lo, s10
	s_lshl_b32 s20, s14, 5
	s_ashr_i32 s21, s20, 31
	s_barrier
	s_lshl_b64 s[18:19], s[20:21], 3
	buffer_gl0_inv
	v_add_co_u32 v7, vcc_lo, v3, s18
	v_add_co_ci_u32_e64 v8, null, s19, v4, vcc_lo
	v_add_co_u32 v5, vcc_lo, 0x100, v7
	v_add_co_ci_u32_e64 v6, null, 0, v8, vcc_lo
	s_and_b32 vcc_lo, exec_lo, s17
	s_cbranch_vccz .LBB100_41
; %bb.32:
	v_sub_co_u32 v3, vcc_lo, v7, v20
	s_ashr_i32 s13, s12, 31
	v_subrev_co_ci_u32_e64 v4, null, 0, v8, vcc_lo
	s_lshl_b64 s[22:23], s[12:13], 3
	v_or_b32_e32 v9, 32, v2
	v_add_co_u32 v3, vcc_lo, v3, s22
	v_add_co_ci_u32_e64 v4, null, s23, v4, vcc_lo
	v_mov_b32_e32 v11, 0
	v_add_co_u32 v3, vcc_lo, v3, -8
	v_add_co_ci_u32_e64 v4, null, -1, v4, vcc_lo
	v_cmp_gt_i32_e32 vcc_lo, s12, v9
	v_mov_b32_e32 v9, 0
	v_mov_b32_e32 v12, 0
	v_mov_b32_e32 v10, 0
	s_sub_i32 s13, s12, 32
	v_cndmask_b32_e32 v4, v4, v6, vcc_lo
	v_cndmask_b32_e32 v3, v3, v5, vcc_lo
	s_mov_b32 s15, exec_lo
	v_cmpx_gt_i32_e64 s13, v13
	s_cbranch_execz .LBB100_34
; %bb.33:
	global_load_dwordx2 v[9:10], v[3:4], off
.LBB100_34:
	s_or_b32 exec_lo, exec_lo, s15
	v_add_nc_u32_e32 v18, 8, v13
	v_mad_u32_u24 v19, 0x108, v13, v20
	s_mov_b32 s15, exec_lo
	s_waitcnt vmcnt(0)
	ds_write_b64 v19, v[9:10]
	v_cmpx_gt_i32_e64 s13, v18
	s_cbranch_execz .LBB100_36
; %bb.35:
	s_lshl_b32 s30, s14, 3
	s_ashr_i32 s31, s30, 31
	s_lshl_b64 s[30:31], s[30:31], 3
	v_add_co_u32 v9, s10, v3, s30
	v_add_co_ci_u32_e64 v10, null, s31, v4, s10
	global_load_dwordx2 v[11:12], v[9:10], off
.LBB100_36:
	s_or_b32 exec_lo, exec_lo, s15
	v_mov_b32_e32 v9, 0
	v_mov_b32_e32 v18, 0
	v_add_nc_u32_e32 v29, 16, v13
	v_add_nc_u32_e32 v27, v22, v20
	v_mov_b32_e32 v10, 0
	v_mov_b32_e32 v19, 0
	s_mov_b32 s15, exec_lo
	s_waitcnt vmcnt(0)
	ds_write_b64 v27, v[11:12] offset:2112
	v_cmpx_gt_i32_e64 s13, v29
	s_cbranch_execz .LBB100_38
; %bb.37:
	s_lshl_b32 s30, s14, 4
	s_ashr_i32 s31, s30, 31
	s_lshl_b64 s[30:31], s[30:31], 3
	v_add_co_u32 v11, s10, v3, s30
	v_add_co_ci_u32_e64 v12, null, s31, v4, s10
	global_load_dwordx2 v[18:19], v[11:12], off
.LBB100_38:
	s_or_b32 exec_lo, exec_lo, s15
	v_add_nc_u32_e32 v11, 24, v13
	s_waitcnt vmcnt(0)
	ds_write_b64 v27, v[18:19] offset:4224
	v_cmp_gt_i32_e64 s10, s13, v11
	s_and_saveexec_b32 s13, s10
	s_cbranch_execz .LBB100_40
; %bb.39:
	s_mul_i32 s30, s14, 24
	s_ashr_i32 s31, s30, 31
	s_lshl_b64 s[30:31], s[30:31], 3
	v_add_co_u32 v9, s10, v3, s30
	v_add_co_ci_u32_e64 v10, null, s31, v4, s10
	global_load_dwordx2 v[9:10], v[9:10], off
.LBB100_40:
	s_or_b32 exec_lo, exec_lo, s13
	v_add_co_u32 v3, s10, v3, v20
	v_add_co_ci_u32_e64 v4, null, 0, v4, s10
	s_waitcnt vmcnt(0)
	ds_write_b64 v27, v[9:10] offset:6336
	v_sub_co_u32 v3, s10, v3, s22
	v_subrev_co_ci_u32_e64 v4, null, s23, v4, s10
	v_add_co_u32 v3, s10, 0x108, v3
	v_add_co_ci_u32_e64 v4, null, 0, v4, s10
	v_cndmask_b32_e32 v3, v3, v5, vcc_lo
	v_cndmask_b32_e32 v4, v4, v6, vcc_lo
	v_mul_u32_u24_e32 v9, 0x420, v13
	v_mad_u32_u24 v27, 0x108, v13, v20
	s_branch .LBB100_43
.LBB100_41:
                                        ; implicit-def: $vgpr3_vgpr4
	v_mul_u32_u24_e32 v9, 0x420, v13
	v_mad_u32_u24 v27, 0x108, v13, v20
	s_cbranch_execz .LBB100_43
; %bb.42:
	s_lshl_b32 s22, s14, 3
	s_ashr_i32 s15, s14, 31
	s_ashr_i32 s23, s22, 31
	s_lshl_b64 s[22:23], s[22:23], 3
	v_add_co_u32 v3, vcc_lo, v7, s22
	v_add_co_ci_u32_e64 v4, null, s23, v8, vcc_lo
	s_lshl_b64 s[22:23], s[14:15], 6
	v_add_co_u32 v10, vcc_lo, v3, s22
	v_add_co_ci_u32_e64 v11, null, s23, v4, vcc_lo
	v_add_co_u32 v18, vcc_lo, v10, s22
	v_add_co_ci_u32_e64 v19, null, s23, v11, vcc_lo
	s_clause 0x3
	global_load_dwordx2 v[7:8], v[7:8], off offset:256
	global_load_dwordx2 v[31:32], v[3:4], off offset:256
	;; [unrolled: 1-line block ×4, first 2 shown]
	v_mov_b32_e32 v3, v5
	v_mov_b32_e32 v4, v6
	s_waitcnt vmcnt(3)
	ds_write_b64 v27, v[7:8]
	s_waitcnt vmcnt(2)
	ds_write_b64 v27, v[31:32] offset:2112
	s_waitcnt vmcnt(1)
	ds_write_b64 v27, v[10:11] offset:4224
	;; [unrolled: 2-line block ×3, first 2 shown]
.LBB100_43:
	v_mul_u32_u24_e32 v6, 0x108, v28
	v_add_nc_u32_e32 v28, v20, v9
	v_lshl_add_u32 v5, v23, 3, v25
	s_waitcnt lgkmcnt(0)
	s_barrier
	buffer_gl0_inv
	s_and_saveexec_b32 s10, s2
	s_cbranch_execnz .LBB100_60
; %bb.44:
	s_or_b32 exec_lo, exec_lo, s10
	v_add_nc_u32_e32 v29, v20, v6
	s_and_saveexec_b32 s2, s3
	s_cbranch_execnz .LBB100_61
.LBB100_45:
	s_or_b32 exec_lo, exec_lo, s2
	s_and_saveexec_b32 s2, s8
	s_cbranch_execnz .LBB100_62
.LBB100_46:
	s_or_b32 exec_lo, exec_lo, s2
	v_add_nc_u32_e32 v30, 0x2380, v30
	s_and_saveexec_b32 s2, s9
	s_cbranch_execz .LBB100_48
.LBB100_47:
	ds_read_b64 v[6:7], v21
	s_waitcnt lgkmcnt(0)
	ds_write_b64 v5, v[6:7] offset:24
.LBB100_48:
	s_or_b32 exec_lo, exec_lo, s2
	s_waitcnt lgkmcnt(0)
	s_barrier
	buffer_gl0_inv
	ds_read_b64 v[18:19], v28
	ds_read_b128 v[5:8], v30 offset:256
	ds_read_b128 v[9:12], v30 offset:272
	ds_read_b64 v[35:36], v21
	ds_read2_b64 v[31:34], v29 offset1:33
	v_cmp_eq_u32_e64 s2, 1, v13
	s_waitcnt lgkmcnt(0)
	s_barrier
	buffer_gl0_inv
	v_fma_f64 v[5:6], v[18:19], v[5:6], 0
	v_fma_f64 v[5:6], v[31:32], v[7:8], v[5:6]
	;; [unrolled: 1-line block ×4, first 2 shown]
	ds_write_b64 v26, v[5:6]
	s_waitcnt lgkmcnt(0)
	s_barrier
	buffer_gl0_inv
	s_and_saveexec_b32 s3, s2
	s_cbranch_execz .LBB100_50
; %bb.49:
	ds_read2_b64 v[5:8], v25 offset1:1
	ds_read2_b64 v[9:12], v25 offset0:2 offset1:3
	s_waitcnt lgkmcnt(1)
	v_add_f64 v[5:6], v[5:6], v[7:8]
	s_waitcnt lgkmcnt(0)
	v_add_f64 v[5:6], v[5:6], v[9:10]
	v_add_f64 v[18:19], v[5:6], v[11:12]
	ds_read2_b64 v[5:8], v25 offset0:4 offset1:5
	ds_read2_b64 v[9:12], v25 offset0:6 offset1:7
	s_waitcnt lgkmcnt(1)
	v_add_f64 v[5:6], v[18:19], v[5:6]
	v_add_f64 v[5:6], v[5:6], v[7:8]
	s_waitcnt lgkmcnt(0)
	v_add_f64 v[5:6], v[5:6], v[9:10]
	v_add_f64 v[59:60], v[5:6], v[11:12]
.LBB100_50:
	s_or_b32 exec_lo, exec_lo, s3
	v_add_co_u32 v5, vcc_lo, 0xffffff00, v3
	v_add_co_ci_u32_e64 v6, null, -1, v4, vcc_lo
	s_and_b32 vcc_lo, exec_lo, s17
	s_barrier
	buffer_gl0_inv
	s_cbranch_vccz .LBB100_63
; %bb.51:
	v_sub_co_u32 v7, vcc_lo, v3, v20
	s_ashr_i32 s13, s12, 31
	v_subrev_co_ci_u32_e64 v8, null, 0, v4, vcc_lo
	s_lshl_b64 s[8:9], s[12:13], 3
	v_mov_b32_e32 v11, 0
	v_add_co_u32 v7, vcc_lo, v7, s8
	v_add_co_ci_u32_e64 v8, null, s9, v8, vcc_lo
	v_mov_b32_e32 v9, 0
	v_add_co_u32 v7, vcc_lo, 0xfffffef8, v7
	v_add_co_ci_u32_e64 v8, null, -1, v8, vcc_lo
	v_cmp_gt_i32_e32 vcc_lo, s12, v2
	v_mov_b32_e32 v12, 0
	v_mov_b32_e32 v10, 0
	s_sub_i32 s10, s12, 32
	s_mov_b32 s13, exec_lo
	v_cndmask_b32_e32 v8, v8, v6, vcc_lo
	v_cndmask_b32_e32 v7, v7, v5, vcc_lo
	v_cmpx_gt_i32_e64 s10, v13
	s_cbranch_execz .LBB100_53
; %bb.52:
	global_load_dwordx2 v[9:10], v[7:8], off
.LBB100_53:
	s_or_b32 exec_lo, exec_lo, s13
	v_add_nc_u32_e32 v2, 8, v13
	s_mov_b32 s13, exec_lo
	s_waitcnt vmcnt(0)
	ds_write_b64 v27, v[9:10]
	v_cmpx_gt_i32_e64 s10, v2
	s_cbranch_execz .LBB100_55
; %bb.54:
	s_lshl_b32 s22, s14, 3
	s_ashr_i32 s23, s22, 31
	s_lshl_b64 s[22:23], s[22:23], 3
	v_add_co_u32 v9, s3, v7, s22
	v_add_co_ci_u32_e64 v10, null, s23, v8, s3
	global_load_dwordx2 v[11:12], v[9:10], off
.LBB100_55:
	s_or_b32 exec_lo, exec_lo, s13
	v_mov_b32_e32 v9, 0
	v_mov_b32_e32 v18, 0
	v_add_nc_u32_e32 v23, 16, v13
	v_add_nc_u32_e32 v22, v22, v20
	v_mov_b32_e32 v10, 0
	v_mov_b32_e32 v19, 0
	s_mov_b32 s13, exec_lo
	s_waitcnt vmcnt(0)
	ds_write_b64 v22, v[11:12] offset:2112
	v_cmpx_gt_i32_e64 s10, v23
	s_cbranch_execz .LBB100_57
; %bb.56:
	s_lshl_b32 s22, s14, 4
	s_ashr_i32 s23, s22, 31
	s_lshl_b64 s[22:23], s[22:23], 3
	v_add_co_u32 v11, s3, v7, s22
	v_add_co_ci_u32_e64 v12, null, s23, v8, s3
	global_load_dwordx2 v[18:19], v[11:12], off
.LBB100_57:
	s_or_b32 exec_lo, exec_lo, s13
	v_add_nc_u32_e32 v11, 24, v13
	s_waitcnt vmcnt(0)
	ds_write_b64 v22, v[18:19] offset:4224
	v_cmp_gt_i32_e64 s3, s10, v11
	s_and_saveexec_b32 s10, s3
	s_cbranch_execz .LBB100_59
; %bb.58:
	s_mul_i32 s22, s14, 24
	s_ashr_i32 s23, s22, 31
	s_lshl_b64 s[22:23], s[22:23], 3
	v_add_co_u32 v9, s3, v7, s22
	v_add_co_ci_u32_e64 v10, null, s23, v8, s3
	global_load_dwordx2 v[9:10], v[9:10], off
.LBB100_59:
	s_or_b32 exec_lo, exec_lo, s10
	v_add_co_u32 v7, s3, v7, v20
	v_add_co_ci_u32_e64 v8, null, 0, v8, s3
	s_waitcnt vmcnt(0)
	ds_write_b64 v22, v[9:10] offset:6336
	v_sub_co_u32 v7, s3, v7, s8
	v_subrev_co_ci_u32_e64 v8, null, s9, v8, s3
	v_add_co_u32 v7, s3, v7, 8
	v_add_co_ci_u32_e64 v8, null, 0, v8, s3
	v_cndmask_b32_e32 v18, v7, v5, vcc_lo
	v_cndmask_b32_e32 v19, v8, v6, vcc_lo
	s_branch .LBB100_65
.LBB100_60:
	ds_read_b64 v[7:8], v28
	s_waitcnt lgkmcnt(0)
	ds_write_b64 v5, v[7:8]
	s_or_b32 exec_lo, exec_lo, s10
	v_add_nc_u32_e32 v29, v20, v6
	s_and_saveexec_b32 s2, s3
	s_cbranch_execz .LBB100_45
.LBB100_61:
	ds_read_b64 v[6:7], v29
	s_waitcnt lgkmcnt(0)
	ds_write_b64 v5, v[6:7] offset:8
	s_or_b32 exec_lo, exec_lo, s2
	s_and_saveexec_b32 s2, s8
	s_cbranch_execz .LBB100_46
.LBB100_62:
	ds_read_b64 v[6:7], v29 offset:264
	s_waitcnt lgkmcnt(0)
	ds_write_b64 v5, v[6:7] offset:16
	s_or_b32 exec_lo, exec_lo, s2
	v_add_nc_u32_e32 v30, 0x2380, v30
	s_and_saveexec_b32 s2, s9
	s_cbranch_execnz .LBB100_47
	s_branch .LBB100_48
.LBB100_63:
                                        ; implicit-def: $vgpr18_vgpr19
                                        ; implicit-def: $vgpr2
                                        ; implicit-def: $vgpr23
                                        ; implicit-def: $vgpr11
	s_cbranch_execz .LBB100_65
; %bb.64:
	s_lshl_b32 s8, s14, 3
	s_ashr_i32 s15, s14, 31
	s_ashr_i32 s9, s8, 31
	v_mov_b32_e32 v19, v6
	s_lshl_b64 s[8:9], s[8:9], 3
	v_add_nc_u32_e32 v2, 8, v13
	v_add_co_u32 v7, vcc_lo, v3, s8
	v_add_co_ci_u32_e64 v8, null, s9, v4, vcc_lo
	s_lshl_b64 s[8:9], s[14:15], 6
	v_add_nc_u32_e32 v23, 16, v13
	v_add_co_u32 v9, vcc_lo, v7, s8
	v_add_co_ci_u32_e64 v10, null, s9, v8, vcc_lo
	v_mov_b32_e32 v18, v5
	v_add_co_u32 v11, vcc_lo, v9, s8
	v_add_co_ci_u32_e64 v12, null, s9, v10, vcc_lo
	s_clause 0x3
	global_load_dwordx2 v[3:4], v[3:4], off offset:-256
	global_load_dwordx2 v[7:8], v[7:8], off offset:-256
	;; [unrolled: 1-line block ×4, first 2 shown]
	v_add_nc_u32_e32 v11, 24, v13
	s_waitcnt vmcnt(3)
	ds_write_b64 v27, v[3:4]
	s_waitcnt vmcnt(2)
	ds_write_b64 v27, v[7:8] offset:2112
	s_waitcnt vmcnt(1)
	ds_write_b64 v27, v[9:10] offset:4224
	;; [unrolled: 2-line block ×3, first 2 shown]
.LBB100_65:
	v_lshlrev_b32_e32 v6, 3, v13
	v_lshlrev_b32_e32 v8, 3, v2
	s_waitcnt lgkmcnt(0)
	s_barrier
	buffer_gl0_inv
	v_add_nc_u32_e32 v3, v25, v6
	v_lshlrev_b32_e32 v10, 3, v23
	v_lshlrev_b32_e32 v12, 3, v11
	ds_read_b64 v[2:3], v3
	ds_read_b64 v[4:5], v8 offset:9088
	ds_read_b64 v[6:7], v6 offset:9088
	v_add_nc_u32_e32 v8, v25, v8
	ds_read_b64 v[20:21], v21
	v_add_nc_u32_e32 v13, v25, v10
	s_waitcnt lgkmcnt(1)
	v_fma_f64 v[2:3], v[2:3], v[6:7], 0
	ds_read_b64 v[6:7], v8
	ds_read_b64 v[8:9], v12 offset:9088
	ds_read_b64 v[10:11], v10 offset:9088
	s_waitcnt lgkmcnt(2)
	v_fma_f64 v[2:3], v[6:7], v[4:5], v[2:3]
	ds_read_b64 v[4:5], v13
	v_add_nc_u32_e32 v6, v25, v12
	s_waitcnt lgkmcnt(0)
	v_fma_f64 v[2:3], v[4:5], v[10:11], v[2:3]
	ds_read_b64 v[4:5], v6
	ds_read_b64 v[22:23], v28
	s_waitcnt lgkmcnt(1)
	v_fma_f64 v[27:28], v[4:5], v[8:9], v[2:3]
	ds_read_b128 v[10:13], v30 offset:256
	ds_read_b128 v[2:5], v30 offset:272
	ds_read2_b64 v[6:9], v29 offset1:33
	s_waitcnt lgkmcnt(0)
	s_barrier
	buffer_gl0_inv
	ds_write_b64 v26, v[27:28]
	s_waitcnt lgkmcnt(0)
	s_barrier
	buffer_gl0_inv
	s_and_saveexec_b32 s3, s2
	s_cbranch_execz .LBB100_67
; %bb.66:
	ds_read2_b64 v[27:30], v25 offset1:1
	ds_read2_b64 v[31:34], v25 offset0:2 offset1:3
	s_waitcnt lgkmcnt(1)
	v_add_f64 v[27:28], v[59:60], v[27:28]
	v_add_f64 v[27:28], v[27:28], v[29:30]
	s_waitcnt lgkmcnt(0)
	v_add_f64 v[27:28], v[27:28], v[31:32]
	v_add_f64 v[35:36], v[27:28], v[33:34]
	ds_read2_b64 v[27:30], v25 offset0:4 offset1:5
	ds_read2_b64 v[31:34], v25 offset0:6 offset1:7
	s_waitcnt lgkmcnt(1)
	v_add_f64 v[27:28], v[35:36], v[27:28]
	v_add_f64 v[27:28], v[27:28], v[29:30]
	s_waitcnt lgkmcnt(0)
	v_add_f64 v[27:28], v[27:28], v[31:32]
	v_add_f64 v[59:60], v[27:28], v[33:34]
.LBB100_67:
	s_or_b32 exec_lo, exec_lo, s3
	v_fma_f64 v[10:11], v[22:23], v[10:11], 0
	s_barrier
	buffer_gl0_inv
	v_fma_f64 v[6:7], v[6:7], v[12:13], v[10:11]
	v_fma_f64 v[2:3], v[8:9], v[2:3], v[6:7]
	;; [unrolled: 1-line block ×3, first 2 shown]
	ds_write_b64 v26, v[2:3]
	s_waitcnt lgkmcnt(0)
	s_barrier
	buffer_gl0_inv
	s_and_saveexec_b32 s2, s1
	s_cbranch_execz .LBB100_69
; %bb.68:
	ds_read2_b64 v[2:5], v25 offset1:1
	ds_read2_b64 v[6:9], v25 offset0:2 offset1:3
	s_waitcnt lgkmcnt(1)
	v_add_f64 v[2:3], v[59:60], v[2:3]
	v_add_f64 v[2:3], v[2:3], v[4:5]
	s_waitcnt lgkmcnt(0)
	v_add_f64 v[2:3], v[2:3], v[6:7]
	v_add_f64 v[10:11], v[2:3], v[8:9]
	ds_read2_b64 v[2:5], v25 offset0:4 offset1:5
	ds_read2_b64 v[6:9], v25 offset0:6 offset1:7
	s_waitcnt lgkmcnt(1)
	v_add_f64 v[2:3], v[10:11], v[2:3]
	v_add_f64 v[2:3], v[2:3], v[4:5]
	s_waitcnt lgkmcnt(0)
	v_add_f64 v[2:3], v[2:3], v[6:7]
	v_add_f64 v[59:60], v[2:3], v[8:9]
.LBB100_69:
	s_or_b32 exec_lo, exec_lo, s2
	s_load_dwordx2 s[2:3], s[4:5], 0x68
	s_mul_hi_u32 s1, s25, s7
	s_mul_i32 s11, s11, s7
	s_mul_i32 s4, s25, s7
	s_add_i32 s1, s1, s11
	s_mul_hi_u32 s5, s4, s26
	s_mul_i32 s1, s1, s26
	s_mul_i32 s4, s4, s26
	s_add_i32 s5, s5, s1
	s_mul_hi_i32 s9, s25, s6
	s_lshl_b64 s[4:5], s[4:5], 3
	s_mul_i32 s8, s25, s6
	v_lshlrev_b32_e32 v95, 3, v0
	s_waitcnt lgkmcnt(0)
	s_barrier
	buffer_gl0_inv
	s_add_u32 s1, s2, s4
	s_addc_u32 s4, s3, s5
	s_lshl_b64 s[2:3], s[8:9], 3
	s_add_u32 s7, s1, s2
	s_addc_u32 s13, s4, s3
	s_add_i32 s4, s6, 1
	s_cmp_ge_u32 s4, s26
	s_cbranch_scc1 .LBB100_126
; %bb.70:
	v_lshlrev_b32_e32 v96, 2, v1
	s_mul_i32 s2, s24, s16
	v_lshrrev_b32_e32 v8, 4, v24
	v_and_b32_e32 v5, 48, v0
	s_ashr_i32 s3, s2, 31
	v_mad_u64_u32 v[2:3], null, s14, v96, v[0:1]
	s_lshl_b64 s[2:3], s[2:3], 3
	v_and_b32_e32 v4, 15, v0
	v_sub_co_u32 v97, vcc_lo, v14, s2
	v_lshlrev_b32_e32 v6, 5, v8
	v_lshlrev_b32_e32 v5, 3, v5
	v_ashrrev_i32_e32 v3, 31, v2
	v_or_b32_e32 v7, 0x78, v95
	v_subrev_co_ci_u32_e64 v98, null, s3, v15, vcc_lo
	v_add_co_u32 v99, vcc_lo, v18, s18
	v_add_co_ci_u32_e64 v100, null, s19, v19, vcc_lo
	v_sub_co_u32 v104, vcc_lo, 0, v16
	v_mad_u32_u24 v101, 0x218, v4, v6
	v_mad_u32_u24 v102, 0x218, v4, v5
	;; [unrolled: 1-line block ×3, first 2 shown]
	v_lshlrev_b64 v[4:5], 3, v[2:3]
	v_sub_co_ci_u32_e64 v105, null, 0, v17, vcc_lo
	v_add_co_u32 v6, vcc_lo, s20, v2
	v_add_co_ci_u32_e64 v7, null, s21, v3, vcc_lo
	v_sub_co_u32 v106, vcc_lo, v4, v16
	v_sub_co_ci_u32_e64 v107, null, v5, v17, vcc_lo
	v_lshlrev_b64 v[4:5], 3, v[6:7]
	s_lshl_b32 s2, s14, 4
	s_ashr_i32 s15, s14, 31
	s_lshl_b32 s30, s24, 6
	s_ashr_i32 s3, s2, 31
	s_lshl_b32 s22, s14, 1
	s_mul_i32 s34, s14, 3
	s_mul_i32 s24, s24, s4
	s_mul_i32 s36, s14, 24
	s_lshl_b64 s[16:17], s[14:15], 4
	s_add_i32 s29, s26, -2
	s_ashr_i32 s23, s22, 31
	s_ashr_i32 s35, s34, 31
	s_lshl_b64 s[10:11], s[14:15], 3
	s_lshl_b32 s4, s24, 6
	s_lshl_b64 s[8:9], s[2:3], 5
	s_mul_hi_i32 s33, s14, 24
	v_add_co_u32 v6, vcc_lo, s36, v4
	s_add_u32 s5, s16, s18
	v_add_co_ci_u32_e64 v7, null, s33, v5, vcc_lo
	s_addc_u32 s31, s17, s19
	v_add_co_u32 v108, vcc_lo, v18, s5
	s_add_u32 s37, s10, s18
	v_add_co_ci_u32_e64 v109, null, s31, v19, vcc_lo
	v_add_co_u32 v110, vcc_lo, v18, v6
	s_addc_u32 s38, s11, s19
	s_lshl_b64 s[22:23], s[22:23], 3
	v_add_co_ci_u32_e64 v111, null, v19, v7, vcc_lo
	v_add_co_u32 v112, vcc_lo, v18, s37
	s_add_u32 s39, s18, s22
	s_addc_u32 s40, s19, s23
	s_lshl_b64 s[24:25], s[34:35], 3
	v_add_co_ci_u32_e64 v113, null, s38, v19, vcc_lo
	v_add_co_u32 v114, vcc_lo, v18, s39
	s_add_u32 s39, s18, s24
	v_add_co_ci_u32_e64 v115, null, s40, v19, vcc_lo
	s_addc_u32 s40, s19, s25
	s_lshl_b64 s[34:35], s[2:3], 3
	v_add_co_u32 v116, vcc_lo, v18, s39
	s_add_u32 s39, s18, s34
	v_add_co_ci_u32_e64 v117, null, s40, v19, vcc_lo
	s_addc_u32 s40, s19, s35
	v_add_co_u32 v118, vcc_lo, v18, s39
	s_add_u32 s37, s37, s34
	s_addc_u32 s38, s38, s35
	v_add_co_ci_u32_e64 v119, null, s40, v19, vcc_lo
	v_add_co_u32 v120, vcc_lo, v18, s37
	s_add_u32 s37, s39, s22
	v_add_co_ci_u32_e64 v121, null, s38, v19, vcc_lo
	s_addc_u32 s38, s40, s23
	v_add_co_u32 v122, vcc_lo, v18, s37
	s_add_u32 s37, s39, s24
	v_add_co_ci_u32_e64 v123, null, s38, v19, vcc_lo
	s_addc_u32 s38, s40, s25
	s_add_u32 s34, s5, s34
	s_addc_u32 s35, s31, s35
	s_add_u32 s20, s20, s2
	s_addc_u32 s21, s21, s3
	v_add_co_u32 v2, vcc_lo, s20, v2
	v_add_co_ci_u32_e64 v3, null, s21, v3, vcc_lo
	v_add_co_u32 v124, vcc_lo, v18, s37
	v_add_co_ci_u32_e64 v125, null, s38, v19, vcc_lo
	v_lshlrev_b64 v[2:3], 3, v[2:3]
	v_add_co_u32 v126, vcc_lo, v18, s34
	s_lshl_b64 s[20:21], s[2:3], 4
	v_add_co_ci_u32_e64 v127, null, s35, v19, vcc_lo
	v_add_co_u32 v2, vcc_lo, s36, v2
	s_add_u32 s18, s20, s18
	v_add_co_ci_u32_e64 v3, null, s33, v3, vcc_lo
	s_addc_u32 s19, s21, s19
	s_add_u32 s34, s18, s10
	s_addc_u32 s35, s19, s11
	v_add_co_u32 v128, vcc_lo, v18, v2
	s_add_u32 s37, s18, s22
	s_addc_u32 s38, s19, s23
	v_add_co_ci_u32_e64 v129, null, v19, v3, vcc_lo
	s_add_u32 s39, s18, s24
	v_mad_i64_i32 v[2:3], null, s2, 24, v[4:5]
	s_addc_u32 s40, s19, s25
	s_add_u32 s5, s5, s20
	s_addc_u32 s31, s31, s21
	s_add_u32 s20, s36, s20
	s_addc_u32 s21, s33, s21
	v_add_co_u32 v9, vcc_lo, s20, v4
	v_add_co_ci_u32_e64 v10, null, s21, v5, vcc_lo
	v_add_co_u32 v130, vcc_lo, v18, v2
	s_mul_i32 s20, s14, 0x180
	s_mul_hi_i32 s21, s2, 24
	v_add_co_ci_u32_e64 v131, null, v19, v3, vcc_lo
	v_add_co_u32 v11, vcc_lo, v2, s10
	s_add_u32 s10, s20, s16
	v_add_co_ci_u32_e64 v12, null, s11, v3, vcc_lo
	s_addc_u32 s11, s21, s17
	s_add_u32 s2, s14, s2
	v_add_co_u32 v13, vcc_lo, v2, s22
	v_mad_u64_u32 v[6:7], null, s2, 24, v[4:5]
	v_add_co_ci_u32_e64 v14, null, s23, v3, vcc_lo
	v_add_co_u32 v15, vcc_lo, v2, s24
	v_add_co_ci_u32_e64 v16, null, s25, v3, vcc_lo
	v_add_co_u32 v4, vcc_lo, s10, v4
	;; [unrolled: 2-line block ×3, first 2 shown]
	v_mov_b32_e32 v2, v7
	v_add_co_ci_u32_e64 v133, null, s19, v19, vcc_lo
	v_add_co_u32 v134, vcc_lo, v18, v9
	s_addc_u32 s2, s15, s3
	v_add_co_ci_u32_e64 v135, null, v19, v10, vcc_lo
	v_add_co_u32 v136, vcc_lo, v18, v11
	v_mad_u64_u32 v[2:3], null, s2, 24, v[2:3]
	v_add_co_ci_u32_e64 v137, null, v19, v12, vcc_lo
	v_add_co_u32 v138, vcc_lo, v18, v13
	v_add_co_ci_u32_e64 v139, null, v19, v14, vcc_lo
	v_add_co_u32 v140, vcc_lo, v18, v15
	;; [unrolled: 2-line block ×6, first 2 shown]
	v_mul_i32_i24_e32 v2, 0xffffffe8, v8
	v_add_co_ci_u32_e64 v149, null, s38, v19, vcc_lo
	v_add_co_u32 v150, vcc_lo, v18, s39
	v_add_co_ci_u32_e64 v151, null, s40, v19, vcc_lo
	v_add_co_u32 v152, vcc_lo, v18, s5
	v_cmp_gt_u32_e64 s1, 64, v24
	v_add_co_ci_u32_e64 v153, null, s31, v19, vcc_lo
	v_add_nc_u32_e32 v154, v101, v2
	v_add_nc_u32_e32 v155, 0x2180, v95
	v_lshl_add_u32 v156, v1, 5, 0x2180
	v_add_nc_u32_e32 v157, 0x2380, v95
	v_mad_u32_u24 v158, 0x860, v1, v95
	v_or_b32_e32 v159, 1, v96
	v_or_b32_e32 v160, 2, v96
	v_or_b32_e32 v161, 3, v96
	v_add_nc_u32_e32 v162, 16, v96
	v_add_nc_u32_e32 v163, 17, v96
	v_add_nc_u32_e32 v164, 18, v96
	v_add_nc_u32_e32 v165, 19, v96
	v_add_nc_u32_e32 v166, 32, v96
	v_add_nc_u32_e32 v167, 33, v96
	v_add_nc_u32_e32 v168, 34, v96
	v_add_nc_u32_e32 v169, 35, v96
	v_add_nc_u32_e32 v170, 48, v96
	v_add_nc_u32_e32 v171, 49, v96
	v_add_nc_u32_e32 v172, 50, v96
	v_add_nc_u32_e32 v173, 51, v96
	v_add_nc_u32_e32 v61, 64, v58
	s_cmp_eq_u32 s29, s6
	s_cselect_b32 s3, s27, 0
	s_and_saveexec_b32 s2, s0
	s_cbranch_execz .LBB100_74
.LBB100_71:
	v_cmp_gt_i32_e32 vcc_lo, s3, v0
	s_cmp_eq_u32 s3, 0
	v_mov_b32_e32 v2, 0
	v_mov_b32_e32 v3, 0
	s_cselect_b32 s5, -1, 0
	s_or_b32 s5, s5, vcc_lo
	s_and_saveexec_b32 s10, s5
	s_cbranch_execz .LBB100_73
; %bb.72:
	s_ashr_i32 s5, s4, 31
	s_lshl_b64 s[14:15], s[4:5], 3
	v_add_co_u32 v2, vcc_lo, v97, s14
	v_add_co_ci_u32_e64 v3, null, s15, v98, vcc_lo
	global_load_dwordx2 v[2:3], v[2:3], off
.LBB100_73:
	s_or_b32 exec_lo, exec_lo, s10
	s_waitcnt vmcnt(0)
	ds_write_b64 v155, v[2:3]
.LBB100_74:                             ; =>This Inner Loop Header: Depth=1
	s_or_b32 exec_lo, exec_lo, s2
	s_cmp_eq_u32 s3, 0
	v_add_co_u32 v2, vcc_lo, v99, v106
	s_cselect_b32 s5, -1, 0
	s_cmp_lg_u32 s3, 0
	v_add_co_ci_u32_e64 v3, null, v100, v107, vcc_lo
	s_cselect_b32 s2, -1, 0
	s_mov_b32 s10, -1
	s_and_b32 vcc_lo, exec_lo, s2
	s_waitcnt lgkmcnt(0)
	s_barrier
	buffer_gl0_inv
                                        ; implicit-def: $vgpr69_vgpr70
                                        ; implicit-def: $vgpr67_vgpr68
                                        ; implicit-def: $vgpr65_vgpr66
                                        ; implicit-def: $vgpr63_vgpr64
	s_cbranch_vccz .LBB100_84
; %bb.75:                               ;   in Loop: Header=BB100_74 Depth=1
	v_mov_b32_e32 v65, 0
	v_mov_b32_e32 v63, 0
	;; [unrolled: 1-line block ×4, first 2 shown]
	s_mov_b32 s10, exec_lo
	v_cmpx_gt_i32_e64 s3, v96
	s_cbranch_execz .LBB100_77
; %bb.76:                               ;   in Loop: Header=BB100_74 Depth=1
	global_load_dwordx2 v[63:64], v[2:3], off
.LBB100_77:                             ;   in Loop: Header=BB100_74 Depth=1
	s_or_b32 exec_lo, exec_lo, s10
	s_mov_b32 s10, exec_lo
	v_cmpx_gt_i32_e64 s3, v159
	s_cbranch_execz .LBB100_79
; %bb.78:                               ;   in Loop: Header=BB100_74 Depth=1
	v_add_co_u32 v4, vcc_lo, v112, v106
	v_add_co_ci_u32_e64 v5, null, v113, v107, vcc_lo
	global_load_dwordx2 v[65:66], v[4:5], off
.LBB100_79:                             ;   in Loop: Header=BB100_74 Depth=1
	s_or_b32 exec_lo, exec_lo, s10
	v_mov_b32_e32 v69, 0
	v_mov_b32_e32 v67, 0
	;; [unrolled: 1-line block ×4, first 2 shown]
	s_mov_b32 s10, exec_lo
	v_cmpx_gt_i32_e64 s3, v160
	s_cbranch_execz .LBB100_81
; %bb.80:                               ;   in Loop: Header=BB100_74 Depth=1
	v_add_co_u32 v4, vcc_lo, v114, v106
	v_add_co_ci_u32_e64 v5, null, v115, v107, vcc_lo
	global_load_dwordx2 v[67:68], v[4:5], off
.LBB100_81:                             ;   in Loop: Header=BB100_74 Depth=1
	s_or_b32 exec_lo, exec_lo, s10
	s_mov_b32 s10, exec_lo
	v_cmpx_gt_i32_e64 s3, v161
	s_cbranch_execz .LBB100_83
; %bb.82:                               ;   in Loop: Header=BB100_74 Depth=1
	v_add_co_u32 v4, vcc_lo, v116, v106
	v_add_co_ci_u32_e64 v5, null, v117, v107, vcc_lo
	global_load_dwordx2 v[69:70], v[4:5], off
.LBB100_83:                             ;   in Loop: Header=BB100_74 Depth=1
	s_or_b32 exec_lo, exec_lo, s10
	s_mov_b32 s10, 0
.LBB100_84:                             ;   in Loop: Header=BB100_74 Depth=1
	s_and_b32 vcc_lo, exec_lo, s10
	s_cbranch_vccz .LBB100_86
; %bb.85:                               ;   in Loop: Header=BB100_74 Depth=1
	v_add_co_u32 v4, vcc_lo, v112, v106
	v_add_co_ci_u32_e64 v5, null, v113, v107, vcc_lo
	v_add_co_u32 v6, vcc_lo, v108, v106
	v_add_co_ci_u32_e64 v7, null, v109, v107, vcc_lo
	;; [unrolled: 2-line block ×3, first 2 shown]
	global_load_dwordx2 v[63:64], v[2:3], off
	global_load_dwordx2 v[65:66], v[4:5], off
	;; [unrolled: 1-line block ×4, first 2 shown]
.LBB100_86:                             ;   in Loop: Header=BB100_74 Depth=1
	ds_read_b64 v[2:3], v157
	v_add_co_u32 v18, vcc_lo, v118, v106
	v_cndmask_b32_e64 v42, 0, 1, s2
	v_add_co_ci_u32_e64 v19, null, v119, v107, vcc_lo
	s_andn2_b32 vcc_lo, exec_lo, s2
	s_mov_b32 s2, -1
                                        ; implicit-def: $vgpr77_vgpr78
                                        ; implicit-def: $vgpr75_vgpr76
                                        ; implicit-def: $vgpr73_vgpr74
                                        ; implicit-def: $vgpr71_vgpr72
	s_waitcnt vmcnt(0) lgkmcnt(0)
	v_mul_f64 v[10:11], v[63:64], v[2:3]
	v_mul_f64 v[12:13], v[65:66], v[2:3]
	;; [unrolled: 1-line block ×4, first 2 shown]
	ds_read_b128 v[6:9], v156
	ds_read_b128 v[2:5], v156 offset:16
	ds_write2_b64 v158, v[10:11], v[12:13] offset1:67
	ds_write2_b64 v158, v[14:15], v[16:17] offset0:134 offset1:201
	s_waitcnt lgkmcnt(0)
	s_barrier
	buffer_gl0_inv
	ds_read2_b64 v[14:17], v101 offset1:1
	ds_read2_b64 v[10:13], v101 offset0:2 offset1:3
	s_waitcnt lgkmcnt(0)
	s_barrier
	buffer_gl0_inv
	s_cbranch_vccnz .LBB100_96
; %bb.87:                               ;   in Loop: Header=BB100_74 Depth=1
	v_mov_b32_e32 v73, 0
	v_mov_b32_e32 v71, 0
	;; [unrolled: 1-line block ×4, first 2 shown]
	s_mov_b32 s2, exec_lo
	v_cmpx_gt_i32_e64 s3, v162
	s_cbranch_execz .LBB100_89
; %bb.88:                               ;   in Loop: Header=BB100_74 Depth=1
	global_load_dwordx2 v[71:72], v[18:19], off
.LBB100_89:                             ;   in Loop: Header=BB100_74 Depth=1
	s_or_b32 exec_lo, exec_lo, s2
	s_mov_b32 s2, exec_lo
	v_cmpx_gt_i32_e64 s3, v163
	s_cbranch_execz .LBB100_91
; %bb.90:                               ;   in Loop: Header=BB100_74 Depth=1
	v_add_co_u32 v20, vcc_lo, v120, v106
	v_add_co_ci_u32_e64 v21, null, v121, v107, vcc_lo
	global_load_dwordx2 v[73:74], v[20:21], off
.LBB100_91:                             ;   in Loop: Header=BB100_74 Depth=1
	s_or_b32 exec_lo, exec_lo, s2
	v_mov_b32_e32 v77, 0
	v_mov_b32_e32 v75, 0
	;; [unrolled: 1-line block ×4, first 2 shown]
	s_mov_b32 s2, exec_lo
	v_cmpx_gt_i32_e64 s3, v164
	s_cbranch_execz .LBB100_93
; %bb.92:                               ;   in Loop: Header=BB100_74 Depth=1
	v_add_co_u32 v20, vcc_lo, v122, v106
	v_add_co_ci_u32_e64 v21, null, v123, v107, vcc_lo
	global_load_dwordx2 v[75:76], v[20:21], off
.LBB100_93:                             ;   in Loop: Header=BB100_74 Depth=1
	s_or_b32 exec_lo, exec_lo, s2
	s_mov_b32 s2, exec_lo
	v_cmpx_gt_i32_e64 s3, v165
	s_cbranch_execz .LBB100_95
; %bb.94:                               ;   in Loop: Header=BB100_74 Depth=1
	v_add_co_u32 v20, vcc_lo, v124, v106
	v_add_co_ci_u32_e64 v21, null, v125, v107, vcc_lo
	global_load_dwordx2 v[77:78], v[20:21], off
.LBB100_95:                             ;   in Loop: Header=BB100_74 Depth=1
	s_or_b32 exec_lo, exec_lo, s2
	s_mov_b32 s2, 0
.LBB100_96:                             ;   in Loop: Header=BB100_74 Depth=1
	s_and_b32 vcc_lo, exec_lo, s2
	s_cbranch_vccz .LBB100_98
; %bb.97:                               ;   in Loop: Header=BB100_74 Depth=1
	v_add_co_u32 v20, vcc_lo, v120, v106
	v_add_co_ci_u32_e64 v21, null, v121, v107, vcc_lo
	v_add_co_u32 v22, vcc_lo, v126, v106
	v_add_co_ci_u32_e64 v23, null, v127, v107, vcc_lo
	v_add_co_u32 v24, vcc_lo, v128, v104
	v_add_co_ci_u32_e64 v25, null, v129, v105, vcc_lo
	global_load_dwordx2 v[71:72], v[18:19], off
	global_load_dwordx2 v[73:74], v[20:21], off
	;; [unrolled: 1-line block ×4, first 2 shown]
.LBB100_98:                             ;   in Loop: Header=BB100_74 Depth=1
	ds_read_b64 v[18:19], v157
	v_cmp_ne_u32_e32 vcc_lo, 1, v42
	v_add_co_u32 v34, s2, v132, v106
	v_add_co_ci_u32_e64 v35, null, v133, v107, s2
	s_and_b32 vcc_lo, exec_lo, vcc_lo
	s_mov_b32 s2, -1
                                        ; implicit-def: $vgpr85_vgpr86
                                        ; implicit-def: $vgpr83_vgpr84
                                        ; implicit-def: $vgpr81_vgpr82
                                        ; implicit-def: $vgpr79_vgpr80
	s_waitcnt vmcnt(0) lgkmcnt(0)
	v_mul_f64 v[26:27], v[71:72], v[18:19]
	v_mul_f64 v[28:29], v[73:74], v[18:19]
	;; [unrolled: 1-line block ×4, first 2 shown]
	ds_read_b128 v[22:25], v156 offset:128
	ds_read_b128 v[18:21], v156 offset:144
	ds_write2_b64 v158, v[26:27], v[28:29] offset1:67
	ds_write2_b64 v158, v[30:31], v[32:33] offset0:134 offset1:201
	s_waitcnt lgkmcnt(0)
	s_barrier
	buffer_gl0_inv
	ds_read2_b64 v[30:33], v101 offset1:1
	ds_read2_b64 v[26:29], v101 offset0:2 offset1:3
	s_waitcnt lgkmcnt(0)
	s_barrier
	buffer_gl0_inv
	s_cbranch_vccnz .LBB100_108
; %bb.99:                               ;   in Loop: Header=BB100_74 Depth=1
	v_mov_b32_e32 v81, 0
	v_mov_b32_e32 v79, 0
	;; [unrolled: 1-line block ×4, first 2 shown]
	s_mov_b32 s2, exec_lo
	v_cmpx_gt_i32_e64 s3, v166
	s_cbranch_execz .LBB100_101
; %bb.100:                              ;   in Loop: Header=BB100_74 Depth=1
	global_load_dwordx2 v[79:80], v[34:35], off
.LBB100_101:                            ;   in Loop: Header=BB100_74 Depth=1
	s_or_b32 exec_lo, exec_lo, s2
	s_mov_b32 s2, exec_lo
	v_cmpx_gt_i32_e64 s3, v167
	s_cbranch_execz .LBB100_103
; %bb.102:                              ;   in Loop: Header=BB100_74 Depth=1
	v_add_co_u32 v36, vcc_lo, v146, v106
	v_add_co_ci_u32_e64 v37, null, v147, v107, vcc_lo
	global_load_dwordx2 v[81:82], v[36:37], off
.LBB100_103:                            ;   in Loop: Header=BB100_74 Depth=1
	s_or_b32 exec_lo, exec_lo, s2
	v_mov_b32_e32 v85, 0
	v_mov_b32_e32 v83, 0
	;; [unrolled: 1-line block ×4, first 2 shown]
	s_mov_b32 s2, exec_lo
	v_cmpx_gt_i32_e64 s3, v168
	s_cbranch_execz .LBB100_105
; %bb.104:                              ;   in Loop: Header=BB100_74 Depth=1
	v_add_co_u32 v36, vcc_lo, v148, v106
	v_add_co_ci_u32_e64 v37, null, v149, v107, vcc_lo
	global_load_dwordx2 v[83:84], v[36:37], off
.LBB100_105:                            ;   in Loop: Header=BB100_74 Depth=1
	s_or_b32 exec_lo, exec_lo, s2
	s_mov_b32 s2, exec_lo
	v_cmpx_gt_i32_e64 s3, v169
	s_cbranch_execz .LBB100_107
; %bb.106:                              ;   in Loop: Header=BB100_74 Depth=1
	v_add_co_u32 v36, vcc_lo, v150, v106
	v_add_co_ci_u32_e64 v37, null, v151, v107, vcc_lo
	global_load_dwordx2 v[85:86], v[36:37], off
.LBB100_107:                            ;   in Loop: Header=BB100_74 Depth=1
	s_or_b32 exec_lo, exec_lo, s2
	s_mov_b32 s2, 0
.LBB100_108:                            ;   in Loop: Header=BB100_74 Depth=1
	s_and_b32 vcc_lo, exec_lo, s2
	s_cbranch_vccz .LBB100_110
; %bb.109:                              ;   in Loop: Header=BB100_74 Depth=1
	v_add_co_u32 v36, vcc_lo, v146, v106
	v_add_co_ci_u32_e64 v37, null, v147, v107, vcc_lo
	v_add_co_u32 v38, vcc_lo, v152, v106
	v_add_co_ci_u32_e64 v39, null, v153, v107, vcc_lo
	v_add_co_u32 v40, vcc_lo, v134, v104
	v_add_co_ci_u32_e64 v41, null, v135, v105, vcc_lo
	global_load_dwordx2 v[79:80], v[34:35], off
	global_load_dwordx2 v[81:82], v[36:37], off
	;; [unrolled: 1-line block ×4, first 2 shown]
.LBB100_110:                            ;   in Loop: Header=BB100_74 Depth=1
	ds_read_b64 v[34:35], v157
	v_cmp_ne_u32_e32 vcc_lo, 1, v42
	v_add_co_u32 v42, s2, v130, v104
                                        ; implicit-def: $vgpr87_vgpr88
                                        ; implicit-def: $vgpr91_vgpr92
                                        ; implicit-def: $vgpr89_vgpr90
                                        ; implicit-def: $vgpr93_vgpr94
	s_and_b32 vcc_lo, exec_lo, vcc_lo
	s_waitcnt vmcnt(0) lgkmcnt(0)
	v_mul_f64 v[43:44], v[79:80], v[34:35]
	v_mul_f64 v[45:46], v[81:82], v[34:35]
	;; [unrolled: 1-line block ×4, first 2 shown]
	ds_read_b128 v[38:41], v156 offset:256
	ds_read_b128 v[34:37], v156 offset:272
	ds_write2_b64 v158, v[43:44], v[45:46] offset1:67
	ds_write2_b64 v158, v[47:48], v[49:50] offset0:134 offset1:201
	s_waitcnt lgkmcnt(0)
	s_barrier
	buffer_gl0_inv
	ds_read2_b64 v[54:57], v101 offset1:1
	ds_read2_b64 v[46:49], v101 offset0:2 offset1:3
	v_add_co_ci_u32_e64 v43, null, v131, v105, s2
	s_mov_b32 s2, -1
	s_waitcnt lgkmcnt(0)
	s_barrier
	buffer_gl0_inv
	s_cbranch_vccnz .LBB100_120
; %bb.111:                              ;   in Loop: Header=BB100_74 Depth=1
	v_mov_b32_e32 v89, 0
	v_mov_b32_e32 v93, 0
	v_mov_b32_e32 v90, 0
	v_mov_b32_e32 v94, 0
	s_mov_b32 s2, exec_lo
	v_cmpx_gt_i32_e64 s3, v170
	s_cbranch_execz .LBB100_113
; %bb.112:                              ;   in Loop: Header=BB100_74 Depth=1
	global_load_dwordx2 v[93:94], v[42:43], off
.LBB100_113:                            ;   in Loop: Header=BB100_74 Depth=1
	s_or_b32 exec_lo, exec_lo, s2
	s_mov_b32 s2, exec_lo
	v_cmpx_gt_i32_e64 s3, v171
	s_cbranch_execz .LBB100_115
; %bb.114:                              ;   in Loop: Header=BB100_74 Depth=1
	v_add_co_u32 v44, vcc_lo, v136, v104
	v_add_co_ci_u32_e64 v45, null, v137, v105, vcc_lo
	global_load_dwordx2 v[89:90], v[44:45], off
.LBB100_115:                            ;   in Loop: Header=BB100_74 Depth=1
	s_or_b32 exec_lo, exec_lo, s2
	v_mov_b32_e32 v87, 0
	v_mov_b32_e32 v91, 0
	;; [unrolled: 1-line block ×4, first 2 shown]
	s_mov_b32 s2, exec_lo
	v_cmpx_gt_i32_e64 s3, v172
	s_cbranch_execz .LBB100_117
; %bb.116:                              ;   in Loop: Header=BB100_74 Depth=1
	v_add_co_u32 v44, vcc_lo, v138, v104
	v_add_co_ci_u32_e64 v45, null, v139, v105, vcc_lo
	global_load_dwordx2 v[91:92], v[44:45], off
.LBB100_117:                            ;   in Loop: Header=BB100_74 Depth=1
	s_or_b32 exec_lo, exec_lo, s2
	s_mov_b32 s2, exec_lo
	v_cmpx_gt_i32_e64 s3, v173
	s_cbranch_execz .LBB100_119
; %bb.118:                              ;   in Loop: Header=BB100_74 Depth=1
	v_add_co_u32 v44, vcc_lo, v140, v104
	v_add_co_ci_u32_e64 v45, null, v141, v105, vcc_lo
	global_load_dwordx2 v[87:88], v[44:45], off
.LBB100_119:                            ;   in Loop: Header=BB100_74 Depth=1
	s_or_b32 exec_lo, exec_lo, s2
	s_mov_b32 s2, 0
.LBB100_120:                            ;   in Loop: Header=BB100_74 Depth=1
	s_and_b32 vcc_lo, exec_lo, s2
	s_cbranch_vccz .LBB100_122
; %bb.121:                              ;   in Loop: Header=BB100_74 Depth=1
	v_add_co_u32 v44, vcc_lo, v136, v104
	v_add_co_ci_u32_e64 v45, null, v137, v105, vcc_lo
	v_add_co_u32 v50, vcc_lo, v142, v104
	v_add_co_ci_u32_e64 v51, null, v143, v105, vcc_lo
	;; [unrolled: 2-line block ×3, first 2 shown]
	global_load_dwordx2 v[93:94], v[42:43], off
	global_load_dwordx2 v[89:90], v[44:45], off
	;; [unrolled: 1-line block ×4, first 2 shown]
.LBB100_122:                            ;   in Loop: Header=BB100_74 Depth=1
	ds_read_b64 v[42:43], v157
	v_add_f64 v[30:31], v[30:31], 0
	v_add_f64 v[14:15], v[14:15], 0
	v_add_f64 v[54:55], v[54:55], 0
	v_cmp_gt_i32_e32 vcc_lo, s3, v0
	s_or_b32 s2, s5, vcc_lo
	s_and_b32 s3, s1, s2
	s_waitcnt vmcnt(0) lgkmcnt(0)
	v_mul_f64 v[174:175], v[93:94], v[42:43]
	v_mul_f64 v[176:177], v[89:90], v[42:43]
	;; [unrolled: 1-line block ×4, first 2 shown]
	ds_read_b128 v[50:53], v156 offset:384
	ds_read_b128 v[42:45], v156 offset:400
	v_add_f64 v[30:31], v[30:31], v[32:33]
	v_add_f64 v[14:15], v[14:15], v[16:17]
	;; [unrolled: 1-line block ×3, first 2 shown]
	ds_write2_b64 v158, v[174:175], v[176:177] offset1:67
	ds_write2_b64 v158, v[178:179], v[180:181] offset0:134 offset1:201
	s_waitcnt lgkmcnt(0)
	s_barrier
	buffer_gl0_inv
	ds_read2_b64 v[174:177], v101 offset1:1
	ds_read2_b64 v[178:181], v101 offset0:2 offset1:3
	v_add_f64 v[26:27], v[30:31], v[26:27]
	v_add_f64 v[10:11], v[14:15], v[10:11]
	;; [unrolled: 1-line block ×3, first 2 shown]
	s_waitcnt lgkmcnt(0)
	s_barrier
	buffer_gl0_inv
	v_add_f64 v[174:175], v[174:175], 0
	v_add_f64 v[26:27], v[26:27], v[28:29]
	;; [unrolled: 1-line block ×7, first 2 shown]
	ds_write2_b64 v154, v[10:11], v[26:27] offset1:16
	ds_write2_b64 v154, v[16:17], v[12:13] offset0:32 offset1:48
	s_waitcnt lgkmcnt(0)
	s_barrier
	buffer_gl0_inv
	s_and_saveexec_b32 s2, s3
	s_cbranch_execz .LBB100_124
; %bb.123:                              ;   in Loop: Header=BB100_74 Depth=1
	ds_read2_b64 v[10:13], v102 offset1:1
	ds_read2_b64 v[14:17], v102 offset0:2 offset1:3
	v_ashrrev_i32_e32 v62, 31, v61
	s_waitcnt lgkmcnt(1)
	v_add_f64 v[10:11], v[10:11], v[12:13]
	s_waitcnt lgkmcnt(0)
	v_add_f64 v[10:11], v[10:11], v[14:15]
	v_add_f64 v[26:27], v[10:11], v[16:17]
	ds_read2_b64 v[10:13], v102 offset0:4 offset1:5
	ds_read2_b64 v[14:17], v102 offset0:6 offset1:7
	s_waitcnt lgkmcnt(1)
	v_add_f64 v[10:11], v[26:27], v[10:11]
	v_add_f64 v[10:11], v[10:11], v[12:13]
	s_waitcnt lgkmcnt(0)
	v_add_f64 v[10:11], v[10:11], v[14:15]
	v_add_f64 v[26:27], v[10:11], v[16:17]
	ds_read2_b64 v[10:13], v102 offset0:8 offset1:9
	ds_read2_b64 v[14:17], v102 offset0:10 offset1:11
	s_waitcnt lgkmcnt(1)
	v_add_f64 v[10:11], v[26:27], v[10:11]
	v_add_f64 v[10:11], v[10:11], v[12:13]
	s_waitcnt lgkmcnt(0)
	v_add_f64 v[10:11], v[10:11], v[14:15]
	v_add_f64 v[14:15], v[10:11], v[16:17]
	ds_read2_b64 v[10:13], v102 offset0:12 offset1:13
	ds_read_b64 v[16:17], v102 offset:112
	s_waitcnt lgkmcnt(1)
	v_add_f64 v[10:11], v[14:15], v[10:11]
	v_add_f64 v[10:11], v[10:11], v[12:13]
	ds_read_b64 v[12:13], v103
	s_waitcnt lgkmcnt(1)
	v_add_f64 v[10:11], v[10:11], v[16:17]
	s_waitcnt lgkmcnt(0)
	v_add_f64 v[10:11], v[10:11], v[12:13]
	v_lshlrev_b64 v[12:13], 3, v[61:62]
	v_add_co_u32 v12, vcc_lo, s7, v12
	v_add_co_ci_u32_e64 v13, null, s13, v13, vcc_lo
	global_store_dwordx2 v[12:13], v[10:11], off
.LBB100_124:                            ;   in Loop: Header=BB100_74 Depth=1
	s_or_b32 exec_lo, exec_lo, s2
	v_fma_f64 v[6:7], v[63:64], v[6:7], v[59:60]
	v_add_co_u32 v99, vcc_lo, v99, s8
	v_add_co_ci_u32_e64 v100, null, s9, v100, vcc_lo
	v_add_co_u32 v108, vcc_lo, v108, s8
	v_add_co_ci_u32_e64 v109, null, s9, v109, vcc_lo
	;; [unrolled: 2-line block ×5, first 2 shown]
	v_add_co_u32 v116, vcc_lo, v116, s8
	v_fma_f64 v[6:7], v[65:66], v[8:9], v[6:7]
	v_add_co_ci_u32_e64 v117, null, s9, v117, vcc_lo
	v_add_co_u32 v118, vcc_lo, v118, s8
	v_add_co_ci_u32_e64 v119, null, s9, v119, vcc_lo
	v_add_co_u32 v120, vcc_lo, v120, s8
	;; [unrolled: 2-line block ×5, first 2 shown]
	v_add_co_ci_u32_e64 v127, null, s9, v127, vcc_lo
	v_fma_f64 v[2:3], v[67:68], v[2:3], v[6:7]
	v_add_co_u32 v128, vcc_lo, v128, s8
	v_add_co_ci_u32_e64 v129, null, s9, v129, vcc_lo
	v_add_co_u32 v132, vcc_lo, v132, s8
	v_add_co_ci_u32_e64 v133, null, s9, v133, vcc_lo
	;; [unrolled: 2-line block ×5, first 2 shown]
	v_add_co_u32 v152, vcc_lo, v152, s8
	v_fma_f64 v[2:3], v[69:70], v[4:5], v[2:3]
	v_add_co_ci_u32_e64 v153, null, s9, v153, vcc_lo
	v_add_co_u32 v134, vcc_lo, v134, s8
	v_add_co_ci_u32_e64 v135, null, s9, v135, vcc_lo
	v_add_co_u32 v130, vcc_lo, v130, s8
	;; [unrolled: 2-line block ×5, first 2 shown]
	v_add_co_ci_u32_e64 v141, null, s9, v141, vcc_lo
	v_fma_f64 v[2:3], v[71:72], v[22:23], v[2:3]
	v_add_co_u32 v142, vcc_lo, v142, s8
	v_add_co_ci_u32_e64 v143, null, s9, v143, vcc_lo
	v_add_co_u32 v144, vcc_lo, v144, s8
	v_add_nc_u32_e32 v61, 64, v61
	v_add_co_ci_u32_e64 v145, null, s9, v145, vcc_lo
	s_add_i32 s3, s6, 2
	s_add_i32 s2, s6, 1
	;; [unrolled: 1-line block ×3, first 2 shown]
	s_cmp_ge_u32 s3, s26
	s_waitcnt_vscnt null, 0x0
	s_barrier
	buffer_gl0_inv
	v_fma_f64 v[2:3], v[73:74], v[24:25], v[2:3]
	v_fma_f64 v[2:3], v[75:76], v[18:19], v[2:3]
	;; [unrolled: 1-line block ×11, first 2 shown]
	s_cbranch_scc1 .LBB100_126
; %bb.125:                              ;   in Loop: Header=BB100_74 Depth=1
	s_mov_b32 s6, s2
	s_cmp_eq_u32 s29, s6
	s_cselect_b32 s3, s27, 0
	s_and_saveexec_b32 s2, s0
	s_cbranch_execnz .LBB100_71
	s_branch .LBB100_74
.LBB100_126:
	v_cmp_gt_i32_e32 vcc_lo, s12, v0
	v_mad_u32_u24 v1, 0x218, v1, v95
	s_or_b32 s1, s28, vcc_lo
	ds_write_b64 v1, v[59:60]
	s_and_b32 s0, s0, s1
	s_waitcnt lgkmcnt(0)
	s_barrier
	buffer_gl0_inv
	s_and_saveexec_b32 s1, s0
	s_cbranch_execz .LBB100_128
; %bb.127:
	ds_read2_b64 v[0:3], v95 offset1:67
	v_ashrrev_i32_e32 v59, 31, v58
	s_waitcnt lgkmcnt(0)
	v_add_f64 v[4:5], v[0:1], v[2:3]
	ds_read2_b64 v[0:3], v95 offset0:134 offset1:201
	s_waitcnt lgkmcnt(0)
	v_add_f64 v[0:1], v[4:5], v[0:1]
	v_add_f64 v[0:1], v[0:1], v[2:3]
	v_lshlrev_b64 v[2:3], 3, v[58:59]
	v_add_co_u32 v2, vcc_lo, s7, v2
	v_add_co_ci_u32_e64 v3, null, s13, v3, vcc_lo
	global_store_dwordx2 v[2:3], v[0:1], off
.LBB100_128:
	s_endpgm
	.section	.rodata,"a",@progbits
	.p2align	6, 0x0
	.amdhsa_kernel _ZL26rocblas_hemvn_kernel_upperILb0ELi64ELi4ELi33ELi32ELi16EidPKdPdEviT6_lT7_lT5_lS4_lS5_lS3_lT8_i
		.amdhsa_group_segment_fixed_size 9600
		.amdhsa_private_segment_fixed_size 0
		.amdhsa_kernarg_size 376
		.amdhsa_user_sgpr_count 6
		.amdhsa_user_sgpr_private_segment_buffer 1
		.amdhsa_user_sgpr_dispatch_ptr 0
		.amdhsa_user_sgpr_queue_ptr 0
		.amdhsa_user_sgpr_kernarg_segment_ptr 1
		.amdhsa_user_sgpr_dispatch_id 0
		.amdhsa_user_sgpr_flat_scratch_init 0
		.amdhsa_user_sgpr_private_segment_size 0
		.amdhsa_wavefront_size32 1
		.amdhsa_uses_dynamic_stack 0
		.amdhsa_system_sgpr_private_segment_wavefront_offset 0
		.amdhsa_system_sgpr_workgroup_id_x 1
		.amdhsa_system_sgpr_workgroup_id_y 0
		.amdhsa_system_sgpr_workgroup_id_z 1
		.amdhsa_system_sgpr_workgroup_info 0
		.amdhsa_system_vgpr_workitem_id 1
		.amdhsa_next_free_vgpr 182
		.amdhsa_next_free_sgpr 41
		.amdhsa_reserve_vcc 1
		.amdhsa_reserve_flat_scratch 0
		.amdhsa_float_round_mode_32 0
		.amdhsa_float_round_mode_16_64 0
		.amdhsa_float_denorm_mode_32 3
		.amdhsa_float_denorm_mode_16_64 3
		.amdhsa_dx10_clamp 1
		.amdhsa_ieee_mode 1
		.amdhsa_fp16_overflow 0
		.amdhsa_workgroup_processor_mode 1
		.amdhsa_memory_ordered 1
		.amdhsa_forward_progress 1
		.amdhsa_shared_vgpr_count 0
		.amdhsa_exception_fp_ieee_invalid_op 0
		.amdhsa_exception_fp_denorm_src 0
		.amdhsa_exception_fp_ieee_div_zero 0
		.amdhsa_exception_fp_ieee_overflow 0
		.amdhsa_exception_fp_ieee_underflow 0
		.amdhsa_exception_fp_ieee_inexact 0
		.amdhsa_exception_int_div_zero 0
	.end_amdhsa_kernel
	.section	.text._ZL26rocblas_hemvn_kernel_upperILb0ELi64ELi4ELi33ELi32ELi16EidPKdPdEviT6_lT7_lT5_lS4_lS5_lS3_lT8_i,"axG",@progbits,_ZL26rocblas_hemvn_kernel_upperILb0ELi64ELi4ELi33ELi32ELi16EidPKdPdEviT6_lT7_lT5_lS4_lS5_lS3_lT8_i,comdat
.Lfunc_end100:
	.size	_ZL26rocblas_hemvn_kernel_upperILb0ELi64ELi4ELi33ELi32ELi16EidPKdPdEviT6_lT7_lT5_lS4_lS5_lS3_lT8_i, .Lfunc_end100-_ZL26rocblas_hemvn_kernel_upperILb0ELi64ELi4ELi33ELi32ELi16EidPKdPdEviT6_lT7_lT5_lS4_lS5_lS3_lT8_i
                                        ; -- End function
	.set _ZL26rocblas_hemvn_kernel_upperILb0ELi64ELi4ELi33ELi32ELi16EidPKdPdEviT6_lT7_lT5_lS4_lS5_lS3_lT8_i.num_vgpr, 182
	.set _ZL26rocblas_hemvn_kernel_upperILb0ELi64ELi4ELi33ELi32ELi16EidPKdPdEviT6_lT7_lT5_lS4_lS5_lS3_lT8_i.num_agpr, 0
	.set _ZL26rocblas_hemvn_kernel_upperILb0ELi64ELi4ELi33ELi32ELi16EidPKdPdEviT6_lT7_lT5_lS4_lS5_lS3_lT8_i.numbered_sgpr, 41
	.set _ZL26rocblas_hemvn_kernel_upperILb0ELi64ELi4ELi33ELi32ELi16EidPKdPdEviT6_lT7_lT5_lS4_lS5_lS3_lT8_i.num_named_barrier, 0
	.set _ZL26rocblas_hemvn_kernel_upperILb0ELi64ELi4ELi33ELi32ELi16EidPKdPdEviT6_lT7_lT5_lS4_lS5_lS3_lT8_i.private_seg_size, 0
	.set _ZL26rocblas_hemvn_kernel_upperILb0ELi64ELi4ELi33ELi32ELi16EidPKdPdEviT6_lT7_lT5_lS4_lS5_lS3_lT8_i.uses_vcc, 1
	.set _ZL26rocblas_hemvn_kernel_upperILb0ELi64ELi4ELi33ELi32ELi16EidPKdPdEviT6_lT7_lT5_lS4_lS5_lS3_lT8_i.uses_flat_scratch, 0
	.set _ZL26rocblas_hemvn_kernel_upperILb0ELi64ELi4ELi33ELi32ELi16EidPKdPdEviT6_lT7_lT5_lS4_lS5_lS3_lT8_i.has_dyn_sized_stack, 0
	.set _ZL26rocblas_hemvn_kernel_upperILb0ELi64ELi4ELi33ELi32ELi16EidPKdPdEviT6_lT7_lT5_lS4_lS5_lS3_lT8_i.has_recursion, 0
	.set _ZL26rocblas_hemvn_kernel_upperILb0ELi64ELi4ELi33ELi32ELi16EidPKdPdEviT6_lT7_lT5_lS4_lS5_lS3_lT8_i.has_indirect_call, 0
	.section	.AMDGPU.csdata,"",@progbits
; Kernel info:
; codeLenInByte = 8416
; TotalNumSgprs: 43
; NumVgprs: 182
; ScratchSize: 0
; MemoryBound: 0
; FloatMode: 240
; IeeeMode: 1
; LDSByteSize: 9600 bytes/workgroup (compile time only)
; SGPRBlocks: 0
; VGPRBlocks: 22
; NumSGPRsForWavesPerEU: 43
; NumVGPRsForWavesPerEU: 182
; Occupancy: 5
; WaveLimiterHint : 1
; COMPUTE_PGM_RSRC2:SCRATCH_EN: 0
; COMPUTE_PGM_RSRC2:USER_SGPR: 6
; COMPUTE_PGM_RSRC2:TRAP_HANDLER: 0
; COMPUTE_PGM_RSRC2:TGID_X_EN: 1
; COMPUTE_PGM_RSRC2:TGID_Y_EN: 0
; COMPUTE_PGM_RSRC2:TGID_Z_EN: 1
; COMPUTE_PGM_RSRC2:TIDIG_COMP_CNT: 1
	.section	.text._ZL36rocblas_hemvn_kernel_upper_block_sumILi64EidPddEviT1_lS1_lT2_lT0_lPT3_i,"axG",@progbits,_ZL36rocblas_hemvn_kernel_upper_block_sumILi64EidPddEviT1_lS1_lT2_lT0_lPT3_i,comdat
	.globl	_ZL36rocblas_hemvn_kernel_upper_block_sumILi64EidPddEviT1_lS1_lT2_lT0_lPT3_i ; -- Begin function _ZL36rocblas_hemvn_kernel_upper_block_sumILi64EidPddEviT1_lS1_lT2_lT0_lPT3_i
	.p2align	8
	.type	_ZL36rocblas_hemvn_kernel_upper_block_sumILi64EidPddEviT1_lS1_lT2_lT0_lPT3_i,@function
_ZL36rocblas_hemvn_kernel_upper_block_sumILi64EidPddEviT1_lS1_lT2_lT0_lPT3_i: ; @_ZL36rocblas_hemvn_kernel_upper_block_sumILi64EidPddEviT1_lS1_lT2_lT0_lPT3_i
; %bb.0:
	s_clause 0x1
	s_load_dwordx2 s[8:9], s[4:5], 0x8
	s_load_dwordx2 s[10:11], s[4:5], 0x18
	s_waitcnt lgkmcnt(0)
	v_cmp_eq_f64_e64 s0, s[8:9], 0
	v_cmp_eq_f64_e64 s1, s[10:11], 1.0
	s_and_b32 s0, s0, s1
	s_and_b32 vcc_lo, exec_lo, s0
	s_cbranch_vccnz .LBB101_19
; %bb.1:
	s_clause 0x3
	s_load_dwordx4 s[0:3], s[4:5], 0x40
	s_load_dwordx4 s[20:23], s[4:5], 0x28
	s_load_dword s17, s[4:5], 0x38
	s_load_dword s12, s[4:5], 0x0
	v_cmp_neq_f64_e64 s13, s[8:9], 0
	v_lshl_or_b32 v0, s6, 6, v0
	s_mov_b32 s16, 0
	s_waitcnt lgkmcnt(0)
	s_mul_i32 s1, s1, s7
	s_mul_hi_u32 s14, s0, s7
	s_mul_i32 s0, s0, s7
	s_add_i32 s1, s14, s1
	s_lshl_b64 s[0:1], s[0:1], 3
	s_add_u32 s14, s20, s0
	s_addc_u32 s15, s21, s1
	s_lshl_b64 s[0:1], s[22:23], 3
	s_add_u32 s14, s14, s0
	v_cmp_gt_i32_e64 s0, s12, v0
	s_addc_u32 s15, s15, s1
	s_and_b32 vcc_lo, exec_lo, s13
	s_cbranch_vccnz .LBB101_6
; %bb.2:
	s_mov_b32 s1, 0
                                        ; implicit-def: $vgpr3_vgpr4
                                        ; implicit-def: $vgpr1_vgpr2
	s_and_saveexec_b32 s13, s0
	s_cbranch_execz .LBB101_7
; %bb.3:
	v_cmp_eq_f64_e64 s0, s[10:11], 0
	v_mul_lo_u32 v1, s17, v0
	v_mov_b32_e32 v3, 0
	v_mov_b32_e32 v4, 0
	v_ashrrev_i32_e32 v2, 31, v1
	s_and_b32 vcc_lo, exec_lo, s0
	s_cbranch_vccnz .LBB101_5
; %bb.4:
	v_lshlrev_b64 v[3:4], 3, v[1:2]
	v_add_co_u32 v3, vcc_lo, s14, v3
	v_add_co_ci_u32_e64 v4, null, s15, v4, vcc_lo
	global_load_dwordx2 v[3:4], v[3:4], off
	s_waitcnt vmcnt(0)
	v_mul_f64 v[3:4], s[10:11], v[3:4]
.LBB101_5:
	s_mov_b32 s16, exec_lo
	s_or_b32 exec_lo, exec_lo, s13
	s_and_b32 vcc_lo, exec_lo, s1
	s_cbranch_vccnz .LBB101_8
	s_branch .LBB101_17
.LBB101_6:
                                        ; implicit-def: $vgpr3_vgpr4
                                        ; implicit-def: $vgpr1_vgpr2
	s_cbranch_execnz .LBB101_8
	s_branch .LBB101_17
.LBB101_7:
	s_or_b32 exec_lo, exec_lo, s13
	s_and_b32 vcc_lo, exec_lo, s1
	s_cbranch_vccz .LBB101_17
.LBB101_8:
	s_mov_b32 s18, exec_lo
                                        ; implicit-def: $vgpr3_vgpr4
                                        ; implicit-def: $vgpr1_vgpr2
	v_cmpx_gt_i32_e64 s12, v0
	s_cbranch_execz .LBB101_16
; %bb.9:
	v_mov_b32_e32 v5, 0
	v_mov_b32_e32 v6, 0
	s_cmp_lt_i32 s6, 0
	s_cbranch_scc1 .LBB101_12
; %bb.10:
	s_load_dword s0, s[4:5], 0x58
	s_ashr_i32 s13, s12, 31
	s_mul_hi_u32 s1, s12, s7
	s_mul_i32 s4, s13, s7
	v_mov_b32_e32 v1, 0
	s_mul_i32 s5, s12, s7
	s_add_i32 s1, s1, s4
	v_mov_b32_e32 v5, 0
	v_mov_b32_e32 v6, 0
	v_lshlrev_b64 v[1:2], 3, v[0:1]
	s_waitcnt lgkmcnt(0)
	s_mul_i32 s1, s1, s0
	s_mul_hi_u32 s4, s5, s0
	s_mul_i32 s0, s5, s0
	s_add_i32 s1, s4, s1
	s_lshl_b64 s[0:1], s[0:1], 3
	s_add_u32 s0, s2, s0
	s_addc_u32 s1, s3, s1
	v_add_co_u32 v1, vcc_lo, s0, v1
	v_add_co_ci_u32_e64 v2, null, s1, v2, vcc_lo
	s_add_i32 s2, s6, 1
	s_lshl_b64 s[0:1], s[12:13], 3
.LBB101_11:                             ; =>This Inner Loop Header: Depth=1
	global_load_dwordx2 v[3:4], v[1:2], off
	v_add_co_u32 v1, vcc_lo, v1, s0
	v_add_co_ci_u32_e64 v2, null, s1, v2, vcc_lo
	s_add_i32 s2, s2, -1
	s_cmp_eq_u32 s2, 0
	s_waitcnt vmcnt(0)
	v_add_f64 v[5:6], v[5:6], v[3:4]
	s_cbranch_scc0 .LBB101_11
.LBB101_12:
	v_cmp_eq_f64_e64 s0, s[10:11], 0
	v_mul_lo_u32 v1, s17, v0
	v_ashrrev_i32_e32 v2, 31, v1
	s_and_b32 vcc_lo, exec_lo, s0
	s_cbranch_vccz .LBB101_20
; %bb.13:
	v_mul_f64 v[3:4], s[8:9], v[5:6]
	s_cbranch_execnz .LBB101_15
.LBB101_14:
	v_lshlrev_b64 v[3:4], 3, v[1:2]
	v_add_co_u32 v3, vcc_lo, s14, v3
	v_add_co_ci_u32_e64 v4, null, s15, v4, vcc_lo
	global_load_dwordx2 v[3:4], v[3:4], off
	s_waitcnt vmcnt(0)
	v_mul_f64 v[3:4], s[10:11], v[3:4]
	v_fma_f64 v[3:4], s[8:9], v[5:6], v[3:4]
.LBB101_15:
	s_or_b32 s16, s16, exec_lo
.LBB101_16:
	s_or_b32 exec_lo, exec_lo, s18
.LBB101_17:
	s_and_saveexec_b32 s0, s16
	s_cbranch_execz .LBB101_19
; %bb.18:
	v_lshlrev_b64 v[0:1], 3, v[1:2]
	v_add_co_u32 v0, vcc_lo, s14, v0
	v_add_co_ci_u32_e64 v1, null, s15, v1, vcc_lo
	global_store_dwordx2 v[0:1], v[3:4], off
.LBB101_19:
	s_endpgm
.LBB101_20:
                                        ; implicit-def: $vgpr3_vgpr4
	s_branch .LBB101_14
	.section	.rodata,"a",@progbits
	.p2align	6, 0x0
	.amdhsa_kernel _ZL36rocblas_hemvn_kernel_upper_block_sumILi64EidPddEviT1_lS1_lT2_lT0_lPT3_i
		.amdhsa_group_segment_fixed_size 0
		.amdhsa_private_segment_fixed_size 0
		.amdhsa_kernarg_size 344
		.amdhsa_user_sgpr_count 6
		.amdhsa_user_sgpr_private_segment_buffer 1
		.amdhsa_user_sgpr_dispatch_ptr 0
		.amdhsa_user_sgpr_queue_ptr 0
		.amdhsa_user_sgpr_kernarg_segment_ptr 1
		.amdhsa_user_sgpr_dispatch_id 0
		.amdhsa_user_sgpr_flat_scratch_init 0
		.amdhsa_user_sgpr_private_segment_size 0
		.amdhsa_wavefront_size32 1
		.amdhsa_uses_dynamic_stack 0
		.amdhsa_system_sgpr_private_segment_wavefront_offset 0
		.amdhsa_system_sgpr_workgroup_id_x 1
		.amdhsa_system_sgpr_workgroup_id_y 0
		.amdhsa_system_sgpr_workgroup_id_z 1
		.amdhsa_system_sgpr_workgroup_info 0
		.amdhsa_system_vgpr_workitem_id 0
		.amdhsa_next_free_vgpr 7
		.amdhsa_next_free_sgpr 24
		.amdhsa_reserve_vcc 1
		.amdhsa_reserve_flat_scratch 0
		.amdhsa_float_round_mode_32 0
		.amdhsa_float_round_mode_16_64 0
		.amdhsa_float_denorm_mode_32 3
		.amdhsa_float_denorm_mode_16_64 3
		.amdhsa_dx10_clamp 1
		.amdhsa_ieee_mode 1
		.amdhsa_fp16_overflow 0
		.amdhsa_workgroup_processor_mode 1
		.amdhsa_memory_ordered 1
		.amdhsa_forward_progress 1
		.amdhsa_shared_vgpr_count 0
		.amdhsa_exception_fp_ieee_invalid_op 0
		.amdhsa_exception_fp_denorm_src 0
		.amdhsa_exception_fp_ieee_div_zero 0
		.amdhsa_exception_fp_ieee_overflow 0
		.amdhsa_exception_fp_ieee_underflow 0
		.amdhsa_exception_fp_ieee_inexact 0
		.amdhsa_exception_int_div_zero 0
	.end_amdhsa_kernel
	.section	.text._ZL36rocblas_hemvn_kernel_upper_block_sumILi64EidPddEviT1_lS1_lT2_lT0_lPT3_i,"axG",@progbits,_ZL36rocblas_hemvn_kernel_upper_block_sumILi64EidPddEviT1_lS1_lT2_lT0_lPT3_i,comdat
.Lfunc_end101:
	.size	_ZL36rocblas_hemvn_kernel_upper_block_sumILi64EidPddEviT1_lS1_lT2_lT0_lPT3_i, .Lfunc_end101-_ZL36rocblas_hemvn_kernel_upper_block_sumILi64EidPddEviT1_lS1_lT2_lT0_lPT3_i
                                        ; -- End function
	.set _ZL36rocblas_hemvn_kernel_upper_block_sumILi64EidPddEviT1_lS1_lT2_lT0_lPT3_i.num_vgpr, 7
	.set _ZL36rocblas_hemvn_kernel_upper_block_sumILi64EidPddEviT1_lS1_lT2_lT0_lPT3_i.num_agpr, 0
	.set _ZL36rocblas_hemvn_kernel_upper_block_sumILi64EidPddEviT1_lS1_lT2_lT0_lPT3_i.numbered_sgpr, 24
	.set _ZL36rocblas_hemvn_kernel_upper_block_sumILi64EidPddEviT1_lS1_lT2_lT0_lPT3_i.num_named_barrier, 0
	.set _ZL36rocblas_hemvn_kernel_upper_block_sumILi64EidPddEviT1_lS1_lT2_lT0_lPT3_i.private_seg_size, 0
	.set _ZL36rocblas_hemvn_kernel_upper_block_sumILi64EidPddEviT1_lS1_lT2_lT0_lPT3_i.uses_vcc, 1
	.set _ZL36rocblas_hemvn_kernel_upper_block_sumILi64EidPddEviT1_lS1_lT2_lT0_lPT3_i.uses_flat_scratch, 0
	.set _ZL36rocblas_hemvn_kernel_upper_block_sumILi64EidPddEviT1_lS1_lT2_lT0_lPT3_i.has_dyn_sized_stack, 0
	.set _ZL36rocblas_hemvn_kernel_upper_block_sumILi64EidPddEviT1_lS1_lT2_lT0_lPT3_i.has_recursion, 0
	.set _ZL36rocblas_hemvn_kernel_upper_block_sumILi64EidPddEviT1_lS1_lT2_lT0_lPT3_i.has_indirect_call, 0
	.section	.AMDGPU.csdata,"",@progbits
; Kernel info:
; codeLenInByte = 632
; TotalNumSgprs: 26
; NumVgprs: 7
; ScratchSize: 0
; MemoryBound: 0
; FloatMode: 240
; IeeeMode: 1
; LDSByteSize: 0 bytes/workgroup (compile time only)
; SGPRBlocks: 0
; VGPRBlocks: 0
; NumSGPRsForWavesPerEU: 26
; NumVGPRsForWavesPerEU: 7
; Occupancy: 16
; WaveLimiterHint : 0
; COMPUTE_PGM_RSRC2:SCRATCH_EN: 0
; COMPUTE_PGM_RSRC2:USER_SGPR: 6
; COMPUTE_PGM_RSRC2:TRAP_HANDLER: 0
; COMPUTE_PGM_RSRC2:TGID_X_EN: 1
; COMPUTE_PGM_RSRC2:TGID_Y_EN: 0
; COMPUTE_PGM_RSRC2:TGID_Z_EN: 1
; COMPUTE_PGM_RSRC2:TIDIG_COMP_CNT: 0
	.section	.text._ZL50rocblas_symv_kernel_lower_double_buffered_diagonalILi32ELi4E24rocblas_internal_val_ptrIdEPKdPdEvbiT1_lT2_lllS6_lllS5_lT3_llli,"axG",@progbits,_ZL50rocblas_symv_kernel_lower_double_buffered_diagonalILi32ELi4E24rocblas_internal_val_ptrIdEPKdPdEvbiT1_lT2_lllS6_lllS5_lT3_llli,comdat
	.globl	_ZL50rocblas_symv_kernel_lower_double_buffered_diagonalILi32ELi4E24rocblas_internal_val_ptrIdEPKdPdEvbiT1_lT2_lllS6_lllS5_lT3_llli ; -- Begin function _ZL50rocblas_symv_kernel_lower_double_buffered_diagonalILi32ELi4E24rocblas_internal_val_ptrIdEPKdPdEvbiT1_lT2_lllS6_lllS5_lT3_llli
	.p2align	8
	.type	_ZL50rocblas_symv_kernel_lower_double_buffered_diagonalILi32ELi4E24rocblas_internal_val_ptrIdEPKdPdEvbiT1_lT2_lllS6_lllS5_lT3_llli,@function
_ZL50rocblas_symv_kernel_lower_double_buffered_diagonalILi32ELi4E24rocblas_internal_val_ptrIdEPKdPdEvbiT1_lT2_lllS6_lllS5_lT3_llli: ; @_ZL50rocblas_symv_kernel_lower_double_buffered_diagonalILi32ELi4E24rocblas_internal_val_ptrIdEPKdPdEvbiT1_lT2_lllS6_lllS5_lT3_llli
; %bb.0:
	s_clause 0x2
	s_load_dword s0, s[4:5], 0x0
	s_load_dwordx16 s[8:23], s[4:5], 0x8
	s_load_dwordx8 s[24:31], s[4:5], 0x48
	s_waitcnt lgkmcnt(0)
	s_bitcmp1_b32 s0, 0
	v_mov_b32_e32 v2, s8
	v_mov_b32_e32 v3, s9
	s_cselect_b32 s0, -1, 0
	s_and_b32 vcc_lo, exec_lo, s0
	s_xor_b32 s0, s0, -1
	s_cbranch_vccnz .LBB102_2
; %bb.1:
	s_mul_i32 s1, s11, s7
	s_mul_hi_u32 s2, s10, s7
	s_add_i32 s3, s2, s1
	s_mul_i32 s2, s10, s7
	s_lshl_b64 s[2:3], s[2:3], 3
	s_add_u32 s2, s8, s2
	s_addc_u32 s3, s9, s3
	v_mov_b32_e32 v2, s2
	v_mov_b32_e32 v3, s3
	flat_load_dwordx2 v[2:3], v[2:3]
.LBB102_2:
	v_mov_b32_e32 v4, s28
	v_mov_b32_e32 v5, s29
	s_andn2_b32 vcc_lo, exec_lo, s0
	s_cbranch_vccnz .LBB102_4
; %bb.3:
	s_mul_i32 s0, s31, s7
	s_mul_hi_u32 s1, s30, s7
	s_add_i32 s1, s1, s0
	s_mul_i32 s0, s30, s7
	s_lshl_b64 s[0:1], s[0:1], 3
	s_add_u32 s0, s28, s0
	s_addc_u32 s1, s29, s1
	v_mov_b32_e32 v5, s1
	v_mov_b32_e32 v4, s0
	flat_load_dwordx2 v[4:5], v[4:5]
.LBB102_4:
	s_waitcnt vmcnt(0) lgkmcnt(0)
	v_cmp_neq_f64_e32 vcc_lo, 0, v[2:3]
	v_cmp_neq_f64_e64 s0, 1.0, v[4:5]
	s_or_b32 s0, vcc_lo, s0
	s_and_saveexec_b32 s1, s0
	s_cbranch_execz .LBB102_38
; %bb.5:
	s_clause 0x2
	s_load_dwordx2 s[8:9], s[4:5], 0x80
	s_load_dwordx2 s[10:11], s[4:5], 0x68
	s_load_dwordx4 s[0:3], s[4:5], 0x70
	s_waitcnt lgkmcnt(0)
	s_mul_i32 s5, s9, s7
	s_mul_hi_u32 s9, s8, s7
	s_mul_i32 s4, s8, s7
	s_add_i32 s5, s9, s5
	s_lshl_b64 s[4:5], s[4:5], 3
	s_add_u32 s4, s10, s4
	s_addc_u32 s5, s11, s5
	s_lshl_b64 s[0:1], s[0:1], 3
	s_add_u32 s10, s4, s0
	s_addc_u32 s11, s5, s1
	s_lshl_b32 s4, s6, 5
	s_ashr_i32 s5, s4, 31
	s_mul_hi_u32 s0, s2, s4
	s_mul_i32 s1, s2, s5
	s_mul_i32 s6, s3, s4
	s_add_i32 s0, s0, s1
	s_add_i32 s1, s0, s6
	s_mul_i32 s0, s2, s4
	s_lshl_b64 s[8:9], s[0:1], 3
	s_mov_b32 s0, exec_lo
	s_add_u32 s1, s10, s8
	s_addc_u32 s6, s11, s9
	v_cmpx_eq_f64_e32 0, v[2:3]
	s_xor_b32 s0, exec_lo, s0
	s_cbranch_execz .LBB102_9
; %bb.6:
	s_mov_b32 s8, exec_lo
	v_cmpx_eq_u32_e32 0, v1
	s_cbranch_execz .LBB102_8
; %bb.7:
	v_mad_u64_u32 v[1:2], null, s2, v0, 0
	v_mad_u64_u32 v[2:3], null, s3, v0, v[2:3]
	v_lshlrev_b64 v[0:1], 3, v[1:2]
	v_add_co_u32 v0, vcc_lo, s1, v0
	v_add_co_ci_u32_e64 v1, null, s6, v1, vcc_lo
	global_load_dwordx2 v[2:3], v[0:1], off
	s_waitcnt vmcnt(0)
	v_mul_f64 v[2:3], v[4:5], v[2:3]
	global_store_dwordx2 v[0:1], v[2:3], off
.LBB102_8:
	s_or_b32 exec_lo, exec_lo, s8
                                        ; implicit-def: $vgpr1
                                        ; implicit-def: $vgpr0
                                        ; implicit-def: $vgpr2_vgpr3
                                        ; implicit-def: $vgpr4_vgpr5
.LBB102_9:
	s_andn2_saveexec_b32 s0, s0
	s_cbranch_execz .LBB102_38
; %bb.10:
	v_mov_b32_e32 v6, 0
	v_mov_b32_e32 v7, 0
	v_cmp_eq_u32_e32 vcc_lo, 0, v1
	s_and_saveexec_b32 s8, vcc_lo
	s_cbranch_execz .LBB102_14
; %bb.11:
	v_mov_b32_e32 v6, 0
	v_mov_b32_e32 v7, 0
	s_mov_b32 s9, exec_lo
	v_cmpx_neq_f64_e32 0, v[4:5]
	s_cbranch_execz .LBB102_13
; %bb.12:
	v_mad_u64_u32 v[6:7], null, s2, v0, 0
	v_mad_u64_u32 v[7:8], null, s3, v0, v[7:8]
	v_lshlrev_b64 v[6:7], 3, v[6:7]
	v_add_co_u32 v6, s0, s1, v6
	v_add_co_ci_u32_e64 v7, null, s6, v7, s0
	global_load_dwordx2 v[6:7], v[6:7], off
	s_waitcnt vmcnt(0)
	v_mul_f64 v[6:7], v[4:5], v[6:7]
.LBB102_13:
	s_or_b32 exec_lo, exec_lo, s9
	v_mad_u64_u32 v[8:9], null, s24, v0, 0
	s_mul_i32 s0, s27, s7
	s_mul_hi_u32 s9, s26, s7
	s_mul_i32 s10, s26, s7
	s_add_i32 s11, s9, s0
	s_mul_i32 s26, s24, s5
	s_lshl_b64 s[10:11], s[10:11], 3
	v_mad_u64_u32 v[9:10], null, s25, v0, v[9:10]
	s_add_u32 s9, s20, s10
	s_addc_u32 s20, s21, s11
	s_lshl_b64 s[10:11], s[22:23], 3
	s_mul_hi_u32 s0, s24, s4
	s_add_u32 s9, s9, s10
	s_mul_i32 s21, s25, s4
	s_addc_u32 s20, s20, s11
	s_add_i32 s0, s0, s26
	s_mul_i32 s10, s24, s4
	s_add_i32 s11, s0, s21
	v_lshlrev_b64 v[8:9], 3, v[8:9]
	s_lshl_b64 s[10:11], s[10:11], 3
	v_lshlrev_b32_e32 v10, 3, v0
	s_add_u32 s0, s9, s10
	s_addc_u32 s9, s20, s11
	v_add_co_u32 v8, s0, s0, v8
	v_add_co_ci_u32_e64 v9, null, s9, v9, s0
	global_load_dwordx2 v[8:9], v[8:9], off
	s_waitcnt vmcnt(0)
	ds_write_b64 v10, v[8:9] offset:10240
.LBB102_14:
	s_or_b32 exec_lo, exec_lo, s8
	s_mul_i32 s0, s19, s7
	s_mul_hi_u32 s9, s18, s7
	v_mad_u64_u32 v[8:9], null, s16, v1, 0
	s_mul_i32 s8, s18, s7
	s_add_i32 s9, s9, s0
	s_lshl_b64 s[8:9], s[8:9], 3
	s_add_u32 s0, s12, s8
	s_addc_u32 s7, s13, s9
	s_lshl_b64 s[8:9], s[14:15], 3
	v_mad_u64_u32 v[9:10], null, s17, v1, v[9:10]
	s_add_u32 s0, s0, s8
	s_addc_u32 s7, s7, s9
	s_add_u32 s8, s16, 1
	s_addc_u32 s9, s17, 0
	s_mul_i32 s5, s8, s5
	s_mul_hi_u32 s10, s8, s4
	s_mul_i32 s9, s9, s4
	s_add_i32 s5, s10, s5
	s_mul_i32 s4, s8, s4
	s_add_i32 s5, s5, s9
	v_lshlrev_b64 v[8:9], 3, v[8:9]
	s_lshl_b64 s[4:5], s[4:5], 3
	v_lshlrev_b32_e32 v10, 3, v0
	s_add_u32 s0, s0, s4
	s_addc_u32 s4, s7, s5
	s_mov_b32 s7, exec_lo
	v_add_co_u32 v8, s0, s0, v8
	v_add_co_ci_u32_e64 v9, null, s4, v9, s0
	s_lshl_b64 s[4:5], s[16:17], 5
	v_add_co_u32 v11, s0, v8, v10
	v_add_co_ci_u32_e64 v12, null, 0, v9, s0
	v_add_co_u32 v13, s0, v11, s4
	v_add_co_ci_u32_e64 v14, null, s5, v12, s0
	;; [unrolled: 2-line block ×4, first 2 shown]
	s_clause 0x3
	global_load_dwordx2 v[17:18], v[11:12], off
	global_load_dwordx2 v[19:20], v[13:14], off
	;; [unrolled: 1-line block ×4, first 2 shown]
	v_lshlrev_b32_e32 v11, 8, v1
	v_add_nc_u32_e32 v12, 0x400, v11
	v_add_nc_u32_e32 v23, 0x800, v11
	;; [unrolled: 1-line block ×7, first 2 shown]
	s_waitcnt vmcnt(3)
	ds_write_b64 v14, v[17:18]
	s_waitcnt vmcnt(2)
	ds_write_b64 v13, v[19:20]
	;; [unrolled: 2-line block ×4, first 2 shown]
	v_cmpx_lt_u32_e32 15, v0
	s_cbranch_execz .LBB102_16
; %bb.15:
	v_add_co_u32 v8, s0, v8, s4
	s_lshl_b64 s[8:9], s[16:17], 2
	v_add_co_ci_u32_e64 v9, null, s5, v9, s0
	s_lshl_b64 s[8:9], s[8:9], 3
	v_add_co_u32 v15, s0, v8, s8
	v_add_co_ci_u32_e64 v16, null, s9, v9, s0
	v_add_co_u32 v17, s0, v15, s4
	v_add_co_ci_u32_e64 v18, null, s5, v16, s0
	;; [unrolled: 2-line block ×3, first 2 shown]
	s_clause 0x1
	global_load_dwordx2 v[8:9], v[8:9], off
	global_load_dwordx2 v[15:16], v[15:16], off
	;; [unrolled: 1-line block ×4, first 2 shown]
	s_waitcnt vmcnt(2)
	ds_write2st64_b64 v14, v[8:9], v[15:16] offset0:8 offset1:10
	s_waitcnt vmcnt(0)
	ds_write2st64_b64 v14, v[17:18], v[19:20] offset0:12 offset1:14
.LBB102_16:
	s_or_b32 exec_lo, exec_lo, s7
	v_cmp_ge_u32_e64 s0, v0, v1
	v_lshlrev_b32_e32 v15, 8, v0
	s_waitcnt lgkmcnt(0)
	s_waitcnt_vscnt null, 0x0
	s_barrier
	buffer_gl0_inv
	s_and_saveexec_b32 s4, s0
	s_xor_b32 s0, exec_lo, s4
; %bb.17:
	v_lshlrev_b32_e32 v15, 8, v0
; %bb.18:
	s_or_saveexec_b32 s0, s0
	v_lshlrev_b32_e32 v8, 5, v1
	v_lshlrev_b32_e32 v9, 3, v1
	s_xor_b32 exec_lo, exec_lo, s0
	s_cbranch_execz .LBB102_20
; %bb.19:
	v_mul_u32_u24_e32 v16, 0xf8, v0
	v_lshl_add_u32 v18, v8, 3, v10
	v_add3_u32 v16, v10, v16, v9
	ds_read_b64 v[16:17], v16
	s_waitcnt lgkmcnt(0)
	ds_write_b64 v18, v[16:17]
.LBB102_20:
	s_or_b32 exec_lo, exec_lo, s0
	v_sub_nc_u32_e32 v16, v0, v1
	v_lshl_add_u32 v15, v1, 3, v15
	s_mov_b32 s4, exec_lo
	v_sub_nc_u32_e32 v17, 0, v16
	v_max_i32_e32 v16, v16, v17
	v_cmpx_gt_u32_e32 4, v16
	s_cbranch_execz .LBB102_22
; %bb.21:
	ds_read_b64 v[17:18], v15 offset:32
	s_waitcnt lgkmcnt(0)
	ds_write_b64 v13, v[17:18]
.LBB102_22:
	s_or_b32 exec_lo, exec_lo, s4
	s_mov_b32 s4, exec_lo
	v_cmpx_gt_u32_e32 8, v16
	s_cbranch_execz .LBB102_24
; %bb.23:
	ds_read_b64 v[17:18], v15 offset:64
	s_waitcnt lgkmcnt(0)
	ds_write_b64 v12, v[17:18]
.LBB102_24:
	s_or_b32 exec_lo, exec_lo, s4
	s_mov_b32 s4, exec_lo
	;; [unrolled: 9-line block ×3, first 2 shown]
	v_cmpx_gt_u32_e32 16, v16
	s_cbranch_execz .LBB102_28
; %bb.27:
	ds_read_b64 v[17:18], v15 offset:128
	s_waitcnt lgkmcnt(0)
	ds_write_b64 v14, v[17:18] offset:4096
.LBB102_28:
	s_or_b32 exec_lo, exec_lo, s4
	s_mov_b32 s4, exec_lo
	v_cmpx_gt_u32_e32 20, v16
	s_cbranch_execz .LBB102_30
; %bb.29:
	ds_read_b64 v[17:18], v15 offset:160
	s_waitcnt lgkmcnt(0)
	ds_write_b64 v14, v[17:18] offset:5120
.LBB102_30:
	s_or_b32 exec_lo, exec_lo, s4
	s_mov_b32 s4, exec_lo
	v_cmpx_gt_u32_e32 24, v16
	s_cbranch_execz .LBB102_32
; %bb.31:
	ds_read_b64 v[17:18], v15 offset:192
	s_waitcnt lgkmcnt(0)
	ds_write_b64 v14, v[17:18] offset:6144
.LBB102_32:
	s_or_b32 exec_lo, exec_lo, s4
	v_cmp_lt_u32_e64 s0, 27, v16
	v_add_nc_u32_e32 v16, 28, v1
                                        ; implicit-def: $vgpr17
	s_and_saveexec_b32 s4, s0
	s_xor_b32 s0, exec_lo, s4
; %bb.33:
	v_add_nc_u32_e32 v16, 28, v1
                                        ; implicit-def: $vgpr15
	v_lshlrev_b32_e32 v17, 8, v16
; %bb.34:
	s_andn2_saveexec_b32 s0, s0
	s_cbranch_execz .LBB102_36
; %bb.35:
	ds_read_b64 v[18:19], v15 offset:224
	v_lshlrev_b32_e32 v17, 8, v16
	v_add_nc_u32_e32 v15, v10, v17
	s_waitcnt lgkmcnt(0)
	ds_write_b64 v15, v[18:19]
.LBB102_36:
	s_or_b32 exec_lo, exec_lo, s0
	v_add_nc_u32_e32 v28, 0x2800, v9
	s_waitcnt lgkmcnt(0)
	s_barrier
	buffer_gl0_inv
	v_lshl_add_u32 v1, v1, 8, v10
	ds_read2_b64 v[18:21], v28 offset1:4
	ds_read_b64 v[14:15], v14
	ds_read_b64 v[22:23], v13
	;; [unrolled: 1-line block ×4, first 2 shown]
	s_waitcnt lgkmcnt(3)
	v_fma_f64 v[11:12], v[14:15], v[18:19], 0
	s_waitcnt lgkmcnt(2)
	v_fma_f64 v[18:19], v[22:23], v[20:21], v[11:12]
	ds_read2_b64 v[11:14], v28 offset0:8 offset1:12
	s_waitcnt lgkmcnt(0)
	v_fma_f64 v[11:12], v[24:25], v[11:12], v[18:19]
	v_fma_f64 v[22:23], v[26:27], v[13:14], v[11:12]
	ds_read2st64_b64 v[11:14], v1 offset0:8 offset1:10
	ds_read2_b64 v[18:21], v28 offset0:16 offset1:20
	s_waitcnt lgkmcnt(0)
	v_fma_f64 v[11:12], v[11:12], v[18:19], v[22:23]
	v_fma_f64 v[11:12], v[13:14], v[20:21], v[11:12]
	ds_read_b64 v[13:14], v9 offset:10432
	ds_read_b64 v[18:19], v1 offset:6144
	v_add_nc_u32_e32 v1, v10, v17
	v_lshlrev_b32_e32 v9, 3, v16
	ds_read_b64 v[15:16], v1
	ds_read_b64 v[20:21], v9 offset:10240
	v_add_lshl_u32 v1, v8, v0, 3
	s_waitcnt lgkmcnt(2)
	v_fma_f64 v[11:12], v[18:19], v[13:14], v[11:12]
	s_waitcnt lgkmcnt(0)
	v_fma_f64 v[11:12], v[15:16], v[20:21], v[11:12]
	ds_write_b64 v1, v[11:12] offset:8192
	s_waitcnt lgkmcnt(0)
	s_barrier
	buffer_gl0_inv
	s_and_saveexec_b32 s0, vcc_lo
	s_cbranch_execz .LBB102_38
; %bb.37:
	v_add_nc_u32_e32 v1, 0x2000, v10
	v_cmp_neq_f64_e32 vcc_lo, 0, v[4:5]
	ds_read2_b64 v[8:11], v1 offset1:32
	s_waitcnt lgkmcnt(0)
	v_add_f64 v[8:9], v[8:9], 0
	v_add_f64 v[12:13], v[8:9], v[10:11]
	ds_read2_b64 v[8:11], v1 offset0:64 offset1:96
	s_waitcnt lgkmcnt(0)
	v_add_f64 v[8:9], v[12:13], v[8:9]
	v_add_f64 v[8:9], v[8:9], v[10:11]
	v_mad_u64_u32 v[10:11], null, s2, v0, 0
	v_mov_b32_e32 v1, v11
	v_mul_f64 v[12:13], v[2:3], v[8:9]
	v_fma_f64 v[2:3], v[2:3], v[8:9], v[6:7]
	v_mad_u64_u32 v[0:1], null, s3, v0, v[1:2]
	v_cndmask_b32_e32 v3, v13, v3, vcc_lo
	v_cndmask_b32_e32 v2, v12, v2, vcc_lo
	v_mov_b32_e32 v11, v0
	v_lshlrev_b64 v[0:1], 3, v[10:11]
	v_add_co_u32 v0, vcc_lo, s1, v0
	v_add_co_ci_u32_e64 v1, null, s6, v1, vcc_lo
	global_store_dwordx2 v[0:1], v[2:3], off
.LBB102_38:
	s_endpgm
	.section	.rodata,"a",@progbits
	.p2align	6, 0x0
	.amdhsa_kernel _ZL50rocblas_symv_kernel_lower_double_buffered_diagonalILi32ELi4E24rocblas_internal_val_ptrIdEPKdPdEvbiT1_lT2_lllS6_lllS5_lT3_llli
		.amdhsa_group_segment_fixed_size 10496
		.amdhsa_private_segment_fixed_size 0
		.amdhsa_kernarg_size 140
		.amdhsa_user_sgpr_count 6
		.amdhsa_user_sgpr_private_segment_buffer 1
		.amdhsa_user_sgpr_dispatch_ptr 0
		.amdhsa_user_sgpr_queue_ptr 0
		.amdhsa_user_sgpr_kernarg_segment_ptr 1
		.amdhsa_user_sgpr_dispatch_id 0
		.amdhsa_user_sgpr_flat_scratch_init 0
		.amdhsa_user_sgpr_private_segment_size 0
		.amdhsa_wavefront_size32 1
		.amdhsa_uses_dynamic_stack 0
		.amdhsa_system_sgpr_private_segment_wavefront_offset 0
		.amdhsa_system_sgpr_workgroup_id_x 1
		.amdhsa_system_sgpr_workgroup_id_y 0
		.amdhsa_system_sgpr_workgroup_id_z 1
		.amdhsa_system_sgpr_workgroup_info 0
		.amdhsa_system_vgpr_workitem_id 1
		.amdhsa_next_free_vgpr 65
		.amdhsa_next_free_sgpr 32
		.amdhsa_reserve_vcc 1
		.amdhsa_reserve_flat_scratch 0
		.amdhsa_float_round_mode_32 0
		.amdhsa_float_round_mode_16_64 0
		.amdhsa_float_denorm_mode_32 3
		.amdhsa_float_denorm_mode_16_64 3
		.amdhsa_dx10_clamp 1
		.amdhsa_ieee_mode 1
		.amdhsa_fp16_overflow 0
		.amdhsa_workgroup_processor_mode 1
		.amdhsa_memory_ordered 1
		.amdhsa_forward_progress 1
		.amdhsa_shared_vgpr_count 0
		.amdhsa_exception_fp_ieee_invalid_op 0
		.amdhsa_exception_fp_denorm_src 0
		.amdhsa_exception_fp_ieee_div_zero 0
		.amdhsa_exception_fp_ieee_overflow 0
		.amdhsa_exception_fp_ieee_underflow 0
		.amdhsa_exception_fp_ieee_inexact 0
		.amdhsa_exception_int_div_zero 0
	.end_amdhsa_kernel
	.section	.text._ZL50rocblas_symv_kernel_lower_double_buffered_diagonalILi32ELi4E24rocblas_internal_val_ptrIdEPKdPdEvbiT1_lT2_lllS6_lllS5_lT3_llli,"axG",@progbits,_ZL50rocblas_symv_kernel_lower_double_buffered_diagonalILi32ELi4E24rocblas_internal_val_ptrIdEPKdPdEvbiT1_lT2_lllS6_lllS5_lT3_llli,comdat
.Lfunc_end102:
	.size	_ZL50rocblas_symv_kernel_lower_double_buffered_diagonalILi32ELi4E24rocblas_internal_val_ptrIdEPKdPdEvbiT1_lT2_lllS6_lllS5_lT3_llli, .Lfunc_end102-_ZL50rocblas_symv_kernel_lower_double_buffered_diagonalILi32ELi4E24rocblas_internal_val_ptrIdEPKdPdEvbiT1_lT2_lllS6_lllS5_lT3_llli
                                        ; -- End function
	.set _ZL50rocblas_symv_kernel_lower_double_buffered_diagonalILi32ELi4E24rocblas_internal_val_ptrIdEPKdPdEvbiT1_lT2_lllS6_lllS5_lT3_llli.num_vgpr, 29
	.set _ZL50rocblas_symv_kernel_lower_double_buffered_diagonalILi32ELi4E24rocblas_internal_val_ptrIdEPKdPdEvbiT1_lT2_lllS6_lllS5_lT3_llli.num_agpr, 0
	.set _ZL50rocblas_symv_kernel_lower_double_buffered_diagonalILi32ELi4E24rocblas_internal_val_ptrIdEPKdPdEvbiT1_lT2_lllS6_lllS5_lT3_llli.numbered_sgpr, 32
	.set _ZL50rocblas_symv_kernel_lower_double_buffered_diagonalILi32ELi4E24rocblas_internal_val_ptrIdEPKdPdEvbiT1_lT2_lllS6_lllS5_lT3_llli.num_named_barrier, 0
	.set _ZL50rocblas_symv_kernel_lower_double_buffered_diagonalILi32ELi4E24rocblas_internal_val_ptrIdEPKdPdEvbiT1_lT2_lllS6_lllS5_lT3_llli.private_seg_size, 0
	.set _ZL50rocblas_symv_kernel_lower_double_buffered_diagonalILi32ELi4E24rocblas_internal_val_ptrIdEPKdPdEvbiT1_lT2_lllS6_lllS5_lT3_llli.uses_vcc, 1
	.set _ZL50rocblas_symv_kernel_lower_double_buffered_diagonalILi32ELi4E24rocblas_internal_val_ptrIdEPKdPdEvbiT1_lT2_lllS6_lllS5_lT3_llli.uses_flat_scratch, 0
	.set _ZL50rocblas_symv_kernel_lower_double_buffered_diagonalILi32ELi4E24rocblas_internal_val_ptrIdEPKdPdEvbiT1_lT2_lllS6_lllS5_lT3_llli.has_dyn_sized_stack, 0
	.set _ZL50rocblas_symv_kernel_lower_double_buffered_diagonalILi32ELi4E24rocblas_internal_val_ptrIdEPKdPdEvbiT1_lT2_lllS6_lllS5_lT3_llli.has_recursion, 0
	.set _ZL50rocblas_symv_kernel_lower_double_buffered_diagonalILi32ELi4E24rocblas_internal_val_ptrIdEPKdPdEvbiT1_lT2_lllS6_lllS5_lT3_llli.has_indirect_call, 0
	.section	.AMDGPU.csdata,"",@progbits
; Kernel info:
; codeLenInByte = 1968
; TotalNumSgprs: 34
; NumVgprs: 29
; ScratchSize: 0
; MemoryBound: 0
; FloatMode: 240
; IeeeMode: 1
; LDSByteSize: 10496 bytes/workgroup (compile time only)
; SGPRBlocks: 0
; VGPRBlocks: 8
; NumSGPRsForWavesPerEU: 34
; NumVGPRsForWavesPerEU: 65
; Occupancy: 12
; WaveLimiterHint : 0
; COMPUTE_PGM_RSRC2:SCRATCH_EN: 0
; COMPUTE_PGM_RSRC2:USER_SGPR: 6
; COMPUTE_PGM_RSRC2:TRAP_HANDLER: 0
; COMPUTE_PGM_RSRC2:TGID_X_EN: 1
; COMPUTE_PGM_RSRC2:TGID_Y_EN: 0
; COMPUTE_PGM_RSRC2:TGID_Z_EN: 1
; COMPUTE_PGM_RSRC2:TIDIG_COMP_CNT: 1
	.section	.text._ZL54rocblas_symv_kernel_lower_double_buffered_non_diagonalILi32ELi4ELi4E24rocblas_internal_val_ptrIdEPKdPdEvbiT2_lT3_lllS6_lllT4_llli,"axG",@progbits,_ZL54rocblas_symv_kernel_lower_double_buffered_non_diagonalILi32ELi4ELi4E24rocblas_internal_val_ptrIdEPKdPdEvbiT2_lT3_lllS6_lllT4_llli,comdat
	.globl	_ZL54rocblas_symv_kernel_lower_double_buffered_non_diagonalILi32ELi4ELi4E24rocblas_internal_val_ptrIdEPKdPdEvbiT2_lT3_lllS6_lllT4_llli ; -- Begin function _ZL54rocblas_symv_kernel_lower_double_buffered_non_diagonalILi32ELi4ELi4E24rocblas_internal_val_ptrIdEPKdPdEvbiT2_lT3_lllS6_lllT4_llli
	.p2align	8
	.type	_ZL54rocblas_symv_kernel_lower_double_buffered_non_diagonalILi32ELi4ELi4E24rocblas_internal_val_ptrIdEPKdPdEvbiT2_lT3_lllS6_lllT4_llli,@function
_ZL54rocblas_symv_kernel_lower_double_buffered_non_diagonalILi32ELi4ELi4E24rocblas_internal_val_ptrIdEPKdPdEvbiT2_lT3_lllS6_lllT4_llli: ; @_ZL54rocblas_symv_kernel_lower_double_buffered_non_diagonalILi32ELi4ELi4E24rocblas_internal_val_ptrIdEPKdPdEvbiT2_lT3_lllS6_lllT4_llli
; %bb.0:
	s_clause 0x1
	s_load_dword s0, s[4:5], 0x0
	s_load_dwordx16 s[12:27], s[4:5], 0x8
	s_waitcnt lgkmcnt(0)
	s_bitcmp1_b32 s0, 0
	v_mov_b32_e32 v5, s12
	v_mov_b32_e32 v6, s13
	s_cselect_b32 s0, -1, 0
	s_and_b32 vcc_lo, exec_lo, s0
	s_cbranch_vccnz .LBB103_2
; %bb.1:
	s_mul_i32 s0, s15, s8
	s_mul_hi_u32 s1, s14, s8
	s_add_i32 s1, s1, s0
	s_mul_i32 s0, s14, s8
	s_lshl_b64 s[0:1], s[0:1], 3
	s_add_u32 s0, s12, s0
	s_addc_u32 s1, s13, s1
	v_mov_b32_e32 v3, s1
	v_mov_b32_e32 v2, s0
	flat_load_dwordx2 v[5:6], v[2:3]
.LBB103_2:
	s_mov_b32 s0, exec_lo
	s_waitcnt vmcnt(0) lgkmcnt(0)
	v_cmpx_neq_f64_e32 0, v[5:6]
	s_cbranch_execz .LBB103_27
; %bb.3:
	s_load_dwordx2 s[0:1], s[4:5], 0x80
	s_waitcnt lgkmcnt(0)
	v_cvt_f32_u32_e32 v2, s1
	s_add_i32 s2, s0, -1
	s_cmp_eq_u32 s6, s2
	v_rcp_iflag_f32_e32 v2, v2
	v_mul_f32_e32 v2, 0x4f7ffffe, v2
	v_cvt_u32_f32_e32 v2, v2
	v_readfirstlane_b32 s3, v2
	s_cbranch_scc1 .LBB103_27
; %bb.4:
	s_load_dwordx4 s[12:15], s[4:5], 0x48
	s_not_b32 s2, s6
	s_sub_i32 s9, 0, s1
	s_add_i32 s2, s0, s2
	s_mul_i32 s9, s9, s3
	v_cmp_eq_u32_e32 vcc_lo, 0, v1
	s_waitcnt lgkmcnt(0)
	s_mul_i32 s0, s15, s8
	s_mul_hi_u32 s11, s14, s8
	s_mul_i32 s10, s14, s8
	s_add_i32 s11, s11, s0
	s_mul_hi_u32 s0, s3, s9
	s_lshl_b64 s[10:11], s[10:11], 3
	s_add_i32 s3, s3, s0
	s_add_u32 s0, s24, s10
	s_addc_u32 s9, s25, s11
	s_lshl_b64 s[10:11], s[26:27], 3
	s_mul_hi_u32 s3, s2, s3
	s_add_u32 s0, s0, s10
	s_addc_u32 s9, s9, s11
	s_lshl_b32 s6, s6, 5
	s_ashr_i32 s10, s6, 31
	s_mul_hi_u32 s11, s12, s6
	s_mul_i32 s14, s12, s10
	s_mul_i32 s15, s13, s6
	s_add_i32 s11, s11, s14
	s_mul_i32 s14, s12, s6
	s_add_i32 s15, s11, s15
	s_lshl_b64 s[14:15], s[14:15], 3
	s_add_u32 s25, s0, s14
	s_addc_u32 s24, s9, s15
	s_and_saveexec_b32 s9, vcc_lo
	s_cbranch_execz .LBB103_6
; %bb.5:
	v_mad_u64_u32 v[2:3], null, s12, v0, 0
	v_mad_u64_u32 v[3:4], null, s13, v0, v[3:4]
	v_lshlrev_b32_e32 v4, 3, v0
	v_lshlrev_b64 v[2:3], 3, v[2:3]
	v_add_co_u32 v2, s0, s25, v2
	v_add_co_ci_u32_e64 v3, null, s24, v3, s0
	global_load_dwordx2 v[2:3], v[2:3], off
	s_waitcnt vmcnt(0)
	ds_write_b64 v4, v[2:3] offset:6144
.LBB103_6:
	s_or_b32 exec_lo, exec_lo, s9
	s_mul_i32 s0, s3, s1
	s_add_i32 s9, s3, 1
	s_sub_i32 s0, s2, s0
	s_sub_i32 s11, s0, s1
	s_cmp_ge_u32 s0, s1
	s_cselect_b32 s3, s9, s3
	s_cselect_b32 s0, s11, s0
	s_add_i32 s9, s3, 1
	s_cmp_ge_u32 s0, s1
	s_cselect_b32 s9, s9, s3
	s_add_i32 s0, s1, -1
	s_mov_b32 s26, s9
	s_cmp_lg_u32 s7, s0
	s_cbranch_scc1 .LBB103_8
; %bb.7:
	s_mul_i32 s0, s9, s1
	s_sub_i32 s0, s2, s0
	s_add_i32 s26, s0, s9
.LBB103_8:
	s_cmp_eq_u32 s26, 0
	s_cbranch_scc1 .LBB103_27
; %bb.9:
	s_clause 0x2
	s_load_dwordx2 s[14:15], s[4:5], 0x70
	s_load_dwordx4 s[0:3], s[4:5], 0x60
	s_load_dwordx2 s[4:5], s[4:5], 0x58
	v_lshl_add_u32 v1, v1, 5, v0
	v_and_b32_e32 v7, 15, v0
	s_waitcnt lgkmcnt(0)
	s_barrier
	buffer_gl0_inv
	v_lshrrev_b32_e32 v58, 4, v1
	s_mul_i32 s11, s15, s8
	s_mul_hi_u32 s15, s14, s8
	s_mul_i32 s14, s14, s8
	s_add_i32 s15, s15, s11
	s_mul_i32 s11, s2, s10
	s_lshl_b64 s[14:15], s[14:15], 3
	s_mul_hi_u32 s27, s2, s6
	s_add_u32 s4, s4, s14
	s_addc_u32 s5, s5, s15
	s_lshl_b64 s[0:1], s[0:1], 3
	s_mul_i32 s14, s3, s6
	s_add_u32 s4, s4, s0
	s_addc_u32 s5, s5, s1
	s_add_i32 s1, s27, s11
	s_mul_i32 s0, s2, s6
	s_add_i32 s1, s1, s14
	s_lshl_b64 s[0:1], s[0:1], 3
	s_add_u32 s14, s4, s0
	s_addc_u32 s15, s5, s1
	s_cmp_lt_i32 s26, 1
	s_cbranch_scc1 .LBB103_18
; %bb.10:
	v_lshlrev_b32_e32 v3, 2, v58
	v_mov_b32_e32 v8, 0
	s_mul_i32 s0, s23, s8
	s_mul_hi_u32 s1, s22, s8
	s_mul_i32 s7, s7, s9
	s_add_i32 s1, s1, s0
	s_mul_i32 s0, s22, s8
	s_lshl_b32 s8, s7, 5
	s_lshl_b64 s[0:1], s[0:1], 3
	v_mad_u64_u32 v[1:2], null, s20, v3, v[7:8]
	s_ashr_i32 s9, s8, 31
	s_add_u32 s4, s16, s0
	s_addc_u32 s5, s17, s1
	s_lshl_b64 s[0:1], s[18:19], 3
	v_or_b32_e32 v14, 16, v7
	s_add_u32 s4, s4, s0
	s_addc_u32 s5, s5, s1
	s_add_u32 s0, s20, 1
	v_mad_u64_u32 v[2:3], null, s21, v3, v[2:3]
	s_mul_i32 s1, s0, s10
	s_mul_hi_u32 s7, s0, s6
	s_addc_u32 s10, s21, 0
	s_add_i32 s1, s7, s1
	s_mul_i32 s10, s10, s6
	s_mul_i32 s0, s0, s6
	s_add_i32 s1, s1, s10
	v_lshlrev_b64 v[8:9], 3, v[1:2]
	s_lshl_b64 s[0:1], s[0:1], 3
	s_mul_hi_u32 s16, s12, s8
	s_add_u32 s4, s4, s0
	s_addc_u32 s5, s5, s1
	s_lshl_b64 s[0:1], s[8:9], 3
	v_lshl_or_b32 v18, v7, 3, 0x1000
	s_add_u32 s6, s4, s0
	s_addc_u32 s7, s5, s1
	v_add_co_u32 v1, s0, s6, v8
	v_add_co_ci_u32_e64 v2, null, s7, v9, s0
	s_lshl_b64 s[4:5], s[20:21], 3
	s_mul_hi_u32 s1, s2, s8
	v_add_co_u32 v3, s0, v1, s4
	v_add_co_ci_u32_e64 v4, null, s5, v2, s0
	s_lshl_b64 s[10:11], s[12:13], 8
	v_add_co_u32 v10, s0, v3, s4
	v_add_co_ci_u32_e64 v11, null, s5, v4, s0
	v_lshlrev_b32_e32 v19, 8, v58
	v_add_co_u32 v12, s0, v10, s4
	v_add_co_ci_u32_e64 v13, null, s5, v11, s0
	s_clause 0x3
	global_load_dwordx2 v[26:27], v[1:2], off offset:256
	global_load_dwordx2 v[28:29], v[3:4], off offset:256
	;; [unrolled: 1-line block ×4, first 2 shown]
	v_mad_u64_u32 v[1:2], null, s12, v7, 0
	v_mad_u64_u32 v[3:4], null, s12, v14, 0
	;; [unrolled: 1-line block ×3, first 2 shown]
	s_mul_i32 s0, s2, s9
	s_mul_i32 s9, s12, s9
	s_add_i32 s0, s1, s0
	s_mul_i32 s1, s3, s8
	v_mad_u64_u32 v[12:13], null, s13, v7, v[2:3]
	v_mov_b32_e32 v2, v11
	v_mad_u64_u32 v[13:14], null, s13, v14, v[4:5]
	s_add_i32 s1, s0, s1
	s_mul_i32 s0, s2, s8
	v_mad_u64_u32 v[14:15], null, s3, v0, v[2:3]
	s_lshl_b64 s[0:1], s[0:1], 3
	v_mov_b32_e32 v2, v12
	s_add_u32 s0, s14, s0
	v_mov_b32_e32 v4, v13
	s_addc_u32 s1, s15, s1
	s_add_i32 s9, s16, s9
	v_mov_b32_e32 v11, v14
	s_mul_i32 s16, s13, s8
	s_mul_i32 s8, s12, s8
	s_add_i32 s9, s9, s16
	v_mov_b32_e32 v14, 0
	s_lshl_b64 s[8:9], s[8:9], 3
	v_lshlrev_b64 v[20:21], 3, v[1:2]
	v_lshlrev_b64 v[16:17], 3, v[3:4]
	;; [unrolled: 1-line block ×3, first 2 shown]
	v_lshl_add_u32 v61, v58, 5, 0x1800
	v_lshl_or_b32 v59, v0, 3, 0x1000
	v_mov_b32_e32 v15, 0
	v_add_nc_u32_e32 v60, v18, v19
	s_add_u32 s12, s25, s8
	s_addc_u32 s13, s24, s9
	s_lshl_b64 s[8:9], s[2:3], 8
	s_cmp_eq_u32 s26, 1
	s_cbranch_scc1 .LBB103_19
; %bb.11:
	s_add_u32 s6, s6, 0x100
	v_mov_b32_e32 v18, 0
	v_mov_b32_e32 v24, 0
	v_mov_b32_e32 v22, 0
	v_mov_b32_e32 v14, 0
	v_mov_b32_e32 v13, s1
	s_addc_u32 s7, s7, 0
	s_lshl_b64 s[16:17], s[20:21], 4
	v_mov_b32_e32 v19, 0
	v_mov_b32_e32 v25, 0
	;; [unrolled: 1-line block ×5, first 2 shown]
	s_add_i32 s26, s26, -2
	s_sub_u32 s16, 0, s16
	s_subb_u32 s17, 0, s17
	s_mov_b32 s18, 0
.LBB103_12:                             ; =>This Loop Header: Depth=1
                                        ;     Child Loop BB103_14 Depth 2
	v_add_co_u32 v1, s0, s6, v8
	v_add_co_ci_u32_e64 v2, null, s7, v9, s0
	s_add_u32 s12, s12, s10
	v_add_co_u32 v3, s0, v1, s4
	global_load_dwordx2 v[42:43], v[1:2], off offset:128
	v_add_co_ci_u32_e64 v4, null, s5, v2, s0
	s_addc_u32 s13, s13, s11
	global_load_dwordx2 v[44:45], v[3:4], off offset:128
	v_add_co_u32 v3, s0, v3, s4
	v_add_co_ci_u32_e64 v4, null, s5, v4, s0
	global_load_dwordx2 v[46:47], v[3:4], off offset:128
	v_add_co_u32 v3, s0, v3, s4
	v_add_co_ci_u32_e64 v4, null, s5, v4, s0
	;; [unrolled: 3-line block ×3, first 2 shown]
	v_add_co_u32 v34, s0, s12, v20
	v_add_co_ci_u32_e64 v35, null, s13, v21, s0
	v_add_co_u32 v36, s0, v3, s4
	v_add_co_ci_u32_e64 v37, null, s5, v4, s0
	;; [unrolled: 2-line block ×4, first 2 shown]
	s_clause 0x1
	global_load_dwordx2 v[52:53], v[34:35], off
	global_load_dwordx2 v[50:51], v[38:39], off
	s_clause 0x3
	global_load_dwordx2 v[40:41], v[1:2], off offset:256
	global_load_dwordx2 v[38:39], v[3:4], off offset:256
	;; [unrolled: 1-line block ×4, first 2 shown]
	ds_read_b128 v[1:4], v61
	ds_read_b128 v[54:57], v61 offset:16
	s_waitcnt vmcnt(0) lgkmcnt(0)
	s_barrier
	buffer_gl0_inv
	v_fma_f64 v[62:63], v[26:27], v[1:2], 0
	v_fma_f64 v[62:63], v[28:29], v[3:4], v[62:63]
	;; [unrolled: 1-line block ×8, first 2 shown]
	ds_write2_b64 v60, v[3:4], v[1:2] offset1:16
	s_waitcnt lgkmcnt(0)
	s_barrier
	buffer_gl0_inv
	s_and_saveexec_b32 s1, vcc_lo
	s_cbranch_execz .LBB103_16
; %bb.13:                               ;   in Loop: Header=BB103_12 Depth=1
	v_add_co_u32 v12, s0, v12, s8
	v_add_co_ci_u32_e64 v13, null, s9, v13, s0
	ds_read2_b64 v[62:65], v59 offset1:32
	v_add_co_u32 v54, s0, v12, v10
	v_add_co_ci_u32_e64 v55, null, v13, v11, s0
	s_mov_b32 s19, 0
	global_load_dwordx2 v[3:4], v[54:55], off
	s_waitcnt lgkmcnt(0)
	v_add_f64 v[1:2], v[62:63], 0
	v_add_f64 v[1:2], v[1:2], v[64:65]
	ds_read2_b64 v[62:65], v59 offset0:64 offset1:96
	s_waitcnt lgkmcnt(0)
	v_add_f64 v[1:2], v[1:2], v[62:63]
	v_add_f64 v[1:2], v[1:2], v[64:65]
	ds_read2_b64 v[62:65], v59 offset0:128 offset1:160
	;; [unrolled: 4-line block ×3, first 2 shown]
	s_waitcnt lgkmcnt(0)
	v_add_f64 v[1:2], v[1:2], v[62:63]
	v_add_f64 v[1:2], v[1:2], v[64:65]
	v_mul_f64 v[56:57], v[5:6], v[1:2]
.LBB103_14:                             ;   Parent Loop BB103_12 Depth=1
                                        ; =>  This Inner Loop Header: Depth=2
	s_waitcnt vmcnt(0)
	v_add_f64 v[1:2], v[3:4], v[56:57]
	global_atomic_cmpswap_x2 v[1:2], v[54:55], v[1:4], off glc
	s_waitcnt vmcnt(0)
	v_cmp_eq_u64_e64 s0, v[1:2], v[3:4]
	v_mov_b32_e32 v4, v2
	v_mov_b32_e32 v3, v1
	s_or_b32 s19, s0, s19
	s_andn2_b32 exec_lo, exec_lo, s19
	s_cbranch_execnz .LBB103_14
; %bb.15:                               ;   in Loop: Header=BB103_12 Depth=1
	s_or_b32 exec_lo, exec_lo, s19
.LBB103_16:                             ;   in Loop: Header=BB103_12 Depth=1
	s_or_b32 exec_lo, exec_lo, s1
	v_fma_f64 v[1:2], v[52:53], v[26:27], v[18:19]
	v_fma_f64 v[3:4], v[52:53], v[28:29], v[24:25]
	;; [unrolled: 1-line block ×4, first 2 shown]
	s_add_u32 s0, s6, 0x100
	s_addc_u32 s1, s7, 0
	s_add_i32 s19, s18, 1
	s_cmp_eq_u32 s18, s26
	v_fma_f64 v[18:19], v[50:51], v[42:43], v[1:2]
	v_fma_f64 v[24:25], v[50:51], v[44:45], v[3:4]
	;; [unrolled: 1-line block ×4, first 2 shown]
	s_cbranch_scc1 .LBB103_20
; %bb.17:                               ;   in Loop: Header=BB103_12 Depth=1
	v_mov_b32_e32 v26, v40
	v_mov_b32_e32 v28, v38
	;; [unrolled: 1-line block ×8, first 2 shown]
	s_mov_b32 s18, s19
	s_mov_b64 s[6:7], s[0:1]
	s_branch .LBB103_12
.LBB103_18:
	v_mov_b32_e32 v1, 0
	v_mov_b32_e32 v3, 0
	;; [unrolled: 1-line block ×8, first 2 shown]
	s_branch .LBB103_24
.LBB103_19:
	v_mov_b32_e32 v13, s1
	s_waitcnt vmcnt(0)
	v_mov_b32_e32 v35, v33
	v_mov_b32_e32 v37, v31
	;; [unrolled: 1-line block ×15, first 2 shown]
.LBB103_20:
	v_add_co_u32 v1, s0, s6, v8
	v_add_co_ci_u32_e64 v2, null, s7, v9, s0
	s_add_u32 s1, s12, s10
	s_addc_u32 s6, s13, s11
	global_load_dwordx2 v[8:9], v[1:2], off offset:384
	v_add_co_u32 v1, s0, v1, s4
	v_add_co_ci_u32_e64 v2, null, s5, v2, s0
	global_load_dwordx2 v[26:27], v[1:2], off offset:384
	v_add_co_u32 v1, s0, v1, s4
	v_add_co_ci_u32_e64 v2, null, s5, v2, s0
	;; [unrolled: 3-line block ×3, first 2 shown]
	v_add_co_u32 v3, s0, s1, v20
	v_add_co_ci_u32_e64 v4, null, s6, v21, s0
	global_load_dwordx2 v[20:21], v[1:2], off offset:384
	global_load_dwordx2 v[42:43], v[3:4], off
	v_add_co_u32 v1, s0, s1, v16
	v_add_co_ci_u32_e64 v2, null, s6, v17, s0
	global_load_dwordx2 v[16:17], v[1:2], off
	ds_read_b128 v[1:4], v61
	ds_read_b128 v[30:33], v61 offset:16
	s_waitcnt vmcnt(0) lgkmcnt(0)
	s_barrier
	buffer_gl0_inv
	v_fma_f64 v[44:45], v[40:41], v[1:2], 0
	v_fma_f64 v[44:45], v[38:39], v[3:4], v[44:45]
	;; [unrolled: 1-line block ×12, first 2 shown]
	ds_write2_b64 v60, v[3:4], v[1:2] offset1:16
	s_waitcnt lgkmcnt(0)
	s_barrier
	buffer_gl0_inv
	s_and_saveexec_b32 s1, vcc_lo
	s_cbranch_execz .LBB103_23
; %bb.21:
	v_add_co_u32 v1, s0, v12, s8
	v_add_co_ci_u32_e64 v2, null, s9, v13, s0
	ds_read2_b64 v[30:33], v59 offset1:32
	v_add_co_u32 v10, s0, v1, v10
	v_add_co_ci_u32_e64 v11, null, v2, v11, s0
	s_mov_b32 s4, 0
	global_load_dwordx2 v[3:4], v[10:11], off
	s_waitcnt lgkmcnt(0)
	v_add_f64 v[1:2], v[30:31], 0
	v_add_f64 v[1:2], v[1:2], v[32:33]
	ds_read2_b64 v[30:33], v59 offset0:64 offset1:96
	s_waitcnt lgkmcnt(0)
	v_add_f64 v[1:2], v[1:2], v[30:31]
	v_add_f64 v[1:2], v[1:2], v[32:33]
	ds_read2_b64 v[30:33], v59 offset0:128 offset1:160
	;; [unrolled: 4-line block ×3, first 2 shown]
	s_waitcnt lgkmcnt(0)
	v_add_f64 v[1:2], v[1:2], v[30:31]
	v_add_f64 v[1:2], v[1:2], v[32:33]
	v_mul_f64 v[12:13], v[5:6], v[1:2]
.LBB103_22:                             ; =>This Inner Loop Header: Depth=1
	s_waitcnt vmcnt(0)
	v_add_f64 v[1:2], v[3:4], v[12:13]
	global_atomic_cmpswap_x2 v[1:2], v[10:11], v[1:4], off glc
	s_waitcnt vmcnt(0)
	v_cmp_eq_u64_e64 s0, v[1:2], v[3:4]
	v_mov_b32_e32 v4, v2
	v_mov_b32_e32 v3, v1
	s_or_b32 s4, s0, s4
	s_andn2_b32 exec_lo, exec_lo, s4
	s_cbranch_execnz .LBB103_22
.LBB103_23:
	s_or_b32 exec_lo, exec_lo, s1
	v_fma_f64 v[10:11], v[16:17], v[8:9], v[18:19]
	v_fma_f64 v[8:9], v[16:17], v[26:27], v[24:25]
	;; [unrolled: 1-line block ×4, first 2 shown]
.LBB103_24:
	v_lshlrev_b32_e32 v12, 9, v58
	v_lshl_or_b32 v12, v7, 3, v12
	ds_write2_b64 v12, v[10:11], v[8:9] offset1:16
	ds_write2_b64 v12, v[3:4], v[1:2] offset0:32 offset1:48
	s_waitcnt lgkmcnt(0)
	s_barrier
	buffer_gl0_inv
	s_and_b32 exec_lo, exec_lo, vcc_lo
	s_cbranch_execz .LBB103_27
; %bb.25:
	v_lshlrev_b32_e32 v20, 7, v0
	v_add_nc_u32_e32 v3, 1, v0
	v_add_nc_u32_e32 v4, 2, v0
	;; [unrolled: 1-line block ×3, first 2 shown]
	v_mad_u64_u32 v[12:13], null, s2, v0, 0
	v_lshl_or_b32 v1, v7, 3, v20
	v_and_b32_e32 v3, 15, v3
	v_and_b32_e32 v4, 15, v4
	;; [unrolled: 1-line block ×3, first 2 shown]
	v_add_nc_u32_e32 v14, 7, v0
	ds_read_b64 v[1:2], v1
	v_lshl_or_b32 v3, v3, 3, v20
	v_lshl_or_b32 v9, v4, 3, v20
	;; [unrolled: 1-line block ×3, first 2 shown]
	ds_read_b64 v[3:4], v3
	ds_read_b64 v[8:9], v9
	;; [unrolled: 1-line block ×3, first 2 shown]
	v_and_b32_e32 v14, 15, v14
	s_mov_b32 s0, 0
	v_lshl_or_b32 v18, v14, 3, v20
	s_waitcnt lgkmcnt(3)
	v_add_f64 v[1:2], v[1:2], 0
	s_waitcnt lgkmcnt(2)
	v_add_f64 v[1:2], v[1:2], v[3:4]
	v_mov_b32_e32 v3, v13
	v_mad_u64_u32 v[3:4], null, s3, v0, v[3:4]
	v_mov_b32_e32 v13, v3
	v_lshlrev_b64 v[3:4], 3, v[12:13]
	s_waitcnt lgkmcnt(1)
	v_add_f64 v[12:13], v[1:2], v[8:9]
	v_add_nc_u32_e32 v1, 4, v0
	v_add_co_u32 v8, vcc_lo, s14, v3
	v_add_co_ci_u32_e64 v9, null, s15, v4, vcc_lo
	v_and_b32_e32 v1, 15, v1
	v_add_nc_u32_e32 v4, 6, v0
	global_load_dwordx2 v[2:3], v[8:9], off
	v_lshl_or_b32 v1, v1, 3, v20
	v_and_b32_e32 v4, 15, v4
	v_lshl_or_b32 v4, v4, 3, v20
	s_waitcnt lgkmcnt(0)
	v_add_f64 v[10:11], v[12:13], v[10:11]
	ds_read_b64 v[12:13], v1
	v_add_nc_u32_e32 v1, 5, v0
	v_and_b32_e32 v1, 15, v1
	v_lshl_or_b32 v1, v1, 3, v20
	ds_read_b64 v[14:15], v1
	ds_read_b64 v[16:17], v4
	;; [unrolled: 1-line block ×3, first 2 shown]
	v_xor_b32_e32 v1, 8, v7
	v_add_nc_u32_e32 v4, 10, v0
	v_add_nc_u32_e32 v7, 11, v0
	s_waitcnt lgkmcnt(3)
	v_add_f64 v[10:11], v[10:11], v[12:13]
	v_lshl_or_b32 v1, v1, 3, v20
	v_and_b32_e32 v4, 15, v4
	v_and_b32_e32 v7, 15, v7
	ds_read_b64 v[12:13], v1
	v_add_nc_u32_e32 v1, 9, v0
	v_lshl_or_b32 v4, v4, 3, v20
	v_lshl_or_b32 v7, v7, 3, v20
	v_and_b32_e32 v1, 15, v1
	v_lshl_or_b32 v1, v1, 3, v20
	s_waitcnt lgkmcnt(3)
	v_add_f64 v[10:11], v[10:11], v[14:15]
	s_waitcnt lgkmcnt(2)
	v_add_f64 v[10:11], v[10:11], v[16:17]
	s_waitcnt lgkmcnt(1)
	v_add_f64 v[10:11], v[10:11], v[18:19]
	ds_read_b64 v[14:15], v1
	ds_read_b64 v[16:17], v4
	;; [unrolled: 1-line block ×3, first 2 shown]
	v_add_nc_u32_e32 v1, 12, v0
	v_add_nc_u32_e32 v4, 14, v0
	v_and_b32_e32 v1, 15, v1
	v_and_b32_e32 v4, 15, v4
	v_lshl_or_b32 v1, v1, 3, v20
	v_lshl_or_b32 v4, v4, 3, v20
	s_waitcnt lgkmcnt(3)
	v_add_f64 v[10:11], v[10:11], v[12:13]
	ds_read_b64 v[12:13], v1
	v_add_nc_u32_e32 v1, 13, v0
	v_add_nc_u32_e32 v0, -1, v0
	v_and_b32_e32 v1, 15, v1
	v_and_b32_e32 v0, 15, v0
	v_lshl_or_b32 v1, v1, 3, v20
	v_lshl_or_b32 v7, v0, 3, v20
	s_waitcnt lgkmcnt(3)
	v_add_f64 v[10:11], v[10:11], v[14:15]
	s_waitcnt lgkmcnt(2)
	v_add_f64 v[10:11], v[10:11], v[16:17]
	ds_read_b64 v[0:1], v1
	ds_read_b64 v[14:15], v4
	;; [unrolled: 1-line block ×3, first 2 shown]
	s_waitcnt lgkmcnt(4)
	v_add_f64 v[10:11], v[10:11], v[18:19]
	s_waitcnt lgkmcnt(3)
	v_add_f64 v[10:11], v[10:11], v[12:13]
	;; [unrolled: 2-line block ×5, first 2 shown]
	v_mul_f64 v[4:5], v[5:6], v[0:1]
.LBB103_26:                             ; =>This Inner Loop Header: Depth=1
	s_waitcnt vmcnt(0)
	v_add_f64 v[0:1], v[2:3], v[4:5]
	global_atomic_cmpswap_x2 v[0:1], v[8:9], v[0:3], off glc
	s_waitcnt vmcnt(0)
	v_cmp_eq_u64_e32 vcc_lo, v[0:1], v[2:3]
	v_mov_b32_e32 v3, v1
	v_mov_b32_e32 v2, v0
	s_or_b32 s0, vcc_lo, s0
	s_andn2_b32 exec_lo, exec_lo, s0
	s_cbranch_execnz .LBB103_26
.LBB103_27:
	s_endpgm
	.section	.rodata,"a",@progbits
	.p2align	6, 0x0
	.amdhsa_kernel _ZL54rocblas_symv_kernel_lower_double_buffered_non_diagonalILi32ELi4ELi4E24rocblas_internal_val_ptrIdEPKdPdEvbiT2_lT3_lllS6_lllT4_llli
		.amdhsa_group_segment_fixed_size 6400
		.amdhsa_private_segment_fixed_size 0
		.amdhsa_kernarg_size 384
		.amdhsa_user_sgpr_count 6
		.amdhsa_user_sgpr_private_segment_buffer 1
		.amdhsa_user_sgpr_dispatch_ptr 0
		.amdhsa_user_sgpr_queue_ptr 0
		.amdhsa_user_sgpr_kernarg_segment_ptr 1
		.amdhsa_user_sgpr_dispatch_id 0
		.amdhsa_user_sgpr_flat_scratch_init 0
		.amdhsa_user_sgpr_private_segment_size 0
		.amdhsa_wavefront_size32 1
		.amdhsa_uses_dynamic_stack 0
		.amdhsa_system_sgpr_private_segment_wavefront_offset 0
		.amdhsa_system_sgpr_workgroup_id_x 1
		.amdhsa_system_sgpr_workgroup_id_y 1
		.amdhsa_system_sgpr_workgroup_id_z 1
		.amdhsa_system_sgpr_workgroup_info 0
		.amdhsa_system_vgpr_workitem_id 1
		.amdhsa_next_free_vgpr 66
		.amdhsa_next_free_sgpr 28
		.amdhsa_reserve_vcc 1
		.amdhsa_reserve_flat_scratch 0
		.amdhsa_float_round_mode_32 0
		.amdhsa_float_round_mode_16_64 0
		.amdhsa_float_denorm_mode_32 3
		.amdhsa_float_denorm_mode_16_64 3
		.amdhsa_dx10_clamp 1
		.amdhsa_ieee_mode 1
		.amdhsa_fp16_overflow 0
		.amdhsa_workgroup_processor_mode 1
		.amdhsa_memory_ordered 1
		.amdhsa_forward_progress 1
		.amdhsa_shared_vgpr_count 0
		.amdhsa_exception_fp_ieee_invalid_op 0
		.amdhsa_exception_fp_denorm_src 0
		.amdhsa_exception_fp_ieee_div_zero 0
		.amdhsa_exception_fp_ieee_overflow 0
		.amdhsa_exception_fp_ieee_underflow 0
		.amdhsa_exception_fp_ieee_inexact 0
		.amdhsa_exception_int_div_zero 0
	.end_amdhsa_kernel
	.section	.text._ZL54rocblas_symv_kernel_lower_double_buffered_non_diagonalILi32ELi4ELi4E24rocblas_internal_val_ptrIdEPKdPdEvbiT2_lT3_lllS6_lllT4_llli,"axG",@progbits,_ZL54rocblas_symv_kernel_lower_double_buffered_non_diagonalILi32ELi4ELi4E24rocblas_internal_val_ptrIdEPKdPdEvbiT2_lT3_lllS6_lllT4_llli,comdat
.Lfunc_end103:
	.size	_ZL54rocblas_symv_kernel_lower_double_buffered_non_diagonalILi32ELi4ELi4E24rocblas_internal_val_ptrIdEPKdPdEvbiT2_lT3_lllS6_lllT4_llli, .Lfunc_end103-_ZL54rocblas_symv_kernel_lower_double_buffered_non_diagonalILi32ELi4ELi4E24rocblas_internal_val_ptrIdEPKdPdEvbiT2_lT3_lllS6_lllT4_llli
                                        ; -- End function
	.set _ZL54rocblas_symv_kernel_lower_double_buffered_non_diagonalILi32ELi4ELi4E24rocblas_internal_val_ptrIdEPKdPdEvbiT2_lT3_lllS6_lllT4_llli.num_vgpr, 66
	.set _ZL54rocblas_symv_kernel_lower_double_buffered_non_diagonalILi32ELi4ELi4E24rocblas_internal_val_ptrIdEPKdPdEvbiT2_lT3_lllS6_lllT4_llli.num_agpr, 0
	.set _ZL54rocblas_symv_kernel_lower_double_buffered_non_diagonalILi32ELi4ELi4E24rocblas_internal_val_ptrIdEPKdPdEvbiT2_lT3_lllS6_lllT4_llli.numbered_sgpr, 28
	.set _ZL54rocblas_symv_kernel_lower_double_buffered_non_diagonalILi32ELi4ELi4E24rocblas_internal_val_ptrIdEPKdPdEvbiT2_lT3_lllS6_lllT4_llli.num_named_barrier, 0
	.set _ZL54rocblas_symv_kernel_lower_double_buffered_non_diagonalILi32ELi4ELi4E24rocblas_internal_val_ptrIdEPKdPdEvbiT2_lT3_lllS6_lllT4_llli.private_seg_size, 0
	.set _ZL54rocblas_symv_kernel_lower_double_buffered_non_diagonalILi32ELi4ELi4E24rocblas_internal_val_ptrIdEPKdPdEvbiT2_lT3_lllS6_lllT4_llli.uses_vcc, 1
	.set _ZL54rocblas_symv_kernel_lower_double_buffered_non_diagonalILi32ELi4ELi4E24rocblas_internal_val_ptrIdEPKdPdEvbiT2_lT3_lllS6_lllT4_llli.uses_flat_scratch, 0
	.set _ZL54rocblas_symv_kernel_lower_double_buffered_non_diagonalILi32ELi4ELi4E24rocblas_internal_val_ptrIdEPKdPdEvbiT2_lT3_lllS6_lllT4_llli.has_dyn_sized_stack, 0
	.set _ZL54rocblas_symv_kernel_lower_double_buffered_non_diagonalILi32ELi4ELi4E24rocblas_internal_val_ptrIdEPKdPdEvbiT2_lT3_lllS6_lllT4_llli.has_recursion, 0
	.set _ZL54rocblas_symv_kernel_lower_double_buffered_non_diagonalILi32ELi4ELi4E24rocblas_internal_val_ptrIdEPKdPdEvbiT2_lT3_lllS6_lllT4_llli.has_indirect_call, 0
	.section	.AMDGPU.csdata,"",@progbits
; Kernel info:
; codeLenInByte = 3260
; TotalNumSgprs: 30
; NumVgprs: 66
; ScratchSize: 0
; MemoryBound: 0
; FloatMode: 240
; IeeeMode: 1
; LDSByteSize: 6400 bytes/workgroup (compile time only)
; SGPRBlocks: 0
; VGPRBlocks: 8
; NumSGPRsForWavesPerEU: 30
; NumVGPRsForWavesPerEU: 66
; Occupancy: 12
; WaveLimiterHint : 0
; COMPUTE_PGM_RSRC2:SCRATCH_EN: 0
; COMPUTE_PGM_RSRC2:USER_SGPR: 6
; COMPUTE_PGM_RSRC2:TRAP_HANDLER: 0
; COMPUTE_PGM_RSRC2:TGID_X_EN: 1
; COMPUTE_PGM_RSRC2:TGID_Y_EN: 1
; COMPUTE_PGM_RSRC2:TGID_Z_EN: 1
; COMPUTE_PGM_RSRC2:TIDIG_COMP_CNT: 1
	.section	.text._ZL58rocblas_symv_kernel_lower_double_buffered_diagonal_genericILi32ELi4E24rocblas_internal_val_ptrIdEPKdPdEvbiT1_lT2_lllS6_lllS5_lT3_lllii,"axG",@progbits,_ZL58rocblas_symv_kernel_lower_double_buffered_diagonal_genericILi32ELi4E24rocblas_internal_val_ptrIdEPKdPdEvbiT1_lT2_lllS6_lllS5_lT3_lllii,comdat
	.globl	_ZL58rocblas_symv_kernel_lower_double_buffered_diagonal_genericILi32ELi4E24rocblas_internal_val_ptrIdEPKdPdEvbiT1_lT2_lllS6_lllS5_lT3_lllii ; -- Begin function _ZL58rocblas_symv_kernel_lower_double_buffered_diagonal_genericILi32ELi4E24rocblas_internal_val_ptrIdEPKdPdEvbiT1_lT2_lllS6_lllS5_lT3_lllii
	.p2align	8
	.type	_ZL58rocblas_symv_kernel_lower_double_buffered_diagonal_genericILi32ELi4E24rocblas_internal_val_ptrIdEPKdPdEvbiT1_lT2_lllS6_lllS5_lT3_lllii,@function
_ZL58rocblas_symv_kernel_lower_double_buffered_diagonal_genericILi32ELi4E24rocblas_internal_val_ptrIdEPKdPdEvbiT1_lT2_lllS6_lllS5_lT3_lllii: ; @_ZL58rocblas_symv_kernel_lower_double_buffered_diagonal_genericILi32ELi4E24rocblas_internal_val_ptrIdEPKdPdEvbiT1_lT2_lllS6_lllS5_lT3_lllii
; %bb.0:
	s_clause 0x2
	s_load_dword s0, s[4:5], 0x0
	s_load_dwordx16 s[8:23], s[4:5], 0x8
	s_load_dwordx8 s[24:31], s[4:5], 0x48
	s_waitcnt lgkmcnt(0)
	s_bitcmp1_b32 s0, 0
	v_mov_b32_e32 v4, s8
	v_mov_b32_e32 v5, s9
	s_cselect_b32 s0, -1, 0
	s_and_b32 vcc_lo, exec_lo, s0
	s_xor_b32 s0, s0, -1
	s_cbranch_vccnz .LBB104_2
; %bb.1:
	s_mul_i32 s1, s11, s7
	s_mul_hi_u32 s2, s10, s7
	s_add_i32 s3, s2, s1
	s_mul_i32 s2, s10, s7
	s_lshl_b64 s[2:3], s[2:3], 3
	s_add_u32 s2, s8, s2
	s_addc_u32 s3, s9, s3
	v_mov_b32_e32 v2, s2
	v_mov_b32_e32 v3, s3
	flat_load_dwordx2 v[4:5], v[2:3]
.LBB104_2:
	v_mov_b32_e32 v2, s28
	v_mov_b32_e32 v3, s29
	s_andn2_b32 vcc_lo, exec_lo, s0
	s_cbranch_vccnz .LBB104_4
; %bb.3:
	s_mul_i32 s0, s31, s7
	s_mul_hi_u32 s1, s30, s7
	s_add_i32 s1, s1, s0
	s_mul_i32 s0, s30, s7
	s_lshl_b64 s[0:1], s[0:1], 3
	s_add_u32 s0, s28, s0
	s_addc_u32 s1, s29, s1
	v_mov_b32_e32 v3, s1
	v_mov_b32_e32 v2, s0
	flat_load_dwordx2 v[2:3], v[2:3]
.LBB104_4:
	s_waitcnt vmcnt(0) lgkmcnt(0)
	v_cmp_neq_f64_e32 vcc_lo, 0, v[4:5]
	v_cmp_neq_f64_e64 s0, 1.0, v[2:3]
	s_or_b32 s0, vcc_lo, s0
	s_and_saveexec_b32 s1, s0
	s_cbranch_execz .LBB104_65
; %bb.5:
	s_clause 0x3
	s_load_dwordx2 s[8:9], s[4:5], 0x80
	s_load_dwordx2 s[10:11], s[4:5], 0x68
	s_load_dwordx4 s[0:3], s[4:5], 0x70
	s_load_dword s28, s[4:5], 0x88
	s_waitcnt lgkmcnt(0)
	s_mul_i32 s9, s9, s7
	s_mul_hi_u32 s29, s8, s7
	s_mul_i32 s8, s8, s7
	s_add_i32 s9, s29, s9
	s_lshl_b64 s[8:9], s[8:9], 3
	s_add_u32 s8, s10, s8
	s_addc_u32 s9, s11, s9
	s_lshl_b64 s[0:1], s[0:1], 3
	s_add_u32 s29, s8, s0
	s_addc_u32 s30, s9, s1
	s_lshl_b32 s8, s6, 5
	s_ashr_i32 s9, s8, 31
	s_mul_hi_u32 s0, s2, s8
	s_mul_i32 s1, s2, s9
	s_mul_i32 s10, s3, s8
	s_add_i32 s0, s0, s1
	s_add_i32 s1, s0, s10
	s_mul_i32 s0, s2, s8
	s_lshl_b64 s[10:11], s[0:1], 3
	s_mov_b32 s0, exec_lo
	s_add_u32 s1, s29, s10
	s_addc_u32 s29, s30, s11
	v_cmpx_eq_f64_e32 0, v[4:5]
	s_xor_b32 s0, exec_lo, s0
	s_cbranch_execz .LBB104_12
; %bb.6:
	s_mov_b32 s10, exec_lo
	v_cmpx_eq_u32_e32 0, v1
	s_cbranch_execz .LBB104_11
; %bb.7:
	v_cmp_gt_i32_e64 s11, s28, v0
	s_mov_b32 s30, exec_lo
	v_cmpx_le_i32_e64 s28, v0
	s_cbranch_execz .LBB104_9
; %bb.8:
	s_load_dword s31, s[4:5], 0x90
	s_waitcnt lgkmcnt(0)
	s_add_i32 s31, s31, -1
	s_cmp_lt_u32 s6, s31
	s_cselect_b32 s31, -1, 0
	s_andn2_b32 s11, s11, exec_lo
	s_and_b32 s31, s31, exec_lo
	s_or_b32 s11, s11, s31
.LBB104_9:
	s_or_b32 exec_lo, exec_lo, s30
	s_and_b32 exec_lo, exec_lo, s11
	s_cbranch_execz .LBB104_11
; %bb.10:
	v_mad_u64_u32 v[4:5], null, s2, v0, 0
	v_mov_b32_e32 v1, v5
	v_mad_u64_u32 v[0:1], null, s3, v0, v[1:2]
	v_mov_b32_e32 v5, v0
	v_lshlrev_b64 v[0:1], 3, v[4:5]
	v_add_co_u32 v0, vcc_lo, s1, v0
	v_add_co_ci_u32_e64 v1, null, s29, v1, vcc_lo
	global_load_dwordx2 v[4:5], v[0:1], off
	s_waitcnt vmcnt(0)
	v_mul_f64 v[2:3], v[2:3], v[4:5]
	global_store_dwordx2 v[0:1], v[2:3], off
.LBB104_11:
	s_or_b32 exec_lo, exec_lo, s10
                                        ; implicit-def: $vgpr1
                                        ; implicit-def: $vgpr4_vgpr5
                                        ; implicit-def: $vgpr2_vgpr3
                                        ; implicit-def: $vgpr0
.LBB104_12:
	s_andn2_saveexec_b32 s0, s0
	s_cbranch_execz .LBB104_65
; %bb.13:
	s_mul_i32 s0, s27, s7
	s_mul_hi_u32 s10, s26, s7
                                        ; implicit-def: $vgpr6_vgpr7
	s_add_i32 s11, s10, s0
	s_load_dword s0, s[4:5], 0x90
	s_mul_i32 s10, s26, s7
	s_lshl_b64 s[4:5], s[10:11], 3
	s_add_u32 s10, s20, s4
	s_addc_u32 s11, s21, s5
	s_lshl_b64 s[4:5], s[22:23], 3
	s_mul_hi_u32 s20, s24, s8
	s_add_u32 s10, s10, s4
	s_mul_i32 s4, s24, s9
	s_addc_u32 s11, s11, s5
	s_add_i32 s4, s20, s4
	s_mul_i32 s5, s25, s8
	s_add_i32 s5, s4, s5
	s_mul_i32 s4, s24, s8
	s_lshl_b64 s[4:5], s[4:5], 3
	s_add_u32 s4, s10, s4
	s_addc_u32 s5, s11, s5
	s_waitcnt lgkmcnt(0)
	s_add_i32 s0, s0, -1
	s_cmp_lg_u32 s6, s0
	v_cmp_eq_u32_e64 s0, 0, v1
	s_cselect_b32 s20, -1, 0
	s_mov_b32 s6, -1
	s_and_b32 vcc_lo, exec_lo, s20
	s_cbranch_vccz .LBB104_19
; %bb.14:
	v_mov_b32_e32 v6, 0
	v_mov_b32_e32 v7, 0
	s_and_saveexec_b32 s6, s0
	s_cbranch_execz .LBB104_18
; %bb.15:
	v_mad_u64_u32 v[6:7], null, s24, v0, 0
	v_lshlrev_b32_e32 v10, 3, v0
	s_mov_b32 s10, exec_lo
	v_mad_u64_u32 v[7:8], null, s25, v0, v[7:8]
	v_lshlrev_b64 v[6:7], 3, v[6:7]
	v_add_co_u32 v6, vcc_lo, s4, v6
	v_add_co_ci_u32_e64 v7, null, s5, v7, vcc_lo
	global_load_dwordx2 v[8:9], v[6:7], off
	v_mov_b32_e32 v6, 0
	v_mov_b32_e32 v7, 0
	s_waitcnt vmcnt(0)
	ds_write_b64 v10, v[8:9] offset:10240
	v_cmpx_neq_f64_e32 0, v[2:3]
	s_cbranch_execz .LBB104_17
; %bb.16:
	v_mad_u64_u32 v[6:7], null, s2, v0, 0
	v_mad_u64_u32 v[7:8], null, s3, v0, v[7:8]
	v_lshlrev_b64 v[6:7], 3, v[6:7]
	v_add_co_u32 v6, vcc_lo, s1, v6
	v_add_co_ci_u32_e64 v7, null, s29, v7, vcc_lo
	global_load_dwordx2 v[6:7], v[6:7], off
	s_waitcnt vmcnt(0)
	v_mul_f64 v[6:7], v[2:3], v[6:7]
.LBB104_17:
	s_or_b32 exec_lo, exec_lo, s10
.LBB104_18:
	s_or_b32 exec_lo, exec_lo, s6
	s_mov_b32 s6, 0
.LBB104_19:
	s_andn2_b32 vcc_lo, exec_lo, s6
	s_cbranch_vccnz .LBB104_29
; %bb.20:
	v_mov_b32_e32 v6, 0
	v_mov_b32_e32 v7, 0
	s_and_saveexec_b32 s6, s0
	s_cbranch_execz .LBB104_28
; %bb.21:
	s_mov_b32 s10, exec_lo
	v_cmpx_le_i32_e64 s28, v0
	s_xor_b32 s10, exec_lo, s10
	s_cbranch_execz .LBB104_23
; %bb.22:
	v_mov_b32_e32 v6, 0
	v_lshlrev_b32_e32 v8, 3, v0
	v_mov_b32_e32 v7, v6
	ds_write_b64 v8, v[6:7] offset:10240
.LBB104_23:
	s_or_saveexec_b32 s10, s10
	v_mov_b32_e32 v6, 0
	v_mov_b32_e32 v7, 0
	s_xor_b32 exec_lo, exec_lo, s10
	s_cbranch_execz .LBB104_27
; %bb.24:
	v_mad_u64_u32 v[6:7], null, s24, v0, 0
	v_lshlrev_b32_e32 v10, 3, v0
	v_mad_u64_u32 v[7:8], null, s25, v0, v[7:8]
	v_lshlrev_b64 v[6:7], 3, v[6:7]
	v_add_co_u32 v6, vcc_lo, s4, v6
	v_add_co_ci_u32_e64 v7, null, s5, v7, vcc_lo
	s_mov_b32 s4, exec_lo
	global_load_dwordx2 v[8:9], v[6:7], off
	v_mov_b32_e32 v6, 0
	v_mov_b32_e32 v7, 0
	s_waitcnt vmcnt(0)
	ds_write_b64 v10, v[8:9] offset:10240
	v_cmpx_neq_f64_e32 0, v[2:3]
	s_cbranch_execz .LBB104_26
; %bb.25:
	v_mad_u64_u32 v[6:7], null, s2, v0, 0
	v_mad_u64_u32 v[7:8], null, s3, v0, v[7:8]
	v_lshlrev_b64 v[6:7], 3, v[6:7]
	v_add_co_u32 v6, vcc_lo, s1, v6
	v_add_co_ci_u32_e64 v7, null, s29, v7, vcc_lo
	global_load_dwordx2 v[6:7], v[6:7], off
	s_waitcnt vmcnt(0)
	v_mul_f64 v[6:7], v[2:3], v[6:7]
.LBB104_26:
	s_or_b32 exec_lo, exec_lo, s4
.LBB104_27:
	s_or_b32 exec_lo, exec_lo, s10
.LBB104_28:
	s_or_b32 exec_lo, exec_lo, s6
.LBB104_29:
	s_mul_i32 s5, s19, s7
	s_mul_hi_u32 s6, s18, s7
	v_mad_u64_u32 v[8:9], null, s16, v1, 0
	s_mul_i32 s4, s18, s7
	s_add_i32 s5, s6, s5
	v_lshlrev_b32_e32 v12, 3, v0
	s_lshl_b64 s[4:5], s[4:5], 3
	v_lshlrev_b32_e32 v13, 8, v1
	s_add_u32 s10, s12, s4
	s_addc_u32 s11, s13, s5
	s_lshl_b64 s[6:7], s[14:15], 3
	v_mad_u64_u32 v[9:10], null, s17, v1, v[9:10]
	s_add_u32 s10, s10, s6
	s_addc_u32 s11, s11, s7
	s_add_u32 s14, s16, 1
	s_addc_u32 s15, s17, 0
	s_mul_i32 s9, s14, s9
	s_mul_hi_u32 s18, s14, s8
	s_mul_i32 s15, s15, s8
	s_add_i32 s9, s18, s9
	s_mul_i32 s8, s14, s8
	s_add_i32 s9, s9, s15
	v_lshlrev_b64 v[10:11], 3, v[8:9]
	s_lshl_b64 s[8:9], s[8:9], 3
	v_lshlrev_b32_e32 v15, 5, v1
	s_add_u32 s10, s10, s8
	s_addc_u32 s11, s11, s9
	v_add_nc_u32_e32 v13, v12, v13
	v_add_co_u32 v8, vcc_lo, s10, v10
	v_add_co_ci_u32_e64 v9, null, s11, v11, vcc_lo
	s_mov_b32 s10, -1
	v_add_co_u32 v8, vcc_lo, v8, v12
	v_add_co_ci_u32_e64 v9, null, 0, v9, vcc_lo
	s_andn2_b32 vcc_lo, exec_lo, s20
	s_cbranch_vccnz .LBB104_31
; %bb.30:
	s_lshl_b64 s[10:11], s[16:17], 5
	v_add_co_u32 v16, vcc_lo, v8, s10
	v_add_co_ci_u32_e64 v17, null, s11, v9, vcc_lo
	v_add_co_u32 v18, vcc_lo, v16, s10
	v_add_co_ci_u32_e64 v19, null, s11, v17, vcc_lo
	;; [unrolled: 2-line block ×7, first 2 shown]
	s_clause 0x5
	global_load_dwordx2 v[30:31], v[8:9], off
	global_load_dwordx2 v[16:17], v[16:17], off
	global_load_dwordx2 v[18:19], v[18:19], off
	global_load_dwordx2 v[20:21], v[20:21], off
	global_load_dwordx2 v[22:23], v[22:23], off
	global_load_dwordx2 v[24:25], v[24:25], off
	global_load_dwordx2 v[26:27], v[26:27], off
	global_load_dwordx2 v[28:29], v[28:29], off
	s_mov_b32 s10, 0
	s_waitcnt vmcnt(6)
	ds_write2st64_b64 v13, v[30:31], v[16:17] offset1:2
	s_waitcnt vmcnt(4)
	ds_write2st64_b64 v13, v[18:19], v[20:21] offset0:4 offset1:6
	s_waitcnt vmcnt(2)
	ds_write2st64_b64 v13, v[22:23], v[24:25] offset0:8 offset1:10
	;; [unrolled: 2-line block ×3, first 2 shown]
.LBB104_31:
	v_add_nc_u32_e32 v14, v15, v0
	s_andn2_b32 vcc_lo, exec_lo, s10
	s_cbranch_vccnz .LBB104_39
; %bb.32:
	s_mov_b32 s10, 0
	s_mov_b32 s11, s10
	v_mov_b32_e32 v17, s11
	v_mov_b32_e32 v16, s10
	s_mov_b32 s11, exec_lo
	ds_write2st64_b64 v13, v[16:17], v[16:17] offset1:2
	ds_write2st64_b64 v13, v[16:17], v[16:17] offset0:4 offset1:6
	ds_write2st64_b64 v13, v[16:17], v[16:17] offset0:8 offset1:10
	;; [unrolled: 1-line block ×3, first 2 shown]
	v_cmpx_gt_i32_e64 s28, v0
	s_cbranch_execz .LBB104_38
; %bb.33:
	s_cmp_lt_u32 s28, 4
	s_cbranch_scc1 .LBB104_36
; %bb.34:
	s_lshr_b32 s10, s28, 2
	s_add_u32 s4, s8, s4
	s_addc_u32 s5, s9, s5
	s_add_u32 s4, s6, s4
	s_addc_u32 s5, s7, s5
	v_add_co_u32 v10, vcc_lo, s4, v10
	v_add_co_ci_u32_e64 v11, null, s5, v11, vcc_lo
	v_lshl_add_u32 v16, v15, 3, v12
	v_add_co_u32 v10, vcc_lo, v10, v12
	v_add_co_ci_u32_e64 v11, null, 0, v11, vcc_lo
	s_lshl_b64 s[4:5], s[16:17], 5
	v_add_co_u32 v10, vcc_lo, s12, v10
	v_add_co_ci_u32_e64 v11, null, s13, v11, vcc_lo
	s_mov_b32 s6, s10
.LBB104_35:                             ; =>This Inner Loop Header: Depth=1
	global_load_dwordx2 v[17:18], v[10:11], off
	v_add_co_u32 v10, vcc_lo, v10, s4
	v_add_co_ci_u32_e64 v11, null, s5, v11, vcc_lo
	s_add_i32 s6, s6, -1
	s_cmp_lg_u32 s6, 0
	s_waitcnt vmcnt(0)
	ds_write_b64 v16, v[17:18]
	v_add_nc_u32_e32 v16, 0x400, v16
	s_cbranch_scc1 .LBB104_35
.LBB104_36:
	s_and_b32 s4, s28, 3
	v_cmp_gt_u32_e32 vcc_lo, s4, v1
	s_and_b32 exec_lo, exec_lo, vcc_lo
	s_cbranch_execz .LBB104_38
; %bb.37:
	s_lshl_b32 s4, s10, 2
	v_lshlrev_b32_e32 v10, 3, v14
	s_mul_i32 s5, s17, s4
	s_mul_hi_u32 s6, s16, s4
	s_mul_i32 s4, s16, s4
	s_add_i32 s5, s6, s5
	v_lshl_add_u32 v10, s10, 10, v10
	s_lshl_b64 s[4:5], s[4:5], 3
	v_add_co_u32 v8, vcc_lo, v8, s4
	v_add_co_ci_u32_e64 v9, null, s5, v9, vcc_lo
	global_load_dwordx2 v[8:9], v[8:9], off
	s_waitcnt vmcnt(0)
	ds_write_b64 v10, v[8:9]
.LBB104_38:
	s_or_b32 exec_lo, exec_lo, s11
.LBB104_39:
	v_lshlrev_b32_e32 v9, 8, v0
	s_mov_b32 s4, exec_lo
	s_waitcnt lgkmcnt(0)
	s_waitcnt_vscnt null, 0x0
	s_barrier
	buffer_gl0_inv
	v_cmpx_ge_u32_e64 v0, v1
	s_xor_b32 s4, exec_lo, s4
; %bb.40:
	v_lshlrev_b32_e32 v9, 8, v0
                                        ; implicit-def: $vgpr15
; %bb.41:
	s_or_saveexec_b32 s4, s4
	v_lshlrev_b32_e32 v8, 3, v1
	s_xor_b32 exec_lo, exec_lo, s4
	s_cbranch_execz .LBB104_43
; %bb.42:
	v_mul_u32_u24_e32 v10, 0xf8, v0
	v_lshl_add_u32 v15, v15, 3, v12
	v_add3_u32 v10, v12, v10, v8
	ds_read_b64 v[10:11], v10
	s_waitcnt lgkmcnt(0)
	ds_write_b64 v15, v[10:11]
.LBB104_43:
	s_or_b32 exec_lo, exec_lo, s4
	v_sub_nc_u32_e32 v10, v0, v1
	s_mov_b32 s4, exec_lo
	v_sub_nc_u32_e32 v11, 0, v10
	v_max_i32_e32 v11, v10, v11
	v_lshl_add_u32 v10, v1, 3, v9
	v_lshl_add_u32 v9, v1, 8, v12
	v_cmpx_gt_u32_e32 4, v11
	s_cbranch_execz .LBB104_45
; %bb.44:
	ds_read_b64 v[15:16], v10 offset:32
	s_waitcnt lgkmcnt(0)
	ds_write_b64 v9, v[15:16] offset:1024
.LBB104_45:
	s_or_b32 exec_lo, exec_lo, s4
	s_mov_b32 s4, exec_lo
	v_cmpx_gt_u32_e32 8, v11
	s_cbranch_execz .LBB104_47
; %bb.46:
	ds_read_b64 v[15:16], v10 offset:64
	s_waitcnt lgkmcnt(0)
	ds_write_b64 v9, v[15:16] offset:2048
.LBB104_47:
	s_or_b32 exec_lo, exec_lo, s4
	s_mov_b32 s4, exec_lo
	;; [unrolled: 9-line block ×5, first 2 shown]
	v_cmpx_gt_u32_e32 24, v11
	s_cbranch_execz .LBB104_55
; %bb.54:
	ds_read_b64 v[15:16], v10 offset:192
	s_waitcnt lgkmcnt(0)
	ds_write_b64 v13, v[15:16] offset:6144
.LBB104_55:
	s_or_b32 exec_lo, exec_lo, s4
	v_cmp_lt_u32_e32 vcc_lo, 27, v11
	v_add_nc_u32_e32 v15, 28, v1
                                        ; implicit-def: $vgpr11
	s_and_saveexec_b32 s4, vcc_lo
	s_xor_b32 s4, exec_lo, s4
; %bb.56:
	v_add_nc_u32_e32 v15, 28, v1
                                        ; implicit-def: $vgpr10
	v_lshlrev_b32_e32 v11, 8, v15
; %bb.57:
	s_andn2_saveexec_b32 s4, s4
	s_cbranch_execz .LBB104_59
; %bb.58:
	ds_read_b64 v[16:17], v10 offset:224
	v_lshlrev_b32_e32 v11, 8, v15
	v_add_nc_u32_e32 v1, v12, v11
	s_waitcnt lgkmcnt(0)
	ds_write_b64 v1, v[16:17]
.LBB104_59:
	s_or_b32 exec_lo, exec_lo, s4
	v_add_nc_u32_e32 v1, 0x2800, v8
	s_waitcnt lgkmcnt(0)
	s_barrier
	buffer_gl0_inv
	ds_read_b64 v[20:21], v13
	ds_read2_b64 v[16:19], v1 offset1:4
	v_lshlrev_b32_e32 v10, 3, v15
	ds_read_b64 v[24:25], v8 offset:10432
	ds_read_b64 v[26:27], v10 offset:10240
	s_waitcnt lgkmcnt(2)
	v_fma_f64 v[15:16], v[20:21], v[16:17], 0
	ds_read2st64_b64 v[20:23], v9 offset0:2 offset1:4
	s_waitcnt lgkmcnt(0)
	v_fma_f64 v[19:20], v[20:21], v[18:19], v[15:16]
	ds_read2_b64 v[15:18], v1 offset0:8 offset1:12
	s_waitcnt lgkmcnt(0)
	v_fma_f64 v[15:16], v[22:23], v[15:16], v[19:20]
	ds_read2st64_b64 v[19:22], v9 offset0:6 offset1:8
	s_waitcnt lgkmcnt(0)
	v_fma_f64 v[19:20], v[19:20], v[17:18], v[15:16]
	ds_read2_b64 v[15:18], v1 offset0:16 offset1:20
	v_add_nc_u32_e32 v1, v12, v11
	ds_read_b64 v[10:11], v1
	v_lshlrev_b32_e32 v1, 3, v14
	s_waitcnt lgkmcnt(1)
	v_fma_f64 v[15:16], v[21:22], v[15:16], v[19:20]
	ds_read2st64_b64 v[19:22], v9 offset0:10 offset1:12
	s_waitcnt lgkmcnt(0)
	v_fma_f64 v[8:9], v[19:20], v[17:18], v[15:16]
	v_fma_f64 v[8:9], v[21:22], v[24:25], v[8:9]
	;; [unrolled: 1-line block ×3, first 2 shown]
	ds_write_b64 v1, v[8:9] offset:8192
	s_waitcnt lgkmcnt(0)
	s_barrier
	buffer_gl0_inv
	s_and_saveexec_b32 s4, s0
	s_cbranch_execz .LBB104_65
; %bb.60:
	v_add_nc_u32_e32 v1, 0x2000, v12
	v_cmp_neq_f64_e32 vcc_lo, 0, v[2:3]
	s_mov_b32 s0, -1
	ds_read2_b64 v[8:11], v1 offset1:32
	s_waitcnt lgkmcnt(0)
	v_add_f64 v[8:9], v[8:9], 0
	v_add_f64 v[12:13], v[8:9], v[10:11]
	ds_read2_b64 v[8:11], v1 offset0:64 offset1:96
	s_waitcnt lgkmcnt(0)
	v_add_f64 v[8:9], v[12:13], v[8:9]
	v_add_f64 v[8:9], v[8:9], v[10:11]
	v_mul_f64 v[10:11], v[4:5], v[8:9]
	v_fma_f64 v[4:5], v[4:5], v[8:9], v[6:7]
	v_cndmask_b32_e32 v2, v11, v5, vcc_lo
	v_cndmask_b32_e32 v1, v10, v4, vcc_lo
	s_and_b32 vcc_lo, exec_lo, s20
	s_cbranch_vccz .LBB104_62
; %bb.61:
	v_mad_u64_u32 v[3:4], null, s2, v0, 0
	s_mov_b32 s0, 0
	v_mad_u64_u32 v[4:5], null, s3, v0, v[4:5]
	v_lshlrev_b64 v[3:4], 3, v[3:4]
	v_add_co_u32 v3, vcc_lo, s1, v3
	v_add_co_ci_u32_e64 v4, null, s29, v4, vcc_lo
	global_store_dwordx2 v[3:4], v[1:2], off
.LBB104_62:
	s_andn2_b32 vcc_lo, exec_lo, s0
	s_cbranch_vccnz .LBB104_65
; %bb.63:
	v_cmp_gt_i32_e32 vcc_lo, s28, v0
	s_and_b32 exec_lo, exec_lo, vcc_lo
	s_cbranch_execz .LBB104_65
; %bb.64:
	v_mad_u64_u32 v[3:4], null, s2, v0, 0
	v_mad_u64_u32 v[4:5], null, s3, v0, v[4:5]
	v_lshlrev_b64 v[3:4], 3, v[3:4]
	v_add_co_u32 v3, vcc_lo, s1, v3
	v_add_co_ci_u32_e64 v4, null, s29, v4, vcc_lo
	global_store_dwordx2 v[3:4], v[1:2], off
.LBB104_65:
	s_endpgm
	.section	.rodata,"a",@progbits
	.p2align	6, 0x0
	.amdhsa_kernel _ZL58rocblas_symv_kernel_lower_double_buffered_diagonal_genericILi32ELi4E24rocblas_internal_val_ptrIdEPKdPdEvbiT1_lT2_lllS6_lllS5_lT3_lllii
		.amdhsa_group_segment_fixed_size 10496
		.amdhsa_private_segment_fixed_size 0
		.amdhsa_kernarg_size 400
		.amdhsa_user_sgpr_count 6
		.amdhsa_user_sgpr_private_segment_buffer 1
		.amdhsa_user_sgpr_dispatch_ptr 0
		.amdhsa_user_sgpr_queue_ptr 0
		.amdhsa_user_sgpr_kernarg_segment_ptr 1
		.amdhsa_user_sgpr_dispatch_id 0
		.amdhsa_user_sgpr_flat_scratch_init 0
		.amdhsa_user_sgpr_private_segment_size 0
		.amdhsa_wavefront_size32 1
		.amdhsa_uses_dynamic_stack 0
		.amdhsa_system_sgpr_private_segment_wavefront_offset 0
		.amdhsa_system_sgpr_workgroup_id_x 1
		.amdhsa_system_sgpr_workgroup_id_y 0
		.amdhsa_system_sgpr_workgroup_id_z 1
		.amdhsa_system_sgpr_workgroup_info 0
		.amdhsa_system_vgpr_workitem_id 1
		.amdhsa_next_free_vgpr 65
		.amdhsa_next_free_sgpr 32
		.amdhsa_reserve_vcc 1
		.amdhsa_reserve_flat_scratch 0
		.amdhsa_float_round_mode_32 0
		.amdhsa_float_round_mode_16_64 0
		.amdhsa_float_denorm_mode_32 3
		.amdhsa_float_denorm_mode_16_64 3
		.amdhsa_dx10_clamp 1
		.amdhsa_ieee_mode 1
		.amdhsa_fp16_overflow 0
		.amdhsa_workgroup_processor_mode 1
		.amdhsa_memory_ordered 1
		.amdhsa_forward_progress 1
		.amdhsa_shared_vgpr_count 0
		.amdhsa_exception_fp_ieee_invalid_op 0
		.amdhsa_exception_fp_denorm_src 0
		.amdhsa_exception_fp_ieee_div_zero 0
		.amdhsa_exception_fp_ieee_overflow 0
		.amdhsa_exception_fp_ieee_underflow 0
		.amdhsa_exception_fp_ieee_inexact 0
		.amdhsa_exception_int_div_zero 0
	.end_amdhsa_kernel
	.section	.text._ZL58rocblas_symv_kernel_lower_double_buffered_diagonal_genericILi32ELi4E24rocblas_internal_val_ptrIdEPKdPdEvbiT1_lT2_lllS6_lllS5_lT3_lllii,"axG",@progbits,_ZL58rocblas_symv_kernel_lower_double_buffered_diagonal_genericILi32ELi4E24rocblas_internal_val_ptrIdEPKdPdEvbiT1_lT2_lllS6_lllS5_lT3_lllii,comdat
.Lfunc_end104:
	.size	_ZL58rocblas_symv_kernel_lower_double_buffered_diagonal_genericILi32ELi4E24rocblas_internal_val_ptrIdEPKdPdEvbiT1_lT2_lllS6_lllS5_lT3_lllii, .Lfunc_end104-_ZL58rocblas_symv_kernel_lower_double_buffered_diagonal_genericILi32ELi4E24rocblas_internal_val_ptrIdEPKdPdEvbiT1_lT2_lllS6_lllS5_lT3_lllii
                                        ; -- End function
	.set _ZL58rocblas_symv_kernel_lower_double_buffered_diagonal_genericILi32ELi4E24rocblas_internal_val_ptrIdEPKdPdEvbiT1_lT2_lllS6_lllS5_lT3_lllii.num_vgpr, 32
	.set _ZL58rocblas_symv_kernel_lower_double_buffered_diagonal_genericILi32ELi4E24rocblas_internal_val_ptrIdEPKdPdEvbiT1_lT2_lllS6_lllS5_lT3_lllii.num_agpr, 0
	.set _ZL58rocblas_symv_kernel_lower_double_buffered_diagonal_genericILi32ELi4E24rocblas_internal_val_ptrIdEPKdPdEvbiT1_lT2_lllS6_lllS5_lT3_lllii.numbered_sgpr, 32
	.set _ZL58rocblas_symv_kernel_lower_double_buffered_diagonal_genericILi32ELi4E24rocblas_internal_val_ptrIdEPKdPdEvbiT1_lT2_lllS6_lllS5_lT3_lllii.num_named_barrier, 0
	.set _ZL58rocblas_symv_kernel_lower_double_buffered_diagonal_genericILi32ELi4E24rocblas_internal_val_ptrIdEPKdPdEvbiT1_lT2_lllS6_lllS5_lT3_lllii.private_seg_size, 0
	.set _ZL58rocblas_symv_kernel_lower_double_buffered_diagonal_genericILi32ELi4E24rocblas_internal_val_ptrIdEPKdPdEvbiT1_lT2_lllS6_lllS5_lT3_lllii.uses_vcc, 1
	.set _ZL58rocblas_symv_kernel_lower_double_buffered_diagonal_genericILi32ELi4E24rocblas_internal_val_ptrIdEPKdPdEvbiT1_lT2_lllS6_lllS5_lT3_lllii.uses_flat_scratch, 0
	.set _ZL58rocblas_symv_kernel_lower_double_buffered_diagonal_genericILi32ELi4E24rocblas_internal_val_ptrIdEPKdPdEvbiT1_lT2_lllS6_lllS5_lT3_lllii.has_dyn_sized_stack, 0
	.set _ZL58rocblas_symv_kernel_lower_double_buffered_diagonal_genericILi32ELi4E24rocblas_internal_val_ptrIdEPKdPdEvbiT1_lT2_lllS6_lllS5_lT3_lllii.has_recursion, 0
	.set _ZL58rocblas_symv_kernel_lower_double_buffered_diagonal_genericILi32ELi4E24rocblas_internal_val_ptrIdEPKdPdEvbiT1_lT2_lllS6_lllS5_lT3_lllii.has_indirect_call, 0
	.section	.AMDGPU.csdata,"",@progbits
; Kernel info:
; codeLenInByte = 2636
; TotalNumSgprs: 34
; NumVgprs: 32
; ScratchSize: 0
; MemoryBound: 0
; FloatMode: 240
; IeeeMode: 1
; LDSByteSize: 10496 bytes/workgroup (compile time only)
; SGPRBlocks: 0
; VGPRBlocks: 8
; NumSGPRsForWavesPerEU: 34
; NumVGPRsForWavesPerEU: 65
; Occupancy: 12
; WaveLimiterHint : 0
; COMPUTE_PGM_RSRC2:SCRATCH_EN: 0
; COMPUTE_PGM_RSRC2:USER_SGPR: 6
; COMPUTE_PGM_RSRC2:TRAP_HANDLER: 0
; COMPUTE_PGM_RSRC2:TGID_X_EN: 1
; COMPUTE_PGM_RSRC2:TGID_Y_EN: 0
; COMPUTE_PGM_RSRC2:TGID_Z_EN: 1
; COMPUTE_PGM_RSRC2:TIDIG_COMP_CNT: 1
	.section	.text._ZL62rocblas_symv_kernel_lower_double_buffered_non_diagonal_genericILi32ELi4ELi4E24rocblas_internal_val_ptrIdEPKdPdEvbiT2_lT3_lllS6_lllT4_lllii,"axG",@progbits,_ZL62rocblas_symv_kernel_lower_double_buffered_non_diagonal_genericILi32ELi4ELi4E24rocblas_internal_val_ptrIdEPKdPdEvbiT2_lT3_lllS6_lllT4_lllii,comdat
	.globl	_ZL62rocblas_symv_kernel_lower_double_buffered_non_diagonal_genericILi32ELi4ELi4E24rocblas_internal_val_ptrIdEPKdPdEvbiT2_lT3_lllS6_lllT4_lllii ; -- Begin function _ZL62rocblas_symv_kernel_lower_double_buffered_non_diagonal_genericILi32ELi4ELi4E24rocblas_internal_val_ptrIdEPKdPdEvbiT2_lT3_lllS6_lllT4_lllii
	.p2align	8
	.type	_ZL62rocblas_symv_kernel_lower_double_buffered_non_diagonal_genericILi32ELi4ELi4E24rocblas_internal_val_ptrIdEPKdPdEvbiT2_lT3_lllS6_lllT4_lllii,@function
_ZL62rocblas_symv_kernel_lower_double_buffered_non_diagonal_genericILi32ELi4ELi4E24rocblas_internal_val_ptrIdEPKdPdEvbiT2_lT3_lllS6_lllT4_lllii: ; @_ZL62rocblas_symv_kernel_lower_double_buffered_non_diagonal_genericILi32ELi4ELi4E24rocblas_internal_val_ptrIdEPKdPdEvbiT2_lT3_lllS6_lllT4_lllii
; %bb.0:
	s_clause 0x1
	s_load_dword s0, s[4:5], 0x0
	s_load_dwordx16 s[12:27], s[4:5], 0x8
	s_waitcnt lgkmcnt(0)
	s_bitcmp1_b32 s0, 0
	v_mov_b32_e32 v5, s12
	v_mov_b32_e32 v6, s13
	s_cselect_b32 s0, -1, 0
	s_and_b32 vcc_lo, exec_lo, s0
	s_cbranch_vccnz .LBB105_2
; %bb.1:
	s_mul_i32 s0, s15, s8
	s_mul_hi_u32 s1, s14, s8
	s_add_i32 s1, s1, s0
	s_mul_i32 s0, s14, s8
	s_lshl_b64 s[0:1], s[0:1], 3
	s_add_u32 s0, s12, s0
	s_addc_u32 s1, s13, s1
	v_mov_b32_e32 v3, s1
	v_mov_b32_e32 v2, s0
	flat_load_dwordx2 v[5:6], v[2:3]
.LBB105_2:
	s_mov_b32 s0, exec_lo
	s_waitcnt vmcnt(0) lgkmcnt(0)
	v_cmpx_neq_f64_e32 0, v[5:6]
	s_cbranch_execz .LBB105_41
; %bb.3:
	s_load_dwordx2 s[10:11], s[4:5], 0x80
	s_waitcnt lgkmcnt(0)
	v_cvt_f32_u32_e32 v2, s11
	s_add_i32 s2, s10, -1
	s_cmp_eq_u32 s6, s2
	v_rcp_iflag_f32_e32 v2, v2
	v_mul_f32_e32 v2, 0x4f7ffffe, v2
	v_cvt_u32_f32_e32 v2, v2
	v_readfirstlane_b32 s0, v2
	s_cbranch_scc1 .LBB105_41
; %bb.4:
	s_load_dwordx4 s[28:31], s[4:5], 0x48
	s_not_b32 s1, s6
	s_sub_i32 s3, 0, s11
	s_add_i32 s2, s2, s1
	s_mul_i32 s3, s3, s0
	s_waitcnt lgkmcnt(0)
	s_mul_i32 s1, s31, s8
	s_mul_hi_u32 s9, s30, s8
	s_mul_i32 s12, s30, s8
	s_add_i32 s13, s9, s1
	s_mul_hi_u32 s1, s0, s3
	s_lshl_b64 s[12:13], s[12:13], 3
	s_add_i32 s3, s0, s1
	s_add_u32 s9, s24, s12
	s_addc_u32 s12, s25, s13
	s_lshl_b64 s[0:1], s[26:27], 3
	s_mul_hi_u32 s3, s2, s3
	s_add_u32 s14, s9, s0
	s_addc_u32 s15, s12, s1
	s_lshl_b32 s1, s6, 5
	s_ashr_i32 s9, s1, 31
	s_mul_hi_u32 s0, s28, s1
	s_mul_i32 s12, s28, s9
	s_mul_i32 s13, s29, s1
	s_add_i32 s0, s0, s12
	s_mul_i32 s12, s28, s1
	s_add_i32 s13, s0, s13
	v_cmp_eq_u32_e64 s0, 0, v1
	s_lshl_b64 s[12:13], s[12:13], 3
	s_add_u32 s12, s14, s12
	s_addc_u32 s13, s15, s13
	s_and_saveexec_b32 s14, s0
	s_cbranch_execz .LBB105_6
; %bb.5:
	v_mad_u64_u32 v[2:3], null, s28, v0, 0
	v_mad_u64_u32 v[3:4], null, s29, v0, v[3:4]
	v_lshlrev_b32_e32 v4, 3, v0
	v_lshlrev_b64 v[2:3], 3, v[2:3]
	v_add_co_u32 v2, vcc_lo, s12, v2
	v_add_co_ci_u32_e64 v3, null, s13, v3, vcc_lo
	global_load_dwordx2 v[2:3], v[2:3], off
	s_waitcnt vmcnt(0)
	ds_write_b64 v4, v[2:3] offset:6144
.LBB105_6:
	s_or_b32 exec_lo, exec_lo, s14
	s_mul_i32 s14, s3, s11
	s_add_i32 s15, s3, 1
	s_sub_i32 s14, s2, s14
	s_sub_i32 s24, s14, s11
	s_cmp_ge_u32 s14, s11
	s_cselect_b32 s3, s15, s3
	s_cselect_b32 s14, s24, s14
	s_add_i32 s15, s3, 1
	s_cmp_ge_u32 s14, s11
	s_cselect_b32 s3, s15, s3
	s_add_i32 s14, s11, -1
	s_mov_b32 s24, s3
	s_cmp_eq_u32 s7, s14
	s_cselect_b32 s27, -1, 0
	s_cmp_lg_u32 s7, s14
	s_cbranch_scc1 .LBB105_8
; %bb.7:
	s_mul_i32 s11, s3, s11
	s_sub_i32 s2, s2, s11
	s_add_i32 s24, s2, s3
.LBB105_8:
	s_cmp_lg_u32 s7, s14
	s_cselect_b32 s2, -1, 0
	s_cmp_eq_u32 s24, 0
	s_cselect_b32 s11, -1, 0
	s_and_b32 s2, s2, s11
	s_and_b32 vcc_lo, exec_lo, s2
	s_cbranch_vccnz .LBB105_41
; %bb.9:
	v_lshl_add_u32 v1, v1, 5, v0
	s_mul_i32 s2, s23, s8
	s_mul_hi_u32 s11, s22, s8
	s_mul_i32 s7, s7, s3
	s_add_i32 s3, s11, s2
	v_lshrrev_b32_e32 v72, 4, v1
	s_mul_i32 s2, s22, s8
	s_lshl_b32 s22, s7, 5
	s_lshl_b64 s[2:3], s[2:3], 3
	s_ashr_i32 s23, s22, 31
	v_and_b32_e32 v7, 15, v0
	v_lshlrev_b32_e32 v73, 2, v72
	v_mov_b32_e32 v8, 0
	s_add_u32 s7, s16, s2
	s_addc_u32 s11, s17, s3
	s_lshl_b64 s[2:3], s[18:19], 3
	s_load_dwordx2 s[18:19], s[4:5], 0x58
	s_add_u32 s7, s7, s2
	s_addc_u32 s11, s11, s3
	v_mad_u64_u32 v[8:9], null, s20, v73, v[7:8]
	s_add_u32 s2, s20, 1
	s_addc_u32 s15, s21, 0
	s_mul_i32 s3, s2, s9
	s_mul_hi_u32 s14, s2, s1
	s_mul_i32 s15, s15, s1
	s_add_i32 s3, s14, s3
	s_mul_i32 s2, s2, s1
	s_add_i32 s3, s3, s15
	v_mov_b32_e32 v1, v9
	s_lshl_b64 s[2:3], s[2:3], 3
	s_mul_hi_u32 s14, s28, s22
	s_add_u32 s7, s7, s2
	s_addc_u32 s11, s11, s3
	s_lshl_b64 s[2:3], s[22:23], 3
	v_mad_u64_u32 v[1:2], null, s21, v73, v[1:2]
	s_add_u32 s2, s7, s2
	s_mul_i32 s7, s28, s23
	s_addc_u32 s3, s11, s3
	s_add_i32 s7, s14, s7
	s_mul_i32 s11, s29, s22
	s_mul_i32 s14, s28, s22
	s_add_i32 s15, s7, s11
	v_mov_b32_e32 v9, v1
	s_lshl_b64 s[14:15], s[14:15], 3
	v_mov_b32_e32 v1, 0
	v_mov_b32_e32 v24, 0
	;; [unrolled: 1-line block ×6, first 2 shown]
	s_add_u32 s16, s12, s14
	v_mov_b32_e32 v2, 0
	v_mov_b32_e32 v25, 0
	;; [unrolled: 1-line block ×6, first 2 shown]
	s_addc_u32 s17, s13, s15
	s_add_i32 s7, s10, -2
	s_lshl_b64 s[10:11], s[28:29], 5
	s_cmp_ge_u32 s6, s7
	s_waitcnt lgkmcnt(0)
	s_barrier
	buffer_gl0_inv
	s_cbranch_scc1 .LBB105_11
; %bb.10:
	v_lshlrev_b64 v[3:4], 3, v[8:9]
	v_mad_u64_u32 v[10:11], null, s28, v7, 0
	s_lshl_b64 s[6:7], s[10:11], 3
	s_add_u32 s14, s16, s6
	v_add_co_u32 v3, vcc_lo, s2, v3
	v_add_co_ci_u32_e64 v4, null, s3, v4, vcc_lo
	s_addc_u32 s15, s17, s7
	s_lshl_b64 s[6:7], s[20:21], 3
	s_lshl_b64 s[12:13], s[20:21], 4
	v_mad_u64_u32 v[12:13], null, s20, 24, v[3:4]
	v_mad_u64_u32 v[14:15], null, s29, v7, v[11:12]
	v_mov_b32_e32 v11, v14
	v_mad_u64_u32 v[13:14], null, s21, 24, v[13:14]
	v_add_co_u32 v14, vcc_lo, v3, s6
	v_lshlrev_b64 v[10:11], 3, v[10:11]
	v_add_co_ci_u32_e64 v15, null, s7, v4, vcc_lo
	v_add_co_u32 v20, vcc_lo, v3, s12
	v_add_co_ci_u32_e64 v21, null, s13, v4, vcc_lo
	v_add_co_u32 v10, vcc_lo, s14, v10
	v_add_co_ci_u32_e64 v11, null, s15, v11, vcc_lo
	s_clause 0x3
	global_load_dwordx2 v[16:17], v[3:4], off offset:256
	global_load_dwordx2 v[18:19], v[14:15], off offset:256
	global_load_dwordx2 v[20:21], v[20:21], off offset:256
	global_load_dwordx2 v[22:23], v[12:13], off offset:256
	global_load_dwordx2 v[24:25], v[10:11], off
.LBB105_11:
	s_clause 0x1
	s_load_dwordx2 s[6:7], s[4:5], 0x70
	s_load_dwordx4 s[12:15], s[4:5], 0x60
	v_or_b32_e32 v74, 16, v7
	s_waitcnt lgkmcnt(0)
	s_mul_i32 s7, s7, s8
	s_mul_hi_u32 s25, s6, s8
	s_mul_i32 s6, s6, s8
	s_add_i32 s7, s25, s7
	s_mul_i32 s9, s14, s9
	s_lshl_b64 s[6:7], s[6:7], 3
	s_mul_hi_u32 s25, s14, s1
	s_add_u32 s18, s18, s6
	s_addc_u32 s19, s19, s7
	s_lshl_b64 s[6:7], s[12:13], 3
	s_mul_i32 s26, s15, s1
	s_mul_i32 s8, s14, s1
	s_add_u32 s1, s18, s6
	s_addc_u32 s12, s19, s7
	s_add_i32 s6, s25, s9
	s_mul_i32 s13, s14, s23
	s_add_i32 s9, s6, s26
	s_mul_hi_u32 s18, s14, s22
	s_lshl_b64 s[6:7], s[8:9], 3
	s_mul_i32 s8, s15, s22
	s_add_u32 s1, s1, s6
	s_addc_u32 s26, s12, s7
	s_add_i32 s7, s18, s13
	s_mul_i32 s6, s14, s22
	s_add_i32 s7, s7, s8
	s_lshl_b64 s[6:7], s[6:7], 3
	s_add_u32 s8, s1, s6
	s_addc_u32 s9, s26, s7
	s_cmp_lt_i32 s24, 1
	s_cbranch_scc1 .LBB105_20
; %bb.12:
	v_mad_u64_u32 v[1:2], null, s28, v74, 0
	v_mad_u64_u32 v[3:4], null, s14, v0, 0
	v_lshl_add_u32 v77, v73, 3, 0x1800
	v_lshl_or_b32 v75, v0, 3, 0x1000
	s_lshl_b64 s[6:7], s[14:15], 8
	s_cmp_lg_u32 s24, 1
	v_mad_u64_u32 v[10:11], null, s29, v74, v[2:3]
	v_mad_u64_u32 v[11:12], null, s15, v0, v[4:5]
	v_lshl_or_b32 v12, v7, 3, 0x1000
	v_mov_b32_e32 v2, v10
	v_lshlrev_b32_e32 v10, 8, v72
	v_mov_b32_e32 v4, v11
	v_lshlrev_b64 v[26:27], 3, v[1:2]
	v_add_nc_u32_e32 v76, v12, v10
	v_lshlrev_b64 v[14:15], 3, v[3:4]
	s_cbranch_scc0 .LBB105_21
; %bb.13:
	v_mad_u64_u32 v[1:2], null, s28, v7, 0
	v_mov_b32_e32 v28, 0
	v_mov_b32_e32 v11, s9
	v_lshlrev_b64 v[44:45], 3, v[8:9]
	s_waitcnt vmcnt(0)
	v_mov_b32_e32 v49, v25
	v_mov_b32_e32 v30, 0
	;; [unrolled: 1-line block ×3, first 2 shown]
	v_mad_u64_u32 v[2:3], null, s29, v7, v[2:3]
	v_mov_b32_e32 v34, 0
	v_mov_b32_e32 v51, v17
	;; [unrolled: 1-line block ×5, first 2 shown]
	s_lshl_b64 s[12:13], s[20:21], 4
	v_lshlrev_b64 v[46:47], 3, v[1:2]
	v_mov_b32_e32 v29, 0
	v_mov_b32_e32 v10, s8
	;; [unrolled: 1-line block ×10, first 2 shown]
	s_add_i32 s30, s24, -2
	s_lshl_b64 s[18:19], s[20:21], 3
	s_sub_u32 s33, 0, s12
	s_mov_b32 s31, 0
	s_subb_u32 s34, 0, s13
	s_lshl_b64 s[24:25], s[10:11], 3
	s_mov_b64 s[12:13], s[2:3]
	s_mov_b64 s[22:23], s[16:17]
.LBB105_14:                             ; =>This Loop Header: Depth=1
                                        ;     Child Loop BB105_16 Depth 2
	v_add_co_u32 v1, vcc_lo, s12, v44
	v_add_co_ci_u32_e64 v2, null, s13, v45, vcc_lo
	s_add_u32 s22, s22, s24
	v_add_co_u32 v3, vcc_lo, v1, s18
	global_load_dwordx2 v[58:59], v[1:2], off offset:384
	v_add_co_ci_u32_e64 v4, null, s19, v2, vcc_lo
	s_addc_u32 s23, s23, s25
	s_add_u32 s35, s22, s24
	s_addc_u32 s36, s23, s25
	global_load_dwordx2 v[60:61], v[3:4], off offset:384
	v_add_co_u32 v3, vcc_lo, v3, s18
	v_add_co_ci_u32_e64 v4, null, s19, v4, vcc_lo
	global_load_dwordx2 v[62:63], v[3:4], off offset:384
	v_add_co_u32 v3, vcc_lo, v3, s18
	v_add_co_ci_u32_e64 v4, null, s19, v4, vcc_lo
	v_add_co_u32 v12, vcc_lo, s22, v26
	v_add_co_ci_u32_e64 v13, null, s23, v27, vcc_lo
	global_load_dwordx2 v[64:65], v[3:4], off offset:384
	v_add_co_u32 v3, vcc_lo, v3, s33
	v_add_co_ci_u32_e64 v4, null, s34, v4, vcc_lo
	v_add_co_u32 v36, vcc_lo, s35, v46
	v_add_co_ci_u32_e64 v37, null, s36, v47, vcc_lo
	;; [unrolled: 2-line block ×3, first 2 shown]
	global_load_dwordx2 v[66:67], v[12:13], off
	v_add_co_u32 v42, vcc_lo, v40, s18
	v_add_co_ci_u32_e64 v43, null, s19, v41, vcc_lo
	global_load_dwordx2 v[12:13], v[36:37], off
	s_clause 0x3
	global_load_dwordx2 v[36:37], v[1:2], off offset:512
	global_load_dwordx2 v[38:39], v[3:4], off offset:512
	;; [unrolled: 1-line block ×4, first 2 shown]
	ds_read_b128 v[1:4], v77
	ds_read_b128 v[68:71], v77 offset:16
	s_waitcnt vmcnt(0) lgkmcnt(0)
	s_barrier
	buffer_gl0_inv
	v_fma_f64 v[78:79], v[50:51], v[1:2], 0
	v_fma_f64 v[78:79], v[52:53], v[3:4], v[78:79]
	;; [unrolled: 1-line block ×8, first 2 shown]
	ds_write2_b64 v76, v[3:4], v[1:2] offset1:16
	s_waitcnt lgkmcnt(0)
	s_barrier
	buffer_gl0_inv
	s_and_saveexec_b32 s35, s0
	s_cbranch_execz .LBB105_18
; %bb.15:                               ;   in Loop: Header=BB105_14 Depth=1
	v_add_co_u32 v10, vcc_lo, v10, s6
	v_add_co_ci_u32_e64 v11, null, s7, v11, vcc_lo
	ds_read2_b64 v[78:81], v75 offset1:32
	v_add_co_u32 v68, vcc_lo, v10, v14
	v_add_co_ci_u32_e64 v69, null, v11, v15, vcc_lo
	s_mov_b32 s36, 0
	global_load_dwordx2 v[3:4], v[68:69], off
	s_waitcnt lgkmcnt(0)
	v_add_f64 v[1:2], v[78:79], 0
	v_add_f64 v[1:2], v[1:2], v[80:81]
	ds_read2_b64 v[78:81], v75 offset0:64 offset1:96
	s_waitcnt lgkmcnt(0)
	v_add_f64 v[1:2], v[1:2], v[78:79]
	v_add_f64 v[1:2], v[1:2], v[80:81]
	ds_read2_b64 v[78:81], v75 offset0:128 offset1:160
	;; [unrolled: 4-line block ×3, first 2 shown]
	s_waitcnt lgkmcnt(0)
	v_add_f64 v[1:2], v[1:2], v[78:79]
	v_add_f64 v[1:2], v[1:2], v[80:81]
	v_mul_f64 v[70:71], v[5:6], v[1:2]
.LBB105_16:                             ;   Parent Loop BB105_14 Depth=1
                                        ; =>  This Inner Loop Header: Depth=2
	s_waitcnt vmcnt(0)
	v_add_f64 v[1:2], v[3:4], v[70:71]
	global_atomic_cmpswap_x2 v[1:2], v[68:69], v[1:4], off glc
	s_waitcnt vmcnt(0)
	v_cmp_eq_u64_e32 vcc_lo, v[1:2], v[3:4]
	v_mov_b32_e32 v4, v2
	v_mov_b32_e32 v3, v1
	s_or_b32 s36, vcc_lo, s36
	s_andn2_b32 exec_lo, exec_lo, s36
	s_cbranch_execnz .LBB105_16
; %bb.17:                               ;   in Loop: Header=BB105_14 Depth=1
	s_or_b32 exec_lo, exec_lo, s36
.LBB105_18:                             ;   in Loop: Header=BB105_14 Depth=1
	s_or_b32 exec_lo, exec_lo, s35
	v_fma_f64 v[1:2], v[48:49], v[50:51], v[28:29]
	v_fma_f64 v[3:4], v[48:49], v[52:53], v[30:31]
	;; [unrolled: 1-line block ×4, first 2 shown]
	s_add_u32 s12, s12, 0x100
	s_addc_u32 s13, s13, 0
	s_add_i32 s35, s31, 1
	s_cmp_eq_u32 s31, s30
	v_fma_f64 v[28:29], v[66:67], v[58:59], v[1:2]
	v_fma_f64 v[30:31], v[66:67], v[60:61], v[3:4]
	;; [unrolled: 1-line block ×4, first 2 shown]
	s_cbranch_scc1 .LBB105_22
; %bb.19:                               ;   in Loop: Header=BB105_14 Depth=1
	v_mov_b32_e32 v49, v13
	v_mov_b32_e32 v51, v37
	;; [unrolled: 1-line block ×10, first 2 shown]
	s_mov_b32 s31, s35
	s_branch .LBB105_14
.LBB105_20:
	v_mov_b32_e32 v11, s9
	v_mov_b32_e32 v3, 0
	;; [unrolled: 1-line block ×3, first 2 shown]
	s_waitcnt vmcnt(3)
	v_mov_b32_e32 v18, 0
	v_mov_b32_e32 v16, 0
	s_waitcnt vmcnt(0)
	v_mov_b32_e32 v12, v24
	v_mov_b32_e32 v10, s8
	v_mov_b32_e32 v4, 0
	v_mov_b32_e32 v15, 0
	v_mov_b32_e32 v19, 0
	v_mov_b32_e32 v17, 0
	v_mov_b32_e32 v13, v25
	s_and_b32 vcc_lo, exec_lo, s27
	s_cbranch_vccnz .LBB105_30
	s_branch .LBB105_38
.LBB105_21:
	s_mov_b32 s24, -1
                                        ; implicit-def: $vgpr42_vgpr43
                                        ; implicit-def: $vgpr40_vgpr41
                                        ; implicit-def: $vgpr38_vgpr39
                                        ; implicit-def: $vgpr36_vgpr37
                                        ; implicit-def: $vgpr34_vgpr35
                                        ; implicit-def: $vgpr32_vgpr33
                                        ; implicit-def: $vgpr30_vgpr31
                                        ; implicit-def: $vgpr28_vgpr29
                                        ; implicit-def: $sgpr22_sgpr23
                                        ; implicit-def: $vgpr10_vgpr11
                                        ; implicit-def: $vgpr12_vgpr13
                                        ; implicit-def: $sgpr12_sgpr13
                                        ; implicit-def: $sgpr18_sgpr19
	s_branch .LBB105_23
.LBB105_22:
	s_mov_b32 s24, 0
.LBB105_23:
	s_and_b32 vcc_lo, exec_lo, s24
	s_cbranch_vccz .LBB105_25
; %bb.24:
	v_mov_b32_e32 v28, 0
	v_mov_b32_e32 v11, s9
	s_waitcnt vmcnt(0)
	v_mov_b32_e32 v12, v24
	v_mov_b32_e32 v30, 0
	;; [unrolled: 1-line block ×18, first 2 shown]
	s_lshl_b64 s[18:19], s[20:21], 3
	s_mov_b64 s[12:13], s[2:3]
	s_mov_b64 s[22:23], s[16:17]
.LBB105_25:
	v_lshlrev_b64 v[1:2], 3, v[8:9]
	s_lshl_b64 s[2:3], s[10:11], 3
	v_fma_f64 v[32:33], v[12:13], v[40:41], v[32:33]
	s_add_u32 s16, s22, s2
	s_addc_u32 s17, s23, s3
	s_sub_u32 s2, 0, s18
	v_add_co_u32 v1, vcc_lo, s12, v1
	v_add_co_ci_u32_e64 v2, null, s13, v2, vcc_lo
	s_subb_u32 s3, 0, s19
	v_fma_f64 v[30:31], v[12:13], v[38:39], v[30:31]
	v_fma_f64 v[28:29], v[12:13], v[36:37], v[28:29]
	v_mad_u64_u32 v[3:4], null, s20, 24, v[1:2]
	s_waitcnt vmcnt(4)
	v_mad_u64_u32 v[16:17], null, s21, 24, v[4:5]
	s_waitcnt vmcnt(1)
	v_add_co_u32 v22, vcc_lo, v3, s2
	v_add_co_ci_u32_e64 v23, null, s3, v16, vcc_lo
	v_add_co_u32 v17, vcc_lo, v22, s2
	v_mov_b32_e32 v4, v16
	v_add_co_ci_u32_e64 v18, null, s3, v23, vcc_lo
	s_add_u32 s2, s12, 0x100
	s_addc_u32 s3, s13, 0
	s_clause 0x3
	global_load_dwordx2 v[20:21], v[17:18], off offset:384
	global_load_dwordx2 v[18:19], v[1:2], off offset:384
	;; [unrolled: 1-line block ×4, first 2 shown]
	v_add_co_u32 v1, vcc_lo, s16, v26
	v_add_co_ci_u32_e64 v2, null, s17, v27, vcc_lo
	global_load_dwordx2 v[16:17], v[1:2], off
	ds_read_b128 v[1:4], v77
	ds_read_b128 v[44:47], v77 offset:16
	s_waitcnt vmcnt(0) lgkmcnt(0)
	s_barrier
	buffer_gl0_inv
	v_fma_f64 v[26:27], v[36:37], v[1:2], 0
	v_fma_f64 v[26:27], v[38:39], v[3:4], v[26:27]
	;; [unrolled: 1-line block ×9, first 2 shown]
	ds_write2_b64 v76, v[3:4], v[1:2] offset1:16
	s_waitcnt lgkmcnt(0)
	s_barrier
	buffer_gl0_inv
	s_and_saveexec_b32 s8, s0
	s_cbranch_execz .LBB105_29
; %bb.26:
	v_add_co_u32 v10, vcc_lo, v10, s6
	v_add_co_ci_u32_e64 v11, null, s7, v11, vcc_lo
	ds_read2_b64 v[34:37], v75 offset1:32
	v_add_co_u32 v14, vcc_lo, v10, v14
	v_add_co_ci_u32_e64 v15, null, v11, v15, vcc_lo
	s_mov_b32 s6, 0
	global_load_dwordx2 v[3:4], v[14:15], off
	s_waitcnt lgkmcnt(0)
	v_add_f64 v[1:2], v[34:35], 0
	v_add_f64 v[1:2], v[1:2], v[36:37]
	ds_read2_b64 v[34:37], v75 offset0:64 offset1:96
	s_waitcnt lgkmcnt(0)
	v_add_f64 v[1:2], v[1:2], v[34:35]
	v_add_f64 v[1:2], v[1:2], v[36:37]
	ds_read2_b64 v[34:37], v75 offset0:128 offset1:160
	;; [unrolled: 4-line block ×3, first 2 shown]
	s_waitcnt lgkmcnt(0)
	v_add_f64 v[1:2], v[1:2], v[34:35]
	v_add_f64 v[1:2], v[1:2], v[36:37]
	v_mul_f64 v[34:35], v[5:6], v[1:2]
.LBB105_27:                             ; =>This Inner Loop Header: Depth=1
	s_waitcnt vmcnt(0)
	v_add_f64 v[1:2], v[3:4], v[34:35]
	global_atomic_cmpswap_x2 v[1:2], v[14:15], v[1:4], off glc
	s_waitcnt vmcnt(0)
	v_cmp_eq_u64_e32 vcc_lo, v[1:2], v[3:4]
	v_mov_b32_e32 v4, v2
	v_mov_b32_e32 v3, v1
	s_or_b32 s6, vcc_lo, s6
	s_andn2_b32 exec_lo, exec_lo, s6
	s_cbranch_execnz .LBB105_27
; %bb.28:
	s_or_b32 exec_lo, exec_lo, s6
.LBB105_29:
	s_or_b32 exec_lo, exec_lo, s8
	v_fma_f64 v[18:19], v[16:17], v[18:19], v[28:29]
	v_fma_f64 v[14:15], v[16:17], v[20:21], v[30:31]
	;; [unrolled: 1-line block ×4, first 2 shown]
	s_and_b32 vcc_lo, exec_lo, s27
	s_cbranch_vccz .LBB105_38
.LBB105_30:
	s_load_dword s4, s[4:5], 0x78
	v_mov_b32_e32 v20, 0
	v_mov_b32_e32 v28, 0
	;; [unrolled: 1-line block ×5, first 2 shown]
	s_lshl_b64 s[6:7], s[10:11], 3
	v_mov_b32_e32 v21, 0
	v_mov_b32_e32 v29, 0
	;; [unrolled: 1-line block ×5, first 2 shown]
	s_add_u32 s5, s16, s6
	s_addc_u32 s6, s17, s7
	s_mov_b32 s7, exec_lo
	s_waitcnt lgkmcnt(0)
	v_cmpx_gt_i32_e64 s4, v7
	s_cbranch_execz .LBB105_32
; %bb.31:
	v_lshlrev_b64 v[12:13], 3, v[8:9]
	v_mad_u64_u32 v[22:23], null, s28, v7, 0
	s_lshl_b64 s[8:9], s[20:21], 3
	s_lshl_b64 s[10:11], s[20:21], 4
	v_add_co_u32 v12, vcc_lo, s2, v12
	v_add_co_ci_u32_e64 v13, null, s3, v13, vcc_lo
	v_mad_u64_u32 v[24:25], null, s20, 24, v[12:13]
	v_mad_u64_u32 v[26:27], null, s29, v7, v[23:24]
	v_mov_b32_e32 v23, v26
	v_mad_u64_u32 v[25:26], null, s21, 24, v[25:26]
	v_add_co_u32 v26, vcc_lo, v12, s8
	v_lshlrev_b64 v[22:23], 3, v[22:23]
	v_add_co_ci_u32_e64 v27, null, s9, v13, vcc_lo
	v_add_co_u32 v32, vcc_lo, v12, s10
	v_add_co_ci_u32_e64 v33, null, s11, v13, vcc_lo
	v_add_co_u32 v22, vcc_lo, s5, v22
	v_add_co_ci_u32_e64 v23, null, s6, v23, vcc_lo
	s_clause 0x3
	global_load_dwordx2 v[28:29], v[12:13], off offset:256
	global_load_dwordx2 v[30:31], v[26:27], off offset:256
	;; [unrolled: 1-line block ×4, first 2 shown]
	global_load_dwordx2 v[12:13], v[22:23], off
.LBB105_32:
	s_or_b32 exec_lo, exec_lo, s7
	v_mov_b32_e32 v22, 0
	v_mov_b32_e32 v24, 0
	;; [unrolled: 1-line block ×6, first 2 shown]
	s_mov_b32 s7, exec_lo
	v_cmpx_gt_i32_e64 s4, v74
	s_cbranch_execz .LBB105_34
; %bb.33:
	v_lshlrev_b64 v[8:9], 3, v[8:9]
	v_mad_u64_u32 v[16:17], null, s28, v74, 0
	s_lshl_b64 s[8:9], s[20:21], 4
	v_add_co_u32 v8, vcc_lo, s2, v8
	v_add_co_ci_u32_e64 v9, null, s3, v9, vcc_lo
	v_mad_u64_u32 v[20:21], null, s29, v74, v[17:18]
	s_lshl_b64 s[2:3], s[20:21], 3
	v_mad_u64_u32 v[26:27], null, s20, 24, v[8:9]
	v_mov_b32_e32 v17, v20
	v_mov_b32_e32 v21, v27
	v_lshlrev_b64 v[16:17], 3, v[16:17]
	v_mad_u64_u32 v[20:21], null, s21, 24, v[21:22]
	v_add_co_u32 v22, vcc_lo, v8, s2
	v_add_co_ci_u32_e64 v23, null, s3, v9, vcc_lo
	v_add_co_u32 v24, vcc_lo, v8, s8
	v_add_co_ci_u32_e64 v25, null, s9, v9, vcc_lo
	v_add_co_u32 v16, vcc_lo, s5, v16
	v_mov_b32_e32 v27, v20
	v_add_co_ci_u32_e64 v17, null, s6, v17, vcc_lo
	s_clause 0x3
	global_load_dwordx2 v[20:21], v[8:9], off offset:384
	global_load_dwordx2 v[22:23], v[22:23], off offset:384
	;; [unrolled: 1-line block ×4, first 2 shown]
	global_load_dwordx2 v[16:17], v[16:17], off
.LBB105_34:
	s_or_b32 exec_lo, exec_lo, s7
	v_lshlrev_b32_e32 v8, 3, v73
	s_waitcnt vmcnt(0)
	v_fma_f64 v[14:15], v[12:13], v[30:31], v[14:15]
	v_cmp_gt_i32_e32 vcc_lo, s4, v0
	ds_read_b128 v[36:39], v8 offset:6144
	ds_read_b128 v[40:43], v8 offset:6160
	s_waitcnt lgkmcnt(0)
	s_and_b32 s3, s0, vcc_lo
	s_barrier
	buffer_gl0_inv
	v_fma_f64 v[8:9], v[20:21], v[36:37], 0
	v_fma_f64 v[36:37], v[28:29], v[36:37], 0
	;; [unrolled: 1-line block ×11, first 2 shown]
	v_lshlrev_b32_e32 v1, 3, v7
	v_lshl_or_b32 v1, v72, 8, v1
	v_add_nc_u32_e32 v1, 0x1000, v1
	ds_write2_b64 v1, v[36:37], v[38:39] offset1:16
	s_waitcnt lgkmcnt(0)
	s_barrier
	buffer_gl0_inv
	s_and_saveexec_b32 s2, s3
	s_cbranch_execz .LBB105_37
; %bb.35:
	v_mad_u64_u32 v[1:2], null, s14, v0, 0
	s_lshl_b64 s[4:5], s[14:15], 8
	s_mov_b32 s3, 0
	v_mad_u64_u32 v[2:3], null, s15, v0, v[2:3]
	v_add_co_u32 v3, vcc_lo, v10, s4
	v_add_co_ci_u32_e64 v4, null, s5, v11, vcc_lo
	v_lshlrev_b64 v[1:2], 3, v[1:2]
	v_add_co_u32 v10, vcc_lo, v3, v1
	v_add_co_ci_u32_e64 v11, null, v4, v2, vcc_lo
	v_lshlrev_b32_e32 v1, 3, v0
	global_load_dwordx2 v[3:4], v[10:11], off
	v_add_nc_u32_e32 v18, 0x1000, v1
	ds_read2_b64 v[30:33], v18 offset1:32
	s_waitcnt lgkmcnt(0)
	v_add_f64 v[1:2], v[30:31], 0
	v_add_f64 v[1:2], v[1:2], v[32:33]
	ds_read2_b64 v[30:33], v18 offset0:64 offset1:96
	s_waitcnt lgkmcnt(0)
	v_add_f64 v[1:2], v[1:2], v[30:31]
	v_add_f64 v[1:2], v[1:2], v[32:33]
	ds_read2_b64 v[30:33], v18 offset0:128 offset1:160
	;; [unrolled: 4-line block ×3, first 2 shown]
	s_waitcnt lgkmcnt(0)
	v_add_f64 v[1:2], v[1:2], v[30:31]
	v_add_f64 v[1:2], v[1:2], v[32:33]
	v_mul_f64 v[18:19], v[5:6], v[1:2]
.LBB105_36:                             ; =>This Inner Loop Header: Depth=1
	s_waitcnt vmcnt(0)
	v_add_f64 v[1:2], v[3:4], v[18:19]
	global_atomic_cmpswap_x2 v[1:2], v[10:11], v[1:4], off glc
	s_waitcnt vmcnt(0)
	v_cmp_eq_u64_e32 vcc_lo, v[1:2], v[3:4]
	v_mov_b32_e32 v4, v2
	v_mov_b32_e32 v3, v1
	s_or_b32 s3, vcc_lo, s3
	s_andn2_b32 exec_lo, exec_lo, s3
	s_cbranch_execnz .LBB105_36
.LBB105_37:
	s_or_b32 exec_lo, exec_lo, s2
	v_fma_f64 v[18:19], v[16:17], v[20:21], v[8:9]
	v_fma_f64 v[14:15], v[16:17], v[22:23], v[14:15]
	;; [unrolled: 1-line block ×4, first 2 shown]
.LBB105_38:
	v_lshlrev_b32_e32 v8, 9, v72
	v_lshl_or_b32 v8, v7, 3, v8
	ds_write2_b64 v8, v[18:19], v[14:15] offset1:16
	ds_write2_b64 v8, v[3:4], v[1:2] offset0:32 offset1:48
	s_waitcnt lgkmcnt(0)
	s_barrier
	buffer_gl0_inv
	s_and_b32 exec_lo, exec_lo, s0
	s_cbranch_execz .LBB105_41
; %bb.39:
	v_lshlrev_b32_e32 v20, 7, v0
	v_add_nc_u32_e32 v3, 1, v0
	v_add_nc_u32_e32 v4, 2, v0
	;; [unrolled: 1-line block ×3, first 2 shown]
	v_mad_u64_u32 v[12:13], null, s14, v0, 0
	v_lshl_or_b32 v1, v7, 3, v20
	v_and_b32_e32 v3, 15, v3
	v_and_b32_e32 v4, 15, v4
	;; [unrolled: 1-line block ×3, first 2 shown]
	v_add_nc_u32_e32 v14, 7, v0
	ds_read_b64 v[1:2], v1
	v_lshl_or_b32 v3, v3, 3, v20
	v_lshl_or_b32 v9, v4, 3, v20
	;; [unrolled: 1-line block ×3, first 2 shown]
	ds_read_b64 v[3:4], v3
	ds_read_b64 v[8:9], v9
	;; [unrolled: 1-line block ×3, first 2 shown]
	v_and_b32_e32 v14, 15, v14
	s_mov_b32 s0, 0
	v_lshl_or_b32 v18, v14, 3, v20
	s_waitcnt lgkmcnt(3)
	v_add_f64 v[1:2], v[1:2], 0
	s_waitcnt lgkmcnt(2)
	v_add_f64 v[1:2], v[1:2], v[3:4]
	v_mov_b32_e32 v3, v13
	v_mad_u64_u32 v[3:4], null, s15, v0, v[3:4]
	v_mov_b32_e32 v13, v3
	v_lshlrev_b64 v[3:4], 3, v[12:13]
	s_waitcnt lgkmcnt(1)
	v_add_f64 v[12:13], v[1:2], v[8:9]
	v_add_nc_u32_e32 v1, 4, v0
	v_add_co_u32 v8, vcc_lo, s1, v3
	v_add_co_ci_u32_e64 v9, null, s26, v4, vcc_lo
	v_and_b32_e32 v1, 15, v1
	v_add_nc_u32_e32 v4, 6, v0
	global_load_dwordx2 v[2:3], v[8:9], off
	v_lshl_or_b32 v1, v1, 3, v20
	v_and_b32_e32 v4, 15, v4
	v_lshl_or_b32 v4, v4, 3, v20
	s_waitcnt lgkmcnt(0)
	v_add_f64 v[10:11], v[12:13], v[10:11]
	ds_read_b64 v[12:13], v1
	v_add_nc_u32_e32 v1, 5, v0
	v_and_b32_e32 v1, 15, v1
	v_lshl_or_b32 v1, v1, 3, v20
	ds_read_b64 v[14:15], v1
	ds_read_b64 v[16:17], v4
	;; [unrolled: 1-line block ×3, first 2 shown]
	v_xor_b32_e32 v1, 8, v7
	v_add_nc_u32_e32 v4, 10, v0
	v_add_nc_u32_e32 v7, 11, v0
	s_waitcnt lgkmcnt(3)
	v_add_f64 v[10:11], v[10:11], v[12:13]
	v_lshl_or_b32 v1, v1, 3, v20
	v_and_b32_e32 v4, 15, v4
	v_and_b32_e32 v7, 15, v7
	ds_read_b64 v[12:13], v1
	v_add_nc_u32_e32 v1, 9, v0
	v_lshl_or_b32 v4, v4, 3, v20
	v_lshl_or_b32 v7, v7, 3, v20
	v_and_b32_e32 v1, 15, v1
	v_lshl_or_b32 v1, v1, 3, v20
	s_waitcnt lgkmcnt(3)
	v_add_f64 v[10:11], v[10:11], v[14:15]
	s_waitcnt lgkmcnt(2)
	v_add_f64 v[10:11], v[10:11], v[16:17]
	;; [unrolled: 2-line block ×3, first 2 shown]
	ds_read_b64 v[14:15], v1
	ds_read_b64 v[16:17], v4
	;; [unrolled: 1-line block ×3, first 2 shown]
	v_add_nc_u32_e32 v1, 12, v0
	v_add_nc_u32_e32 v4, 14, v0
	v_and_b32_e32 v1, 15, v1
	v_and_b32_e32 v4, 15, v4
	v_lshl_or_b32 v1, v1, 3, v20
	v_lshl_or_b32 v4, v4, 3, v20
	s_waitcnt lgkmcnt(3)
	v_add_f64 v[10:11], v[10:11], v[12:13]
	ds_read_b64 v[12:13], v1
	v_add_nc_u32_e32 v1, 13, v0
	v_add_nc_u32_e32 v0, -1, v0
	v_and_b32_e32 v1, 15, v1
	v_and_b32_e32 v0, 15, v0
	v_lshl_or_b32 v1, v1, 3, v20
	v_lshl_or_b32 v7, v0, 3, v20
	s_waitcnt lgkmcnt(3)
	v_add_f64 v[10:11], v[10:11], v[14:15]
	s_waitcnt lgkmcnt(2)
	v_add_f64 v[10:11], v[10:11], v[16:17]
	ds_read_b64 v[0:1], v1
	ds_read_b64 v[14:15], v4
	;; [unrolled: 1-line block ×3, first 2 shown]
	s_waitcnt lgkmcnt(4)
	v_add_f64 v[10:11], v[10:11], v[18:19]
	s_waitcnt lgkmcnt(3)
	v_add_f64 v[10:11], v[10:11], v[12:13]
	;; [unrolled: 2-line block ×5, first 2 shown]
	v_mul_f64 v[4:5], v[5:6], v[0:1]
.LBB105_40:                             ; =>This Inner Loop Header: Depth=1
	s_waitcnt vmcnt(0)
	v_add_f64 v[0:1], v[2:3], v[4:5]
	global_atomic_cmpswap_x2 v[0:1], v[8:9], v[0:3], off glc
	s_waitcnt vmcnt(0)
	v_cmp_eq_u64_e32 vcc_lo, v[0:1], v[2:3]
	v_mov_b32_e32 v3, v1
	v_mov_b32_e32 v2, v0
	s_or_b32 s0, vcc_lo, s0
	s_andn2_b32 exec_lo, exec_lo, s0
	s_cbranch_execnz .LBB105_40
.LBB105_41:
	s_endpgm
	.section	.rodata,"a",@progbits
	.p2align	6, 0x0
	.amdhsa_kernel _ZL62rocblas_symv_kernel_lower_double_buffered_non_diagonal_genericILi32ELi4ELi4E24rocblas_internal_val_ptrIdEPKdPdEvbiT2_lT3_lllS6_lllT4_lllii
		.amdhsa_group_segment_fixed_size 6400
		.amdhsa_private_segment_fixed_size 0
		.amdhsa_kernarg_size 384
		.amdhsa_user_sgpr_count 6
		.amdhsa_user_sgpr_private_segment_buffer 1
		.amdhsa_user_sgpr_dispatch_ptr 0
		.amdhsa_user_sgpr_queue_ptr 0
		.amdhsa_user_sgpr_kernarg_segment_ptr 1
		.amdhsa_user_sgpr_dispatch_id 0
		.amdhsa_user_sgpr_flat_scratch_init 0
		.amdhsa_user_sgpr_private_segment_size 0
		.amdhsa_wavefront_size32 1
		.amdhsa_uses_dynamic_stack 0
		.amdhsa_system_sgpr_private_segment_wavefront_offset 0
		.amdhsa_system_sgpr_workgroup_id_x 1
		.amdhsa_system_sgpr_workgroup_id_y 1
		.amdhsa_system_sgpr_workgroup_id_z 1
		.amdhsa_system_sgpr_workgroup_info 0
		.amdhsa_system_vgpr_workitem_id 1
		.amdhsa_next_free_vgpr 82
		.amdhsa_next_free_sgpr 37
		.amdhsa_reserve_vcc 1
		.amdhsa_reserve_flat_scratch 0
		.amdhsa_float_round_mode_32 0
		.amdhsa_float_round_mode_16_64 0
		.amdhsa_float_denorm_mode_32 3
		.amdhsa_float_denorm_mode_16_64 3
		.amdhsa_dx10_clamp 1
		.amdhsa_ieee_mode 1
		.amdhsa_fp16_overflow 0
		.amdhsa_workgroup_processor_mode 1
		.amdhsa_memory_ordered 1
		.amdhsa_forward_progress 1
		.amdhsa_shared_vgpr_count 0
		.amdhsa_exception_fp_ieee_invalid_op 0
		.amdhsa_exception_fp_denorm_src 0
		.amdhsa_exception_fp_ieee_div_zero 0
		.amdhsa_exception_fp_ieee_overflow 0
		.amdhsa_exception_fp_ieee_underflow 0
		.amdhsa_exception_fp_ieee_inexact 0
		.amdhsa_exception_int_div_zero 0
	.end_amdhsa_kernel
	.section	.text._ZL62rocblas_symv_kernel_lower_double_buffered_non_diagonal_genericILi32ELi4ELi4E24rocblas_internal_val_ptrIdEPKdPdEvbiT2_lT3_lllS6_lllT4_lllii,"axG",@progbits,_ZL62rocblas_symv_kernel_lower_double_buffered_non_diagonal_genericILi32ELi4ELi4E24rocblas_internal_val_ptrIdEPKdPdEvbiT2_lT3_lllS6_lllT4_lllii,comdat
.Lfunc_end105:
	.size	_ZL62rocblas_symv_kernel_lower_double_buffered_non_diagonal_genericILi32ELi4ELi4E24rocblas_internal_val_ptrIdEPKdPdEvbiT2_lT3_lllS6_lllT4_lllii, .Lfunc_end105-_ZL62rocblas_symv_kernel_lower_double_buffered_non_diagonal_genericILi32ELi4ELi4E24rocblas_internal_val_ptrIdEPKdPdEvbiT2_lT3_lllS6_lllT4_lllii
                                        ; -- End function
	.set _ZL62rocblas_symv_kernel_lower_double_buffered_non_diagonal_genericILi32ELi4ELi4E24rocblas_internal_val_ptrIdEPKdPdEvbiT2_lT3_lllS6_lllT4_lllii.num_vgpr, 82
	.set _ZL62rocblas_symv_kernel_lower_double_buffered_non_diagonal_genericILi32ELi4ELi4E24rocblas_internal_val_ptrIdEPKdPdEvbiT2_lT3_lllS6_lllT4_lllii.num_agpr, 0
	.set _ZL62rocblas_symv_kernel_lower_double_buffered_non_diagonal_genericILi32ELi4ELi4E24rocblas_internal_val_ptrIdEPKdPdEvbiT2_lT3_lllS6_lllT4_lllii.numbered_sgpr, 37
	.set _ZL62rocblas_symv_kernel_lower_double_buffered_non_diagonal_genericILi32ELi4ELi4E24rocblas_internal_val_ptrIdEPKdPdEvbiT2_lT3_lllS6_lllT4_lllii.num_named_barrier, 0
	.set _ZL62rocblas_symv_kernel_lower_double_buffered_non_diagonal_genericILi32ELi4ELi4E24rocblas_internal_val_ptrIdEPKdPdEvbiT2_lT3_lllS6_lllT4_lllii.private_seg_size, 0
	.set _ZL62rocblas_symv_kernel_lower_double_buffered_non_diagonal_genericILi32ELi4ELi4E24rocblas_internal_val_ptrIdEPKdPdEvbiT2_lT3_lllS6_lllT4_lllii.uses_vcc, 1
	.set _ZL62rocblas_symv_kernel_lower_double_buffered_non_diagonal_genericILi32ELi4ELi4E24rocblas_internal_val_ptrIdEPKdPdEvbiT2_lT3_lllS6_lllT4_lllii.uses_flat_scratch, 0
	.set _ZL62rocblas_symv_kernel_lower_double_buffered_non_diagonal_genericILi32ELi4ELi4E24rocblas_internal_val_ptrIdEPKdPdEvbiT2_lT3_lllS6_lllT4_lllii.has_dyn_sized_stack, 0
	.set _ZL62rocblas_symv_kernel_lower_double_buffered_non_diagonal_genericILi32ELi4ELi4E24rocblas_internal_val_ptrIdEPKdPdEvbiT2_lT3_lllS6_lllT4_lllii.has_recursion, 0
	.set _ZL62rocblas_symv_kernel_lower_double_buffered_non_diagonal_genericILi32ELi4ELi4E24rocblas_internal_val_ptrIdEPKdPdEvbiT2_lT3_lllS6_lllT4_lllii.has_indirect_call, 0
	.section	.AMDGPU.csdata,"",@progbits
; Kernel info:
; codeLenInByte = 4544
; TotalNumSgprs: 39
; NumVgprs: 82
; ScratchSize: 0
; MemoryBound: 0
; FloatMode: 240
; IeeeMode: 1
; LDSByteSize: 6400 bytes/workgroup (compile time only)
; SGPRBlocks: 0
; VGPRBlocks: 10
; NumSGPRsForWavesPerEU: 39
; NumVGPRsForWavesPerEU: 82
; Occupancy: 10
; WaveLimiterHint : 0
; COMPUTE_PGM_RSRC2:SCRATCH_EN: 0
; COMPUTE_PGM_RSRC2:USER_SGPR: 6
; COMPUTE_PGM_RSRC2:TRAP_HANDLER: 0
; COMPUTE_PGM_RSRC2:TGID_X_EN: 1
; COMPUTE_PGM_RSRC2:TGID_Y_EN: 1
; COMPUTE_PGM_RSRC2:TGID_Z_EN: 1
; COMPUTE_PGM_RSRC2:TIDIG_COMP_CNT: 1
	.section	.text._ZL26rocblas_hemvn_kernel_lowerILb0ELi64ELi4ELi33ELi32ELi16ElPKdS1_PdEviT6_lT7_lT5_lS4_lS5_lS3_lT8_i,"axG",@progbits,_ZL26rocblas_hemvn_kernel_lowerILb0ELi64ELi4ELi33ELi32ELi16ElPKdS1_PdEviT6_lT7_lT5_lS4_lS5_lS3_lT8_i,comdat
	.globl	_ZL26rocblas_hemvn_kernel_lowerILb0ELi64ELi4ELi33ELi32ELi16ElPKdS1_PdEviT6_lT7_lT5_lS4_lS5_lS3_lT8_i ; -- Begin function _ZL26rocblas_hemvn_kernel_lowerILb0ELi64ELi4ELi33ELi32ELi16ElPKdS1_PdEviT6_lT7_lT5_lS4_lS5_lS3_lT8_i
	.p2align	8
	.type	_ZL26rocblas_hemvn_kernel_lowerILb0ELi64ELi4ELi33ELi32ELi16ElPKdS1_PdEviT6_lT7_lT5_lS4_lS5_lS3_lT8_i,@function
_ZL26rocblas_hemvn_kernel_lowerILb0ELi64ELi4ELi33ELi32ELi16ElPKdS1_PdEviT6_lT7_lT5_lS4_lS5_lS3_lT8_i: ; @_ZL26rocblas_hemvn_kernel_lowerILb0ELi64ELi4ELi33ELi32ELi16ElPKdS1_PdEviT6_lT7_lT5_lS4_lS5_lS3_lT8_i
; %bb.0:
	s_load_dwordx2 s[2:3], s[4:5], 0x84
	s_add_u32 s0, s4, 0x78
	s_addc_u32 s1, s5, 0
	s_waitcnt lgkmcnt(0)
	s_lshr_b32 s8, s2, 16
	s_and_b32 s2, s2, 0xffff
	s_and_b32 s3, s3, 0xffff
	s_mul_i32 s2, s8, s2
	s_mul_i32 s2, s2, s3
	s_cmpk_lg_i32 s2, 0x100
	s_cbranch_scc1 .LBB106_78
; %bb.1:
	s_clause 0x1
	s_load_dwordx16 s[8:23], s[4:5], 0x8
	s_load_dwordx8 s[24:31], s[4:5], 0x48
	s_waitcnt lgkmcnt(0)
	s_mul_i32 s3, s11, s7
	s_mul_hi_u32 s11, s10, s7
	s_mul_i32 s2, s10, s7
	s_add_i32 s3, s11, s3
	s_mul_i32 s10, s31, s7
	s_lshl_b64 s[2:3], s[2:3], 3
	s_mul_hi_u32 s11, s30, s7
	s_add_u32 s2, s8, s2
	s_addc_u32 s3, s9, s3
	s_add_i32 s9, s11, s10
	s_mul_i32 s8, s30, s7
	s_lshl_b64 s[8:9], s[8:9], 3
	s_add_u32 s8, s28, s8
	s_addc_u32 s9, s29, s9
	s_load_dwordx2 s[2:3], s[2:3], 0x0
	s_load_dwordx2 s[8:9], s[8:9], 0x0
	s_waitcnt lgkmcnt(0)
	v_cmp_eq_f64_e64 s2, s[2:3], 0
	v_cmp_eq_f64_e64 s3, s[8:9], 1.0
	s_and_b32 s3, s2, s3
	s_and_b32 vcc_lo, exec_lo, s3
	s_cbranch_vccnz .LBB106_78
; %bb.2:
	s_and_b32 vcc_lo, exec_lo, s2
	s_cbranch_vccnz .LBB106_78
; %bb.3:
	s_mul_i32 s3, s27, s7
	s_mul_hi_u32 s8, s26, s7
	s_mul_i32 s2, s26, s7
	s_add_i32 s3, s8, s3
	s_clause 0x1
	s_load_dword s28, s[4:5], 0x0
	s_load_dwordx2 s[26:27], s[4:5], 0x68
	s_lshl_b64 s[2:3], s[2:3], 3
	s_load_dword s29, s[0:1], 0x0
	s_add_u32 s8, s20, s2
	s_addc_u32 s9, s21, s3
	s_lshl_b64 s[2:3], s[22:23], 3
	s_add_u32 s2, s8, s2
	s_addc_u32 s3, s9, s3
	s_lshl_b32 s20, s6, 6
	v_add_nc_u32_e32 v34, s20, v0
	v_ashrrev_i32_e32 v35, 31, v34
	v_mul_lo_u32 v4, s25, v34
	v_mad_u64_u32 v[2:3], null, s24, v34, 0
	s_waitcnt lgkmcnt(0)
	s_ashr_i32 s30, s28, 31
	v_mul_lo_u32 v5, s24, v35
	s_lshr_b32 s0, s30, 26
	s_add_i32 s4, s29, -1
	s_add_i32 s1, s28, s0
	v_cmp_ne_u32_e64 s0, 0, v1
	s_andn2_b32 s1, s1, 63
	s_sub_i32 s5, s28, s1
	v_add3_u32 v3, v3, v5, v4
	v_cmp_eq_u32_e64 s1, 0, v1
	s_cmp_eq_u32 s6, s4
	s_cselect_b32 s22, s5, 0
	v_lshlrev_b64 v[2:3], 3, v[2:3]
	v_add_co_u32 v18, vcc_lo, s2, v2
	v_add_co_ci_u32_e64 v19, null, s3, v3, vcc_lo
	s_and_saveexec_b32 s2, s1
	s_cbranch_execz .LBB106_7
; %bb.4:
	v_cmp_gt_i32_e32 vcc_lo, s22, v0
	s_cmp_eq_u32 s22, 0
	v_mov_b32_e32 v2, 0
	v_mov_b32_e32 v3, 0
	s_cselect_b32 s3, -1, 0
	s_or_b32 s4, s3, vcc_lo
	s_and_saveexec_b32 s3, s4
	s_cbranch_execz .LBB106_6
; %bb.5:
	global_load_dwordx2 v[2:3], v[18:19], off
.LBB106_6:
	s_or_b32 exec_lo, exec_lo, s3
	v_lshlrev_b32_e32 v4, 3, v0
	s_waitcnt vmcnt(0)
	ds_write_b64 v4, v[2:3] offset:9088
.LBB106_7:
	s_or_b32 exec_lo, exec_lo, s2
	v_lshl_add_u32 v24, v1, 6, v0
	v_and_b32_e32 v2, 31, v0
	v_mov_b32_e32 v3, 0
	s_mul_i32 s3, s19, s7
	s_mul_hi_u32 s4, s18, s7
	v_lshrrev_b32_e32 v13, 5, v24
	s_mul_i32 s2, s18, s7
	s_add_i32 s3, s4, s3
	s_mul_hi_u32 s8, s16, s20
	s_lshl_b64 s[2:3], s[2:3], 3
	v_mad_u64_u32 v[3:4], null, s16, v13, v[2:3]
	s_add_u32 s4, s12, s2
	s_addc_u32 s5, s13, s3
	s_lshl_b64 s[2:3], s[14:15], 3
	s_mul_i32 s9, s17, s20
	s_add_u32 s4, s4, s2
	s_addc_u32 s5, s5, s3
	v_mad_u64_u32 v[4:5], null, s17, v13, v[4:5]
	s_ashr_i32 s21, s20, 31
	s_lshl_b64 s[2:3], s[20:21], 3
	s_mul_i32 s10, s16, s21
	s_add_u32 s4, s4, s2
	s_addc_u32 s5, s5, s3
	v_lshlrev_b64 v[20:21], 3, v[3:4]
	s_add_i32 s3, s8, s10
	s_mul_i32 s2, s16, s20
	s_add_i32 s3, s3, s9
	s_lshl_b64 s[12:13], s[2:3], 3
	v_add_co_u32 v3, vcc_lo, s4, v20
	v_add_co_ci_u32_e64 v4, null, s5, v21, vcc_lo
	s_cmp_lg_u32 s22, 0
	v_add_co_u32 v3, vcc_lo, v3, s12
	v_add_co_ci_u32_e64 v4, null, s13, v4, vcc_lo
	s_cselect_b32 s18, -1, 0
	s_cmp_eq_u32 s22, 0
	s_mov_b32 s2, -1
	s_cselect_b32 s9, -1, 0
	s_and_b32 vcc_lo, exec_lo, s18
	s_cbranch_vccnz .LBB106_9
; %bb.8:
	s_lshl_b64 s[2:3], s[16:17], 6
	v_mul_u32_u24_e32 v14, 0x108, v13
	v_add_co_u32 v5, vcc_lo, v3, s2
	v_add_co_ci_u32_e64 v6, null, s3, v4, vcc_lo
	v_lshl_add_u32 v14, v2, 3, v14
	v_add_co_u32 v7, vcc_lo, v5, s2
	v_add_co_ci_u32_e64 v8, null, s3, v6, vcc_lo
	v_add_co_u32 v9, vcc_lo, v7, s2
	v_add_co_ci_u32_e64 v10, null, s3, v8, vcc_lo
	s_clause 0x3
	global_load_dwordx2 v[11:12], v[3:4], off
	global_load_dwordx2 v[5:6], v[5:6], off
	global_load_dwordx2 v[7:8], v[7:8], off
	global_load_dwordx2 v[9:10], v[9:10], off
	s_mov_b32 s2, 0
	s_waitcnt vmcnt(3)
	ds_write_b64 v14, v[11:12]
	s_waitcnt vmcnt(2)
	ds_write_b64 v14, v[5:6] offset:2112
	s_waitcnt vmcnt(1)
	ds_write_b64 v14, v[7:8] offset:4224
	;; [unrolled: 2-line block ×3, first 2 shown]
.LBB106_9:
	s_andn2_b32 vcc_lo, exec_lo, s2
	s_cbranch_vccnz .LBB106_19
; %bb.10:
	v_lshlrev_b32_e32 v14, 3, v2
	s_ashr_i32 s23, s22, 31
	v_mov_b32_e32 v7, 0
	s_lshl_b64 s[4:5], s[22:23], 3
	v_mov_b32_e32 v9, 0
	v_sub_co_u32 v5, vcc_lo, v3, v14
	v_subrev_co_ci_u32_e64 v6, null, 0, v4, vcc_lo
	v_mov_b32_e32 v8, 0
	v_add_co_u32 v5, vcc_lo, v5, s4
	v_add_co_ci_u32_e64 v6, null, s5, v6, vcc_lo
	v_mov_b32_e32 v10, 0
	v_add_co_u32 v5, vcc_lo, v5, -8
	v_add_co_ci_u32_e64 v6, null, -1, v6, vcc_lo
	v_cmp_gt_i32_e32 vcc_lo, s22, v2
	s_mov_b32 s3, exec_lo
	v_cndmask_b32_e32 v6, v6, v4, vcc_lo
	v_cndmask_b32_e32 v5, v5, v3, vcc_lo
	v_cmpx_gt_i32_e64 s22, v13
	s_cbranch_execz .LBB106_12
; %bb.11:
	global_load_dwordx2 v[9:10], v[5:6], off
.LBB106_12:
	s_or_b32 exec_lo, exec_lo, s3
	v_lshlrev_b32_e32 v11, 3, v2
	v_add_nc_u32_e32 v15, 8, v13
	v_mul_u32_u24_e32 v12, 0x108, v13
	s_mov_b32 s3, exec_lo
	v_mad_u32_u24 v16, 0x108, v13, v11
	s_waitcnt vmcnt(0)
	ds_write_b64 v16, v[9:10]
	v_cmpx_gt_i32_e64 s22, v15
	s_cbranch_execz .LBB106_14
; %bb.13:
	s_lshl_b64 s[10:11], s[16:17], 6
	v_add_co_u32 v7, s2, v5, s10
	v_add_co_ci_u32_e64 v8, null, s11, v6, s2
	global_load_dwordx2 v[7:8], v[7:8], off
.LBB106_14:
	s_or_b32 exec_lo, exec_lo, s3
	v_add_nc_u32_e32 v15, v12, v11
	v_mov_b32_e32 v9, 0
	v_mov_b32_e32 v11, 0
	v_add_nc_u32_e32 v16, 16, v13
	v_mov_b32_e32 v10, 0
	v_mov_b32_e32 v12, 0
	s_mov_b32 s3, exec_lo
	s_waitcnt vmcnt(0)
	ds_write_b64 v15, v[7:8] offset:2112
	v_cmpx_gt_i32_e64 s22, v16
	s_cbranch_execz .LBB106_16
; %bb.15:
	s_lshl_b64 s[10:11], s[16:17], 7
	v_add_co_u32 v7, s2, v5, s10
	v_add_co_ci_u32_e64 v8, null, s11, v6, s2
	global_load_dwordx2 v[11:12], v[7:8], off
.LBB106_16:
	s_or_b32 exec_lo, exec_lo, s3
	v_add_nc_u32_e32 v7, 24, v13
	s_mov_b32 s3, exec_lo
	s_waitcnt vmcnt(0)
	ds_write_b64 v15, v[11:12] offset:4224
	v_cmpx_gt_i32_e64 s22, v7
	s_cbranch_execz .LBB106_18
; %bb.17:
	v_mad_u64_u32 v[7:8], null, 0xc0, s16, v[5:6]
	v_mad_u64_u32 v[8:9], null, 0xc0, s17, v[8:9]
	global_load_dwordx2 v[9:10], v[7:8], off
.LBB106_18:
	s_or_b32 exec_lo, exec_lo, s3
	v_add_co_u32 v5, s2, v5, v14
	v_add_co_ci_u32_e64 v6, null, 0, v6, s2
	s_waitcnt vmcnt(0)
	ds_write_b64 v15, v[9:10] offset:6336
	v_sub_co_u32 v5, s2, v5, s4
	v_subrev_co_ci_u32_e64 v6, null, s5, v6, s2
	v_add_co_u32 v5, s2, v5, 8
	v_add_co_ci_u32_e64 v6, null, 0, v6, s2
	v_cndmask_b32_e32 v3, v5, v3, vcc_lo
	v_cndmask_b32_e32 v4, v6, v4, vcc_lo
.LBB106_19:
	v_lshlrev_b32_e32 v12, 3, v2
	v_lshlrev_b32_e32 v11, 2, v13
	s_waitcnt lgkmcnt(0)
	s_barrier
	buffer_gl0_inv
	v_lshl_or_b32 v7, v2, 8, v12
	v_cmp_lt_u32_e64 s3, v11, v2
	v_mad_u32_u24 v6, 0x420, v13, v12
	s_and_saveexec_b32 s2, s3
	s_cbranch_execz .LBB106_21
; %bb.20:
	ds_read_b64 v[8:9], v6
	v_lshl_add_u32 v5, v11, 3, v7
	s_waitcnt lgkmcnt(0)
	ds_write_b64 v5, v[8:9]
.LBB106_21:
	s_or_b32 exec_lo, exec_lo, s2
	v_or_b32_e32 v15, 1, v11
	v_cmp_lt_u32_e64 s4, v15, v2
	v_mad_u32_u24 v5, 0x108, v15, v12
	s_and_saveexec_b32 s2, s4
	s_cbranch_execz .LBB106_23
; %bb.22:
	ds_read_b64 v[8:9], v5
	v_lshl_add_u32 v10, v11, 3, v7
	s_waitcnt lgkmcnt(0)
	ds_write_b64 v10, v[8:9] offset:8
.LBB106_23:
	s_or_b32 exec_lo, exec_lo, s2
	v_or_b32_e32 v8, 2, v11
	v_cmp_lt_u32_e64 s5, v8, v2
	s_and_saveexec_b32 s2, s5
	s_cbranch_execz .LBB106_25
; %bb.24:
	v_mad_u32_u24 v8, 0x108, v8, v12
	v_lshl_add_u32 v10, v11, 3, v7
	ds_read_b64 v[8:9], v8
	s_waitcnt lgkmcnt(0)
	ds_write_b64 v10, v[8:9] offset:16
.LBB106_25:
	s_or_b32 exec_lo, exec_lo, s2
	v_or_b32_e32 v9, 3, v11
	s_mov_b32 s2, exec_lo
                                        ; implicit-def: $vgpr8
	v_cmp_lt_u32_e64 s8, v9, v2
	v_cmpx_ge_u32_e64 v9, v2
	s_xor_b32 s2, exec_lo, s2
; %bb.26:
	v_mul_u32_u24_e32 v8, 0x108, v9
                                        ; implicit-def: $vgpr7
                                        ; implicit-def: $vgpr9
; %bb.27:
	s_andn2_saveexec_b32 s2, s2
	s_cbranch_execz .LBB106_29
; %bb.28:
	v_mad_u32_u24 v8, 0x108, v9, v12
	v_lshl_add_u32 v7, v11, 3, v7
	ds_read_b64 v[16:17], v8
	v_mul_u32_u24_e32 v8, 0x108, v9
	s_waitcnt lgkmcnt(0)
	ds_write_b64 v7, v[16:17] offset:24
.LBB106_29:
	s_or_b32 exec_lo, exec_lo, s2
	v_lshlrev_b32_e32 v14, 3, v11
	s_waitcnt lgkmcnt(0)
	s_barrier
	buffer_gl0_inv
	ds_read_b64 v[22:23], v6
	ds_read_b128 v[25:28], v14 offset:9088
	v_add_nc_u32_e32 v16, v12, v8
	ds_read_b128 v[6:9], v14 offset:9104
	ds_read_b64 v[36:37], v16
	ds_read2_b64 v[29:32], v5 offset1:33
	v_cmp_gt_u32_e64 s2, 32, v24
	s_waitcnt lgkmcnt(0)
	s_barrier
	buffer_gl0_inv
	v_fma_f64 v[22:23], v[22:23], v[25:26], 0
	v_fma_f64 v[22:23], v[29:30], v[27:28], v[22:23]
	;; [unrolled: 1-line block ×3, first 2 shown]
	v_mul_u32_u24_e32 v7, 33, v2
	v_lshlrev_b32_e32 v25, 3, v7
	v_lshl_add_u32 v26, v13, 3, v25
	v_fma_f64 v[5:6], v[36:37], v[8:9], v[5:6]
	v_mov_b32_e32 v36, 0
	v_mov_b32_e32 v37, 0
	ds_write_b64 v26, v[5:6]
	s_waitcnt lgkmcnt(0)
	s_barrier
	buffer_gl0_inv
	s_and_saveexec_b32 s10, s2
	s_cbranch_execz .LBB106_31
; %bb.30:
	ds_read2_b64 v[5:8], v25 offset1:1
	ds_read2_b64 v[27:30], v25 offset0:2 offset1:3
	s_waitcnt lgkmcnt(1)
	v_add_f64 v[5:6], v[5:6], v[7:8]
	s_waitcnt lgkmcnt(0)
	v_add_f64 v[5:6], v[5:6], v[27:28]
	v_add_f64 v[9:10], v[5:6], v[29:30]
	ds_read2_b64 v[5:8], v25 offset0:4 offset1:5
	ds_read2_b64 v[27:30], v25 offset0:6 offset1:7
	s_waitcnt lgkmcnt(1)
	v_add_f64 v[5:6], v[9:10], v[5:6]
	v_add_f64 v[5:6], v[5:6], v[7:8]
	s_waitcnt lgkmcnt(0)
	v_add_f64 v[5:6], v[5:6], v[27:28]
	v_add_f64 v[36:37], v[5:6], v[29:30]
.LBB106_31:
	s_or_b32 exec_lo, exec_lo, s10
	s_lshl_b64 s[10:11], s[16:17], 8
	v_cndmask_b32_e64 v17, 0, 1, s9
	v_add_co_u32 v3, vcc_lo, v3, s10
	v_add_co_ci_u32_e64 v4, null, s11, v4, vcc_lo
	v_add_co_u32 v22, vcc_lo, 0x100, v3
	v_add_co_ci_u32_e64 v23, null, 0, v4, vcc_lo
	s_andn2_b32 vcc_lo, exec_lo, s9
	s_mov_b32 s9, -1
	s_barrier
	buffer_gl0_inv
	s_cbranch_vccnz .LBB106_33
; %bb.32:
	s_lshl_b64 s[14:15], s[16:17], 6
	v_mad_u32_u24 v29, 0x108, v13, v12
	v_add_co_u32 v5, vcc_lo, v3, s14
	v_add_co_ci_u32_e64 v6, null, s15, v4, vcc_lo
	s_mov_b32 s9, 0
	v_add_co_u32 v7, vcc_lo, v5, s14
	v_add_co_ci_u32_e64 v8, null, s15, v6, vcc_lo
	v_add_co_u32 v9, vcc_lo, v7, s14
	v_add_co_ci_u32_e64 v10, null, s15, v8, vcc_lo
	s_clause 0x3
	global_load_dwordx2 v[27:28], v[3:4], off offset:256
	global_load_dwordx2 v[5:6], v[5:6], off offset:256
	;; [unrolled: 1-line block ×4, first 2 shown]
	s_waitcnt vmcnt(3)
	ds_write_b64 v29, v[27:28]
	s_waitcnt vmcnt(2)
	ds_write_b64 v29, v[5:6] offset:2112
	s_waitcnt vmcnt(1)
	ds_write_b64 v29, v[7:8] offset:4224
	;; [unrolled: 2-line block ×3, first 2 shown]
.LBB106_33:
	s_andn2_b32 vcc_lo, exec_lo, s9
	s_cbranch_vccnz .LBB106_43
; %bb.34:
	v_lshlrev_b32_e32 v27, 3, v2
	s_ashr_i32 s23, s22, 31
	v_or_b32_e32 v5, 32, v2
	s_lshl_b64 s[14:15], s[22:23], 3
	v_mov_b32_e32 v7, 0
	v_sub_co_u32 v3, vcc_lo, v3, v27
	v_subrev_co_ci_u32_e64 v4, null, 0, v4, vcc_lo
	v_mov_b32_e32 v8, 0
	v_add_co_u32 v3, vcc_lo, v3, s14
	v_add_co_ci_u32_e64 v4, null, s15, v4, vcc_lo
	s_sub_i32 s19, s22, 32
	v_add_co_u32 v3, vcc_lo, v3, -8
	v_add_co_ci_u32_e64 v4, null, -1, v4, vcc_lo
	v_cmp_gt_i32_e32 vcc_lo, s22, v5
	v_mov_b32_e32 v5, 0
	v_mov_b32_e32 v6, 0
	s_mov_b32 s23, exec_lo
	v_cndmask_b32_e32 v4, v4, v23, vcc_lo
	v_cndmask_b32_e32 v3, v3, v22, vcc_lo
	v_cmpx_gt_i32_e64 s19, v13
	s_cbranch_execz .LBB106_36
; %bb.35:
	global_load_dwordx2 v[7:8], v[3:4], off
.LBB106_36:
	s_or_b32 exec_lo, exec_lo, s23
	v_add_nc_u32_e32 v10, 8, v13
	v_mul_u32_u24_e32 v9, 0x108, v13
	v_mad_u32_u24 v28, 0x108, v13, v12
	s_mov_b32 s23, exec_lo
	s_waitcnt vmcnt(0)
	ds_write_b64 v28, v[7:8]
	v_cmpx_gt_i32_e64 s19, v10
	s_cbranch_execz .LBB106_38
; %bb.37:
	s_lshl_b64 s[34:35], s[16:17], 6
	v_add_co_u32 v5, s9, v3, s34
	v_add_co_ci_u32_e64 v6, null, s35, v4, s9
	global_load_dwordx2 v[5:6], v[5:6], off
.LBB106_38:
	s_or_b32 exec_lo, exec_lo, s23
	v_add_nc_u32_e32 v28, v9, v12
	v_mov_b32_e32 v7, 0
	v_mov_b32_e32 v9, 0
	v_add_nc_u32_e32 v29, 16, v13
	v_mov_b32_e32 v8, 0
	v_mov_b32_e32 v10, 0
	s_mov_b32 s23, exec_lo
	s_waitcnt vmcnt(0)
	ds_write_b64 v28, v[5:6] offset:2112
	v_cmpx_gt_i32_e64 s19, v29
	s_cbranch_execz .LBB106_40
; %bb.39:
	s_lshl_b64 s[34:35], s[16:17], 7
	v_add_co_u32 v5, s9, v3, s34
	v_add_co_ci_u32_e64 v6, null, s35, v4, s9
	global_load_dwordx2 v[9:10], v[5:6], off
.LBB106_40:
	s_or_b32 exec_lo, exec_lo, s23
	v_add_nc_u32_e32 v5, 24, v13
	s_waitcnt vmcnt(0)
	ds_write_b64 v28, v[9:10] offset:4224
	v_cmp_gt_i32_e64 s9, s19, v5
	s_and_saveexec_b32 s19, s9
	s_cbranch_execz .LBB106_42
; %bb.41:
	v_mad_u64_u32 v[5:6], null, 0xc0, s16, v[3:4]
	v_mad_u64_u32 v[6:7], null, 0xc0, s17, v[6:7]
	global_load_dwordx2 v[7:8], v[5:6], off
.LBB106_42:
	s_or_b32 exec_lo, exec_lo, s19
	v_add_co_u32 v3, s9, v3, v27
	v_add_co_ci_u32_e64 v4, null, 0, v4, s9
	s_waitcnt vmcnt(0)
	ds_write_b64 v28, v[7:8] offset:6336
	v_sub_co_u32 v3, s9, v3, s14
	v_subrev_co_ci_u32_e64 v4, null, s15, v4, s9
	v_add_co_u32 v3, s9, 0x108, v3
	v_add_co_ci_u32_e64 v4, null, 0, v4, s9
	v_cndmask_b32_e32 v22, v3, v22, vcc_lo
	v_cndmask_b32_e32 v23, v4, v23, vcc_lo
.LBB106_43:
	v_mul_u32_u24_e32 v4, 0x420, v13
	v_add_nc_u32_e32 v14, 0x2380, v14
	v_mul_u32_u24_e32 v3, 0x108, v15
	s_lshl_b64 s[14:15], s[16:17], 5
	s_waitcnt lgkmcnt(0)
	v_add_nc_u32_e32 v4, v12, v4
	s_barrier
	buffer_gl0_inv
	s_and_saveexec_b32 s9, s3
	s_cbranch_execnz .LBB106_52
; %bb.44:
	s_or_b32 exec_lo, exec_lo, s9
	v_add_nc_u32_e32 v3, v12, v3
	s_and_saveexec_b32 s3, s4
	s_cbranch_execnz .LBB106_53
.LBB106_45:
	s_or_b32 exec_lo, exec_lo, s3
	s_and_saveexec_b32 s3, s5
	s_cbranch_execnz .LBB106_54
.LBB106_46:
	s_or_b32 exec_lo, exec_lo, s3
	s_and_saveexec_b32 s3, s8
	s_cbranch_execz .LBB106_48
.LBB106_47:
	ds_read_b64 v[5:6], v16
	v_lshl_add_u32 v7, v11, 3, v25
	s_waitcnt lgkmcnt(0)
	ds_write_b64 v7, v[5:6] offset:24
.LBB106_48:
	s_or_b32 exec_lo, exec_lo, s3
	s_waitcnt lgkmcnt(0)
	s_barrier
	buffer_gl0_inv
	ds_read_b64 v[8:9], v4
	ds_read_b128 v[4:7], v14 offset:256
	ds_read_b128 v[27:30], v14 offset:272
	ds_read_b64 v[15:16], v16
	ds_read2_b64 v[38:41], v3 offset1:33
	v_cmp_eq_u32_e64 s3, 1, v13
	s_waitcnt lgkmcnt(0)
	s_barrier
	buffer_gl0_inv
	v_fma_f64 v[4:5], v[8:9], v[4:5], 0
	v_fma_f64 v[3:4], v[38:39], v[6:7], v[4:5]
	;; [unrolled: 1-line block ×4, first 2 shown]
	ds_write_b64 v26, v[3:4]
	s_waitcnt lgkmcnt(0)
	s_barrier
	buffer_gl0_inv
	s_and_saveexec_b32 s4, s3
	s_cbranch_execz .LBB106_50
; %bb.49:
	ds_read2_b64 v[3:6], v25 offset1:1
	ds_read2_b64 v[7:10], v25 offset0:2 offset1:3
	s_waitcnt lgkmcnt(1)
	v_add_f64 v[3:4], v[3:4], v[5:6]
	s_waitcnt lgkmcnt(0)
	v_add_f64 v[3:4], v[3:4], v[7:8]
	v_add_f64 v[15:16], v[3:4], v[9:10]
	ds_read2_b64 v[3:6], v25 offset0:4 offset1:5
	ds_read2_b64 v[7:10], v25 offset0:6 offset1:7
	s_waitcnt lgkmcnt(1)
	v_add_f64 v[3:4], v[15:16], v[3:4]
	v_add_f64 v[3:4], v[3:4], v[5:6]
	s_waitcnt lgkmcnt(0)
	v_add_f64 v[3:4], v[3:4], v[7:8]
	v_add_f64 v[36:37], v[3:4], v[9:10]
.LBB106_50:
	s_or_b32 exec_lo, exec_lo, s4
	s_lshl_b64 s[4:5], s[14:15], 3
	v_cmp_ne_u32_e32 vcc_lo, 1, v17
	v_sub_co_u32 v22, s4, v22, s4
	v_subrev_co_ci_u32_e64 v23, null, s5, v23, s4
	s_barrier
	buffer_gl0_inv
	s_cbranch_vccnz .LBB106_55
; %bb.51:
	s_lshl_b64 s[4:5], s[16:17], 6
	global_load_dwordx2 v[7:8], v[22:23], off
	v_add_co_u32 v3, vcc_lo, v22, s4
	v_add_co_ci_u32_e64 v4, null, s5, v23, vcc_lo
	v_add_nc_u32_e32 v15, 8, v13
	v_add_co_u32 v5, vcc_lo, v3, s4
	v_add_co_ci_u32_e64 v6, null, s5, v4, vcc_lo
	v_add_nc_u32_e32 v16, 16, v13
	v_add_co_u32 v9, vcc_lo, v5, s4
	v_add_co_ci_u32_e64 v10, null, s5, v6, vcc_lo
	s_movk_i32 s4, 0x840
	s_clause 0x2
	global_load_dwordx2 v[27:28], v[3:4], off
	global_load_dwordx2 v[4:5], v[5:6], off
	;; [unrolled: 1-line block ×3, first 2 shown]
	v_mad_u32_u24 v3, 0x108, v13, v12
	v_mad_u32_u24 v17, 0x108, v13, s4
	s_movk_i32 s4, 0x18c0
	s_movk_i32 s5, 0x1080
	v_mul_u32_u24_e32 v10, 0x108, v13
	v_mad_u32_u24 v6, 0x108, v13, s5
	v_add_nc_u32_e32 v9, v12, v6
	s_waitcnt vmcnt(3)
	ds_write_b64 v3, v[7:8]
	v_mad_u32_u24 v3, 0x108, v13, s4
	v_add_nc_u32_e32 v8, v12, v17
	v_add_nc_u32_e32 v7, 24, v13
	s_waitcnt vmcnt(2)
	ds_write_b64 v8, v[27:28]
	s_waitcnt vmcnt(1)
	ds_write_b64 v9, v[4:5]
	v_add_nc_u32_e32 v31, v12, v3
	s_waitcnt vmcnt(0)
	ds_write_b64 v31, v[29:30]
	s_cbranch_execz .LBB106_56
	s_branch .LBB106_65
.LBB106_52:
	ds_read_b64 v[5:6], v4
	v_lshl_add_u32 v7, v11, 3, v25
	s_waitcnt lgkmcnt(0)
	ds_write_b64 v7, v[5:6]
	s_or_b32 exec_lo, exec_lo, s9
	v_add_nc_u32_e32 v3, v12, v3
	s_and_saveexec_b32 s3, s4
	s_cbranch_execz .LBB106_45
.LBB106_53:
	ds_read_b64 v[5:6], v3
	v_lshl_add_u32 v7, v11, 3, v25
	s_waitcnt lgkmcnt(0)
	ds_write_b64 v7, v[5:6] offset:8
	s_or_b32 exec_lo, exec_lo, s3
	s_and_saveexec_b32 s3, s5
	s_cbranch_execz .LBB106_46
.LBB106_54:
	ds_read_b64 v[5:6], v3 offset:264
	v_lshl_add_u32 v7, v11, 3, v25
	s_waitcnt lgkmcnt(0)
	ds_write_b64 v7, v[5:6] offset:16
	s_or_b32 exec_lo, exec_lo, s3
	s_and_saveexec_b32 s3, s8
	s_cbranch_execnz .LBB106_47
	s_branch .LBB106_48
.LBB106_55:
                                        ; implicit-def: $vgpr10
                                        ; implicit-def: $vgpr15
                                        ; implicit-def: $vgpr17
                                        ; implicit-def: $vgpr16
                                        ; implicit-def: $vgpr6
                                        ; implicit-def: $vgpr7
                                        ; implicit-def: $vgpr3
.LBB106_56:
	v_lshlrev_b32_e32 v27, 3, v2
	s_ashr_i32 s23, s22, 31
	v_or_b32_e32 v2, 32, v2
	s_lshl_b64 s[8:9], s[22:23], 3
	v_mov_b32_e32 v6, 0
	v_sub_co_u32 v3, vcc_lo, v22, v27
	v_subrev_co_ci_u32_e64 v4, null, 0, v23, vcc_lo
	v_mov_b32_e32 v7, 0
	v_add_co_u32 v3, vcc_lo, v3, s8
	v_add_co_ci_u32_e64 v4, null, s9, v4, vcc_lo
	s_mov_b32 s5, exec_lo
	v_add_co_u32 v8, vcc_lo, 0xfffffef8, v3
	v_add_co_ci_u32_e64 v3, null, -1, v4, vcc_lo
	v_cmp_gt_i32_e32 vcc_lo, s22, v2
	v_mov_b32_e32 v4, 0
	v_mov_b32_e32 v5, 0
	v_cndmask_b32_e32 v3, v3, v23, vcc_lo
	v_cndmask_b32_e32 v2, v8, v22, vcc_lo
	v_cmpx_gt_i32_e64 s22, v13
	s_cbranch_execz .LBB106_58
; %bb.57:
	global_load_dwordx2 v[4:5], v[2:3], off
.LBB106_58:
	s_or_b32 exec_lo, exec_lo, s5
	v_add_nc_u32_e32 v15, 8, v13
	v_mul_u32_u24_e32 v10, 0x108, v13
	v_mad_u32_u24 v8, 0x108, v13, v12
	s_mov_b32 s5, exec_lo
	s_waitcnt vmcnt(0)
	ds_write_b64 v8, v[4:5]
	v_cmpx_gt_i32_e64 s22, v15
	s_cbranch_execz .LBB106_60
; %bb.59:
	s_lshl_b64 s[14:15], s[16:17], 6
	v_add_co_u32 v4, s4, v2, s14
	v_add_co_ci_u32_e64 v5, null, s15, v3, s4
	global_load_dwordx2 v[6:7], v[4:5], off
.LBB106_60:
	s_or_b32 exec_lo, exec_lo, s5
	v_add_nc_u32_e32 v17, 0x840, v10
	v_mov_b32_e32 v4, 0
	v_mov_b32_e32 v8, 0
	v_add_nc_u32_e32 v16, 16, v13
	v_mov_b32_e32 v5, 0
	v_add_nc_u32_e32 v28, v12, v17
	v_mov_b32_e32 v9, 0
	s_mov_b32 s5, exec_lo
	s_waitcnt vmcnt(0)
	ds_write_b64 v28, v[6:7]
	v_cmpx_gt_i32_e64 s22, v16
	s_cbranch_execz .LBB106_62
; %bb.61:
	s_lshl_b64 s[14:15], s[16:17], 7
	v_add_co_u32 v6, s4, v2, s14
	v_add_co_ci_u32_e64 v7, null, s15, v3, s4
	global_load_dwordx2 v[8:9], v[6:7], off
.LBB106_62:
	s_or_b32 exec_lo, exec_lo, s5
	v_add_nc_u32_e32 v6, 0x840, v17
	v_add_nc_u32_e32 v7, 24, v13
	s_mov_b32 s5, exec_lo
	v_add_nc_u32_e32 v28, v12, v6
	s_waitcnt vmcnt(0)
	ds_write_b64 v28, v[8:9]
	v_cmpx_gt_i32_e64 s22, v7
	s_cbranch_execz .LBB106_64
; %bb.63:
	v_mad_u64_u32 v[4:5], null, 0xc0, s16, v[2:3]
	v_mad_u64_u32 v[8:9], null, 0xc0, s17, v[5:6]
	v_mov_b32_e32 v5, v8
	global_load_dwordx2 v[4:5], v[4:5], off
.LBB106_64:
	s_or_b32 exec_lo, exec_lo, s5
	v_add_co_u32 v2, s4, v2, v27
	v_add_co_ci_u32_e64 v3, null, 0, v3, s4
	v_sub_co_u32 v2, s4, v2, s8
	v_subrev_co_ci_u32_e64 v8, null, s9, v3, s4
	v_add_nc_u32_e32 v3, 0x840, v6
	v_add_co_u32 v2, s4, 0x108, v2
	v_add_co_ci_u32_e64 v8, null, 0, v8, s4
	v_add_nc_u32_e32 v9, v12, v3
	v_cndmask_b32_e32 v22, v2, v22, vcc_lo
	v_cndmask_b32_e32 v23, v8, v23, vcc_lo
	s_waitcnt vmcnt(0)
	ds_write_b64 v9, v[4:5]
.LBB106_65:
	v_add_nc_u32_e32 v2, v12, v10
	v_lshlrev_b32_e32 v8, 3, v13
	s_waitcnt lgkmcnt(0)
	s_barrier
	buffer_gl0_inv
	ds_read_b64 v[4:5], v2
	ds_read_b64 v[8:9], v8 offset:9088
	v_add_nc_u32_e32 v2, v12, v17
	v_lshlrev_b32_e32 v10, 3, v15
	ds_read_b64 v[27:28], v2
	ds_read_b64 v[29:30], v10 offset:9088
	v_add_nc_u32_e32 v2, v12, v6
	v_lshlrev_b32_e32 v6, 3, v16
	s_waitcnt lgkmcnt(2)
	v_fma_f64 v[4:5], v[4:5], v[8:9], 0
	ds_read_b64 v[8:9], v2
	ds_read_b64 v[15:16], v6 offset:9088
	v_add_nc_u32_e32 v2, v12, v3
	v_lshlrev_b32_e32 v6, 3, v7
	ds_read_b64 v[2:3], v2
	ds_read_b64 v[6:7], v6 offset:9088
	s_waitcnt lgkmcnt(4)
	v_fma_f64 v[4:5], v[27:28], v[29:30], v[4:5]
	s_waitcnt lgkmcnt(2)
	v_fma_f64 v[4:5], v[8:9], v[15:16], v[4:5]
	v_lshl_add_u32 v8, v11, 3, v25
	s_waitcnt lgkmcnt(0)
	v_fma_f64 v[27:28], v[2:3], v[6:7], v[4:5]
	ds_read_b128 v[10:13], v14 offset:256
	ds_read_b128 v[2:5], v14 offset:272
	ds_read2_b64 v[14:17], v8 offset1:1
	ds_read2_b64 v[6:9], v8 offset0:2 offset1:3
	s_waitcnt lgkmcnt(0)
	s_barrier
	buffer_gl0_inv
	ds_write_b64 v26, v[27:28]
	s_waitcnt lgkmcnt(0)
	s_barrier
	buffer_gl0_inv
	s_and_saveexec_b32 s4, s3
	s_cbranch_execz .LBB106_67
; %bb.66:
	ds_read2_b64 v[27:30], v25 offset1:1
	ds_read2_b64 v[38:41], v25 offset0:2 offset1:3
	s_waitcnt lgkmcnt(1)
	v_add_f64 v[27:28], v[36:37], v[27:28]
	v_add_f64 v[27:28], v[27:28], v[29:30]
	s_waitcnt lgkmcnt(0)
	v_add_f64 v[27:28], v[27:28], v[38:39]
	v_add_f64 v[31:32], v[27:28], v[40:41]
	ds_read2_b64 v[27:30], v25 offset0:4 offset1:5
	ds_read2_b64 v[36:39], v25 offset0:6 offset1:7
	s_waitcnt lgkmcnt(1)
	v_add_f64 v[27:28], v[31:32], v[27:28]
	v_add_f64 v[27:28], v[27:28], v[29:30]
	s_waitcnt lgkmcnt(0)
	v_add_f64 v[27:28], v[27:28], v[36:37]
	v_add_f64 v[36:37], v[27:28], v[38:39]
.LBB106_67:
	s_or_b32 exec_lo, exec_lo, s4
	v_fma_f64 v[10:11], v[14:15], v[10:11], 0
	s_barrier
	buffer_gl0_inv
	v_fma_f64 v[10:11], v[16:17], v[12:13], v[10:11]
	v_fma_f64 v[2:3], v[6:7], v[2:3], v[10:11]
	v_fma_f64 v[2:3], v[8:9], v[4:5], v[2:3]
	ds_write_b64 v26, v[2:3]
	s_waitcnt lgkmcnt(0)
	s_barrier
	buffer_gl0_inv
	s_and_saveexec_b32 s3, s2
	s_cbranch_execz .LBB106_69
; %bb.68:
	ds_read2_b64 v[2:5], v25 offset1:1
	ds_read2_b64 v[6:9], v25 offset0:2 offset1:3
	s_waitcnt lgkmcnt(1)
	v_add_f64 v[2:3], v[36:37], v[2:3]
	v_add_f64 v[2:3], v[2:3], v[4:5]
	s_waitcnt lgkmcnt(0)
	v_add_f64 v[2:3], v[2:3], v[6:7]
	v_add_f64 v[10:11], v[2:3], v[8:9]
	ds_read2_b64 v[2:5], v25 offset0:4 offset1:5
	ds_read2_b64 v[6:9], v25 offset0:6 offset1:7
	s_waitcnt lgkmcnt(1)
	v_add_f64 v[2:3], v[10:11], v[2:3]
	v_add_f64 v[2:3], v[2:3], v[4:5]
	s_waitcnt lgkmcnt(0)
	v_add_f64 v[2:3], v[2:3], v[6:7]
	v_add_f64 v[36:37], v[2:3], v[8:9]
.LBB106_69:
	s_or_b32 exec_lo, exec_lo, s3
	s_mul_hi_u32 s2, s28, s7
	s_mul_i32 s30, s30, s7
	s_mul_i32 s3, s28, s7
	s_add_i32 s2, s2, s30
	s_mul_hi_u32 s5, s3, s29
	s_mul_i32 s4, s2, s29
	s_mul_i32 s2, s3, s29
	s_add_i32 s3, s5, s4
	s_mul_i32 s4, s28, s6
	s_lshl_b64 s[2:3], s[2:3], 3
	v_cmp_le_i32_e32 vcc_lo, s22, v0
	s_add_u32 s7, s26, s2
	s_addc_u32 s8, s27, s3
	s_ashr_i32 s5, s4, 31
	v_lshlrev_b32_e32 v74, 3, v0
	s_lshl_b64 s[2:3], s[4:5], 3
	s_add_u32 s19, s7, s2
	s_addc_u32 s26, s8, s3
	s_and_b32 vcc_lo, s18, vcc_lo
	s_cmp_lt_i32 s6, 1
	s_barrier
	buffer_gl0_inv
	s_cbranch_scc1 .LBB106_76
; %bb.70:
	v_lshlrev_b32_e32 v4, 2, v1
	v_sub_co_u32 v6, s2, v22, s12
	v_subrev_co_ci_u32_e64 v7, null, s13, v23, s2
	v_mad_u64_u32 v[2:3], null, s16, v4, 0
	v_sub_co_u32 v6, s2, v6, v20
	v_sub_co_ci_u32_e64 v7, null, v7, v21, s2
	s_ashr_i32 s23, s22, 31
	s_mul_i32 s3, s24, s21
	v_mad_u64_u32 v[3:4], null, s17, v4, v[3:4]
	s_lshl_b64 s[8:9], s[22:23], 3
	s_mul_hi_u32 s5, s24, s20
	s_mul_i32 s7, s25, s20
	s_add_i32 s3, s5, s3
	s_mul_i32 s4, s24, s20
	s_add_i32 s5, s3, s7
	v_lshlrev_b64 v[2:3], 3, v[2:3]
	s_lshl_b64 s[4:5], s[4:5], 3
	s_mul_i32 s3, s17, 24
	v_lshrrev_b32_e32 v4, 4, v24
	v_and_b32_e32 v5, 15, v0
	v_mov_b32_e32 v39, 0
	v_add_co_u32 v2, s2, v6, v2
	v_add_co_ci_u32_e64 v3, null, v7, v3, s2
	v_add_nc_u32_e32 v77, 0x2180, v74
	v_add_co_u32 v6, s2, v2, s8
	v_add_co_ci_u32_e64 v7, null, s9, v3, s2
	v_add_co_u32 v2, s2, v2, v74
	v_add_co_ci_u32_e64 v3, null, 0, v3, s2
	v_add_co_u32 v6, s2, 0xfffffef8, v6
	v_add_co_ci_u32_e64 v7, null, -1, v7, s2
	v_add_co_u32 v2, s2, 0xffffff00, v2
	v_add_co_ci_u32_e64 v3, null, -1, v3, s2
	v_sub_co_u32 v75, s2, v18, s4
	s_mul_hi_u32 s4, s16, 24
	v_cndmask_b32_e32 v41, v3, v7, vcc_lo
	s_add_i32 s18, s4, s3
	s_mul_i32 s3, s17, 0x90
	s_mul_hi_u32 s4, s16, 0x90
	v_cndmask_b32_e32 v40, v2, v6, vcc_lo
	s_add_i32 s21, s4, s3
	s_mul_i32 s3, s17, 0x98
	s_mul_hi_u32 s4, s16, 0x98
	v_and_b32_e32 v2, 48, v0
	s_add_i32 s23, s4, s3
	s_mul_i32 s3, s17, 0x110
	s_mul_hi_u32 s4, s16, 0x110
	v_lshlrev_b32_e32 v3, 5, v4
	s_add_i32 s28, s4, s3
	s_mul_i32 s3, s17, 0x118
	s_mul_hi_u32 s4, s16, 0x118
	v_lshlrev_b32_e32 v2, 3, v2
	s_add_i32 s30, s4, s3
	s_mul_i32 s3, s17, 0x190
	s_mul_hi_u32 s4, s16, 0x190
	v_or_b32_e32 v6, 0x78, v74
	s_add_i32 s33, s4, s3
	s_mul_i32 s3, s17, 0x198
	s_mul_hi_u32 s4, s16, 0x198
	v_mad_u32_u24 v81, 0x218, v5, v3
	v_mul_i32_i24_e32 v3, 0xffffffe8, v4
	s_add_i32 s35, s4, s3
	s_mul_i32 s3, s17, 0x188
	s_mul_hi_u32 s4, s16, 0x188
	v_subrev_co_ci_u32_e64 v76, null, s5, v19, s2
	s_add_i32 s37, s4, s3
	s_mul_i32 s3, s17, 0x180
	s_mul_hi_u32 s4, s16, 0x180
	v_lshl_add_u32 v78, v1, 5, 0x2180
	s_add_i32 s39, s4, s3
	s_mul_i32 s3, s17, 0x108
	s_mul_hi_u32 s4, s16, 0x108
	v_add_nc_u32_e32 v79, 0x2380, v74
	v_mad_u32_u24 v80, 0x860, v1, v74
	v_cmp_gt_u32_e64 s2, 64, v24
	v_mad_u32_u24 v82, 0x218, v5, v2
	v_mad_u32_u24 v83, 0x218, v5, v6
	v_add_nc_u32_e32 v84, v81, v3
	s_add_i32 s41, s4, s3
	s_mul_i32 s3, s17, 0x88
	s_mul_hi_u32 s4, s16, 0x88
	s_lshl_b64 s[8:9], s[16:17], 3
	s_lshl_b64 s[12:13], s[16:17], 9
	s_lshl_b64 s[14:15], s[16:17], 4
	s_mul_i32 s20, s16, 24
	s_mul_i32 s22, s16, 0x90
	s_mul_i32 s27, s16, 0x98
	s_mul_i32 s29, s16, 0x110
	s_mul_i32 s31, s16, 0x118
	s_mul_i32 s34, s16, 0x190
	s_mul_i32 s36, s16, 0x198
	s_mul_i32 s38, s16, 0x188
	s_mul_i32 s40, s16, 0x180
	s_mul_i32 s42, s16, 0x108
	s_add_i32 s43, s4, s3
	s_mul_i32 s44, s16, 0x88
	s_lshl_b64 s[16:17], s[16:17], 7
	s_mov_b32 s45, 0
	s_branch .LBB106_72
.LBB106_71:                             ;   in Loop: Header=BB106_72 Depth=1
	s_or_b32 exec_lo, exec_lo, s4
	v_fma_f64 v[6:7], v[42:43], v[6:7], v[36:37]
	v_add_co_u32 v40, s3, v40, s12
	v_add_co_ci_u32_e64 v41, null, s13, v41, s3
	s_add_i32 s6, s6, -1
	s_add_i32 s45, s45, 64
	s_cmp_eq_u32 s6, 0
	s_waitcnt_vscnt null, 0x0
	s_barrier
	buffer_gl0_inv
	v_fma_f64 v[6:7], v[44:45], v[8:9], v[6:7]
	v_fma_f64 v[2:3], v[46:47], v[2:3], v[6:7]
	;; [unrolled: 1-line block ×15, first 2 shown]
	s_cbranch_scc1 .LBB106_76
.LBB106_72:                             ; =>This Inner Loop Header: Depth=1
	s_and_saveexec_b32 s4, s1
	s_cbranch_execz .LBB106_74
; %bb.73:                               ;   in Loop: Header=BB106_72 Depth=1
	s_mul_i32 s3, s25, s45
	s_mul_hi_u32 s5, s24, s45
	s_mul_i32 s46, s24, s45
	s_add_i32 s47, s5, s3
	s_lshl_b64 s[46:47], s[46:47], 3
	v_add_co_u32 v2, s3, v75, s46
	v_add_co_ci_u32_e64 v3, null, s47, v76, s3
	global_load_dwordx2 v[2:3], v[2:3], off
	s_waitcnt vmcnt(0)
	ds_write_b64 v77, v[2:3]
.LBB106_74:                             ;   in Loop: Header=BB106_72 Depth=1
	s_or_b32 exec_lo, exec_lo, s4
	v_add_co_u32 v2, s3, v40, s8
	v_add_co_ci_u32_e64 v3, null, s9, v41, s3
	v_add_co_u32 v4, s3, v40, s14
	v_add_co_ci_u32_e64 v5, null, s15, v41, s3
	;; [unrolled: 2-line block ×3, first 2 shown]
	s_waitcnt lgkmcnt(0)
	s_barrier
	buffer_gl0_inv
	s_clause 0x3
	global_load_dwordx2 v[42:43], v[40:41], off
	global_load_dwordx2 v[44:45], v[2:3], off
	;; [unrolled: 1-line block ×4, first 2 shown]
	ds_read_b64 v[2:3], v79
	v_add_co_u32 v22, s3, v40, s16
	v_add_co_u32 v24, s4, v40, s44
	v_add_co_u32 v30, s5, v40, s22
	v_add_co_ci_u32_e64 v23, null, s17, v41, s3
	v_add_co_u32 v32, s7, v40, s27
	v_add_co_ci_u32_e64 v25, null, s43, v41, s4
	v_add_co_ci_u32_e64 v31, null, s21, v41, s5
	v_add_co_ci_u32_e64 v33, null, s23, v41, s7
	v_add_co_u32 v58, s3, v40, s10
	v_add_co_u32 v60, s4, v40, s42
	v_add_co_u32 v62, s5, v40, s29
	v_add_co_ci_u32_e64 v59, null, s11, v41, s3
	v_add_co_u32 v64, s7, v40, s31
	v_add_co_ci_u32_e64 v61, null, s41, v41, s4
	v_add_co_ci_u32_e64 v63, null, s28, v41, s5
	v_add_co_ci_u32_e64 v65, null, s30, v41, s7
	;; [unrolled: 8-line block ×3, first 2 shown]
	s_waitcnt vmcnt(3) lgkmcnt(0)
	v_mul_f64 v[10:11], v[42:43], v[2:3]
	s_waitcnt vmcnt(2)
	v_mul_f64 v[12:13], v[44:45], v[2:3]
	s_waitcnt vmcnt(1)
	;; [unrolled: 2-line block ×3, first 2 shown]
	v_mul_f64 v[16:17], v[48:49], v[2:3]
	ds_read_b128 v[6:9], v78
	ds_read_b128 v[2:5], v78 offset:16
	ds_write2_b64 v80, v[10:11], v[12:13] offset1:67
	ds_write2_b64 v80, v[14:15], v[16:17] offset0:134 offset1:201
	s_waitcnt lgkmcnt(0)
	s_barrier
	buffer_gl0_inv
	ds_read2_b64 v[18:21], v81 offset1:1
	ds_read2_b64 v[26:29], v81 offset0:2 offset1:3
	s_waitcnt lgkmcnt(0)
	s_barrier
	buffer_gl0_inv
	s_clause 0x3
	global_load_dwordx2 v[50:51], v[22:23], off
	global_load_dwordx2 v[52:53], v[24:25], off
	;; [unrolled: 1-line block ×4, first 2 shown]
	ds_read_b64 v[10:11], v79
	v_add_f64 v[18:19], v[18:19], 0
	v_add_f64 v[101:102], v[18:19], v[20:21]
	;; [unrolled: 1-line block ×3, first 2 shown]
	s_waitcnt vmcnt(3) lgkmcnt(0)
	v_mul_f64 v[22:23], v[50:51], v[10:11]
	s_waitcnt vmcnt(2)
	v_mul_f64 v[24:25], v[52:53], v[10:11]
	s_waitcnt vmcnt(1)
	;; [unrolled: 2-line block ×3, first 2 shown]
	v_mul_f64 v[32:33], v[56:57], v[10:11]
	ds_read_b128 v[14:17], v78 offset:128
	ds_read_b128 v[10:13], v78 offset:144
	ds_write2_b64 v80, v[22:23], v[24:25] offset1:67
	ds_write2_b64 v80, v[30:31], v[32:33] offset0:134 offset1:201
	s_waitcnt lgkmcnt(0)
	s_barrier
	buffer_gl0_inv
	ds_read2_b64 v[22:25], v81 offset1:1
	ds_read2_b64 v[30:33], v81 offset0:2 offset1:3
	s_waitcnt lgkmcnt(0)
	s_barrier
	buffer_gl0_inv
	s_clause 0x3
	global_load_dwordx2 v[58:59], v[58:59], off
	global_load_dwordx2 v[60:61], v[60:61], off
	;; [unrolled: 1-line block ×4, first 2 shown]
	ds_read_b64 v[66:67], v79
	ds_read_b128 v[18:21], v78 offset:256
	v_add_f64 v[22:23], v[22:23], 0
	v_add_f64 v[103:104], v[22:23], v[24:25]
	ds_read_b128 v[22:25], v78 offset:272
	v_add_f64 v[30:31], v[103:104], v[30:31]
	s_waitcnt vmcnt(3) lgkmcnt(2)
	v_mul_f64 v[68:69], v[58:59], v[66:67]
	s_waitcnt vmcnt(2)
	v_mul_f64 v[70:71], v[60:61], v[66:67]
	s_waitcnt vmcnt(1)
	;; [unrolled: 2-line block ×3, first 2 shown]
	v_mul_f64 v[66:67], v[64:65], v[66:67]
	ds_write2_b64 v80, v[68:69], v[70:71] offset1:67
	ds_write2_b64 v80, v[72:73], v[66:67] offset0:134 offset1:201
	s_waitcnt lgkmcnt(0)
	s_barrier
	buffer_gl0_inv
	ds_read2_b64 v[85:88], v81 offset1:1
	ds_read2_b64 v[89:92], v81 offset0:2 offset1:3
	s_waitcnt lgkmcnt(0)
	s_barrier
	buffer_gl0_inv
	s_clause 0x3
	global_load_dwordx2 v[66:67], v[93:94], off
	global_load_dwordx2 v[68:69], v[95:96], off
	;; [unrolled: 1-line block ×4, first 2 shown]
	ds_read_b64 v[93:94], v79
	v_add_f64 v[95:96], v[26:27], v[28:29]
	v_add_f64 v[97:98], v[30:31], v[32:33]
	;; [unrolled: 1-line block ×4, first 2 shown]
	ds_read_b128 v[26:29], v78 offset:384
	s_waitcnt vmcnt(3) lgkmcnt(1)
	v_mul_f64 v[30:31], v[66:67], v[93:94]
	s_waitcnt vmcnt(2)
	v_mul_f64 v[32:33], v[68:69], v[93:94]
	s_waitcnt vmcnt(1)
	;; [unrolled: 2-line block ×3, first 2 shown]
	v_mul_f64 v[93:94], v[72:73], v[93:94]
	ds_write2_b64 v80, v[30:31], v[32:33] offset1:67
	ds_read_b128 v[30:33], v78 offset:400
	ds_write2_b64 v80, v[85:86], v[93:94] offset0:134 offset1:201
	s_waitcnt lgkmcnt(0)
	s_barrier
	buffer_gl0_inv
	ds_read2_b64 v[85:88], v81 offset1:1
	s_waitcnt lgkmcnt(0)
	v_add_f64 v[85:86], v[85:86], 0
	v_add_f64 v[93:94], v[85:86], v[87:88]
	v_add_f64 v[85:86], v[99:100], v[89:90]
	v_add_f64 v[89:90], v[85:86], v[91:92]
	ds_read2_b64 v[85:88], v81 offset0:2 offset1:3
	s_waitcnt lgkmcnt(0)
	s_barrier
	buffer_gl0_inv
	v_add_f64 v[85:86], v[93:94], v[85:86]
	v_add_f64 v[85:86], v[85:86], v[87:88]
	ds_write2_b64 v84, v[95:96], v[97:98] offset1:16
	ds_write2_b64 v84, v[89:90], v[85:86] offset0:32 offset1:48
	s_waitcnt lgkmcnt(0)
	s_barrier
	buffer_gl0_inv
	s_and_saveexec_b32 s4, s2
	s_cbranch_execz .LBB106_71
; %bb.75:                               ;   in Loop: Header=BB106_72 Depth=1
	ds_read2_b64 v[85:88], v82 offset1:1
	ds_read2_b64 v[89:92], v82 offset0:2 offset1:3
	v_add_nc_u32_e32 v38, s45, v0
	s_waitcnt lgkmcnt(1)
	v_add_f64 v[85:86], v[85:86], v[87:88]
	s_waitcnt lgkmcnt(0)
	v_add_f64 v[85:86], v[85:86], v[89:90]
	v_add_f64 v[93:94], v[85:86], v[91:92]
	ds_read2_b64 v[85:88], v82 offset0:4 offset1:5
	ds_read2_b64 v[89:92], v82 offset0:6 offset1:7
	s_waitcnt lgkmcnt(1)
	v_add_f64 v[85:86], v[93:94], v[85:86]
	v_add_f64 v[85:86], v[85:86], v[87:88]
	s_waitcnt lgkmcnt(0)
	v_add_f64 v[85:86], v[85:86], v[89:90]
	v_add_f64 v[93:94], v[85:86], v[91:92]
	ds_read2_b64 v[85:88], v82 offset0:8 offset1:9
	ds_read2_b64 v[89:92], v82 offset0:10 offset1:11
	s_waitcnt lgkmcnt(1)
	v_add_f64 v[85:86], v[93:94], v[85:86]
	v_add_f64 v[85:86], v[85:86], v[87:88]
	s_waitcnt lgkmcnt(0)
	v_add_f64 v[85:86], v[85:86], v[89:90]
	v_add_f64 v[89:90], v[85:86], v[91:92]
	ds_read2_b64 v[85:88], v82 offset0:12 offset1:13
	ds_read_b64 v[91:92], v82 offset:112
	s_waitcnt lgkmcnt(1)
	v_add_f64 v[85:86], v[89:90], v[85:86]
	v_add_f64 v[85:86], v[85:86], v[87:88]
	ds_read_b64 v[87:88], v83
	s_waitcnt lgkmcnt(1)
	v_add_f64 v[85:86], v[85:86], v[91:92]
	s_waitcnt lgkmcnt(0)
	v_add_f64 v[85:86], v[85:86], v[87:88]
	v_lshlrev_b64 v[87:88], 3, v[38:39]
	v_add_co_u32 v87, s3, s19, v87
	v_add_co_ci_u32_e64 v88, null, s26, v88, s3
	global_store_dwordx2 v[87:88], v[85:86], off
	s_branch .LBB106_71
.LBB106_76:
	v_mad_u32_u24 v0, 0x218, v1, v74
	s_nor_b32 s0, s0, vcc_lo
	ds_write_b64 v0, v[36:37]
	s_waitcnt lgkmcnt(0)
	s_barrier
	buffer_gl0_inv
	s_and_saveexec_b32 s1, s0
	s_cbranch_execz .LBB106_78
; %bb.77:
	ds_read2_b64 v[0:3], v74 offset1:67
	s_waitcnt lgkmcnt(0)
	v_add_f64 v[4:5], v[0:1], v[2:3]
	ds_read2_b64 v[0:3], v74 offset0:134 offset1:201
	s_waitcnt lgkmcnt(0)
	v_add_f64 v[0:1], v[4:5], v[0:1]
	v_add_f64 v[0:1], v[0:1], v[2:3]
	v_lshlrev_b64 v[2:3], 3, v[34:35]
	v_add_co_u32 v2, vcc_lo, s19, v2
	v_add_co_ci_u32_e64 v3, null, s26, v3, vcc_lo
	global_store_dwordx2 v[2:3], v[0:1], off
.LBB106_78:
	s_endpgm
	.section	.rodata,"a",@progbits
	.p2align	6, 0x0
	.amdhsa_kernel _ZL26rocblas_hemvn_kernel_lowerILb0ELi64ELi4ELi33ELi32ELi16ElPKdS1_PdEviT6_lT7_lT5_lS4_lS5_lS3_lT8_i
		.amdhsa_group_segment_fixed_size 9600
		.amdhsa_private_segment_fixed_size 0
		.amdhsa_kernarg_size 376
		.amdhsa_user_sgpr_count 6
		.amdhsa_user_sgpr_private_segment_buffer 1
		.amdhsa_user_sgpr_dispatch_ptr 0
		.amdhsa_user_sgpr_queue_ptr 0
		.amdhsa_user_sgpr_kernarg_segment_ptr 1
		.amdhsa_user_sgpr_dispatch_id 0
		.amdhsa_user_sgpr_flat_scratch_init 0
		.amdhsa_user_sgpr_private_segment_size 0
		.amdhsa_wavefront_size32 1
		.amdhsa_uses_dynamic_stack 0
		.amdhsa_system_sgpr_private_segment_wavefront_offset 0
		.amdhsa_system_sgpr_workgroup_id_x 1
		.amdhsa_system_sgpr_workgroup_id_y 0
		.amdhsa_system_sgpr_workgroup_id_z 1
		.amdhsa_system_sgpr_workgroup_info 0
		.amdhsa_system_vgpr_workitem_id 1
		.amdhsa_next_free_vgpr 105
		.amdhsa_next_free_sgpr 48
		.amdhsa_reserve_vcc 1
		.amdhsa_reserve_flat_scratch 0
		.amdhsa_float_round_mode_32 0
		.amdhsa_float_round_mode_16_64 0
		.amdhsa_float_denorm_mode_32 3
		.amdhsa_float_denorm_mode_16_64 3
		.amdhsa_dx10_clamp 1
		.amdhsa_ieee_mode 1
		.amdhsa_fp16_overflow 0
		.amdhsa_workgroup_processor_mode 1
		.amdhsa_memory_ordered 1
		.amdhsa_forward_progress 1
		.amdhsa_shared_vgpr_count 0
		.amdhsa_exception_fp_ieee_invalid_op 0
		.amdhsa_exception_fp_denorm_src 0
		.amdhsa_exception_fp_ieee_div_zero 0
		.amdhsa_exception_fp_ieee_overflow 0
		.amdhsa_exception_fp_ieee_underflow 0
		.amdhsa_exception_fp_ieee_inexact 0
		.amdhsa_exception_int_div_zero 0
	.end_amdhsa_kernel
	.section	.text._ZL26rocblas_hemvn_kernel_lowerILb0ELi64ELi4ELi33ELi32ELi16ElPKdS1_PdEviT6_lT7_lT5_lS4_lS5_lS3_lT8_i,"axG",@progbits,_ZL26rocblas_hemvn_kernel_lowerILb0ELi64ELi4ELi33ELi32ELi16ElPKdS1_PdEviT6_lT7_lT5_lS4_lS5_lS3_lT8_i,comdat
.Lfunc_end106:
	.size	_ZL26rocblas_hemvn_kernel_lowerILb0ELi64ELi4ELi33ELi32ELi16ElPKdS1_PdEviT6_lT7_lT5_lS4_lS5_lS3_lT8_i, .Lfunc_end106-_ZL26rocblas_hemvn_kernel_lowerILb0ELi64ELi4ELi33ELi32ELi16ElPKdS1_PdEviT6_lT7_lT5_lS4_lS5_lS3_lT8_i
                                        ; -- End function
	.set _ZL26rocblas_hemvn_kernel_lowerILb0ELi64ELi4ELi33ELi32ELi16ElPKdS1_PdEviT6_lT7_lT5_lS4_lS5_lS3_lT8_i.num_vgpr, 105
	.set _ZL26rocblas_hemvn_kernel_lowerILb0ELi64ELi4ELi33ELi32ELi16ElPKdS1_PdEviT6_lT7_lT5_lS4_lS5_lS3_lT8_i.num_agpr, 0
	.set _ZL26rocblas_hemvn_kernel_lowerILb0ELi64ELi4ELi33ELi32ELi16ElPKdS1_PdEviT6_lT7_lT5_lS4_lS5_lS3_lT8_i.numbered_sgpr, 48
	.set _ZL26rocblas_hemvn_kernel_lowerILb0ELi64ELi4ELi33ELi32ELi16ElPKdS1_PdEviT6_lT7_lT5_lS4_lS5_lS3_lT8_i.num_named_barrier, 0
	.set _ZL26rocblas_hemvn_kernel_lowerILb0ELi64ELi4ELi33ELi32ELi16ElPKdS1_PdEviT6_lT7_lT5_lS4_lS5_lS3_lT8_i.private_seg_size, 0
	.set _ZL26rocblas_hemvn_kernel_lowerILb0ELi64ELi4ELi33ELi32ELi16ElPKdS1_PdEviT6_lT7_lT5_lS4_lS5_lS3_lT8_i.uses_vcc, 1
	.set _ZL26rocblas_hemvn_kernel_lowerILb0ELi64ELi4ELi33ELi32ELi16ElPKdS1_PdEviT6_lT7_lT5_lS4_lS5_lS3_lT8_i.uses_flat_scratch, 0
	.set _ZL26rocblas_hemvn_kernel_lowerILb0ELi64ELi4ELi33ELi32ELi16ElPKdS1_PdEviT6_lT7_lT5_lS4_lS5_lS3_lT8_i.has_dyn_sized_stack, 0
	.set _ZL26rocblas_hemvn_kernel_lowerILb0ELi64ELi4ELi33ELi32ELi16ElPKdS1_PdEviT6_lT7_lT5_lS4_lS5_lS3_lT8_i.has_recursion, 0
	.set _ZL26rocblas_hemvn_kernel_lowerILb0ELi64ELi4ELi33ELi32ELi16ElPKdS1_PdEviT6_lT7_lT5_lS4_lS5_lS3_lT8_i.has_indirect_call, 0
	.section	.AMDGPU.csdata,"",@progbits
; Kernel info:
; codeLenInByte = 6820
; TotalNumSgprs: 50
; NumVgprs: 105
; ScratchSize: 0
; MemoryBound: 0
; FloatMode: 240
; IeeeMode: 1
; LDSByteSize: 9600 bytes/workgroup (compile time only)
; SGPRBlocks: 0
; VGPRBlocks: 13
; NumSGPRsForWavesPerEU: 50
; NumVGPRsForWavesPerEU: 105
; Occupancy: 9
; WaveLimiterHint : 0
; COMPUTE_PGM_RSRC2:SCRATCH_EN: 0
; COMPUTE_PGM_RSRC2:USER_SGPR: 6
; COMPUTE_PGM_RSRC2:TRAP_HANDLER: 0
; COMPUTE_PGM_RSRC2:TGID_X_EN: 1
; COMPUTE_PGM_RSRC2:TGID_Y_EN: 0
; COMPUTE_PGM_RSRC2:TGID_Z_EN: 1
; COMPUTE_PGM_RSRC2:TIDIG_COMP_CNT: 1
	.section	.text._ZL36rocblas_hemvn_kernel_lower_block_sumILi64ElPKdPddEviT1_lS3_lT2_lT0_lPT3_i,"axG",@progbits,_ZL36rocblas_hemvn_kernel_lower_block_sumILi64ElPKdPddEviT1_lS3_lT2_lT0_lPT3_i,comdat
	.globl	_ZL36rocblas_hemvn_kernel_lower_block_sumILi64ElPKdPddEviT1_lS3_lT2_lT0_lPT3_i ; -- Begin function _ZL36rocblas_hemvn_kernel_lower_block_sumILi64ElPKdPddEviT1_lS3_lT2_lT0_lPT3_i
	.p2align	8
	.type	_ZL36rocblas_hemvn_kernel_lower_block_sumILi64ElPKdPddEviT1_lS3_lT2_lT0_lPT3_i,@function
_ZL36rocblas_hemvn_kernel_lower_block_sumILi64ElPKdPddEviT1_lS3_lT2_lT0_lPT3_i: ; @_ZL36rocblas_hemvn_kernel_lower_block_sumILi64ElPKdPddEviT1_lS3_lT2_lT0_lPT3_i
; %bb.0:
	s_load_dwordx8 s[8:15], s[4:5], 0x8
	s_waitcnt lgkmcnt(0)
	s_mul_i32 s1, s11, s7
	s_mul_hi_u32 s2, s10, s7
	s_mul_i32 s0, s10, s7
	s_add_i32 s1, s2, s1
	s_mul_i32 s2, s15, s7
	s_lshl_b64 s[0:1], s[0:1], 3
	s_mul_hi_u32 s3, s14, s7
	s_add_u32 s0, s8, s0
	s_addc_u32 s1, s9, s1
	s_add_i32 s3, s3, s2
	s_mul_i32 s2, s14, s7
	s_lshl_b64 s[2:3], s[2:3], 3
	s_add_u32 s2, s12, s2
	s_addc_u32 s3, s13, s3
	s_load_dwordx2 s[8:9], s[0:1], 0x0
	s_load_dwordx2 s[10:11], s[2:3], 0x0
	s_waitcnt lgkmcnt(0)
	v_cmp_eq_f64_e64 s0, s[8:9], 0
	v_cmp_eq_f64_e64 s1, s[10:11], 1.0
	s_and_b32 s0, s0, s1
	s_and_b32 vcc_lo, exec_lo, s0
	s_cbranch_vccnz .LBB107_19
; %bb.1:
	s_clause 0x3
	s_load_dwordx2 s[14:15], s[4:5], 0x40
	s_load_dwordx2 s[16:17], s[4:5], 0x28
	s_load_dwordx4 s[0:3], s[4:5], 0x30
	s_load_dword s12, s[4:5], 0x0
	v_cmp_neq_f64_e64 s13, s[8:9], 0
	v_lshl_or_b32 v0, s6, 6, v0
	s_waitcnt lgkmcnt(0)
	s_mul_i32 s15, s15, s7
	s_mul_hi_u32 s18, s14, s7
	s_mul_i32 s14, s14, s7
	s_add_i32 s15, s18, s15
	s_lshl_b64 s[14:15], s[14:15], 3
	s_add_u32 s14, s16, s14
	s_addc_u32 s15, s17, s15
	s_lshl_b64 s[0:1], s[0:1], 3
	s_mov_b32 s16, 0
	s_add_u32 s14, s14, s0
	v_cmp_gt_i32_e64 s0, s12, v0
	s_addc_u32 s15, s15, s1
	s_and_b32 vcc_lo, exec_lo, s13
	s_cbranch_vccnz .LBB107_6
; %bb.2:
	s_mov_b32 s1, 0
                                        ; implicit-def: $vgpr3_vgpr4
                                        ; implicit-def: $vgpr1_vgpr2
	s_and_saveexec_b32 s13, s0
	s_cbranch_execz .LBB107_7
; %bb.3:
	v_cmp_eq_f64_e64 s0, s[10:11], 0
	v_ashrrev_i32_e32 v1, 31, v0
	v_mul_lo_u32 v5, s3, v0
	v_mov_b32_e32 v3, 0
	v_mov_b32_e32 v4, 0
	v_mul_lo_u32 v6, s2, v1
	v_mad_u64_u32 v[1:2], null, s2, v0, 0
	v_add3_u32 v2, v2, v6, v5
	s_and_b32 vcc_lo, exec_lo, s0
	s_cbranch_vccnz .LBB107_5
; %bb.4:
	v_lshlrev_b64 v[3:4], 3, v[1:2]
	v_add_co_u32 v3, vcc_lo, s14, v3
	v_add_co_ci_u32_e64 v4, null, s15, v4, vcc_lo
	global_load_dwordx2 v[3:4], v[3:4], off
	s_waitcnt vmcnt(0)
	v_mul_f64 v[3:4], s[10:11], v[3:4]
.LBB107_5:
	s_mov_b32 s16, exec_lo
	s_or_b32 exec_lo, exec_lo, s13
	s_and_b32 vcc_lo, exec_lo, s1
	s_cbranch_vccnz .LBB107_8
	s_branch .LBB107_17
.LBB107_6:
                                        ; implicit-def: $vgpr3_vgpr4
                                        ; implicit-def: $vgpr1_vgpr2
	s_cbranch_execnz .LBB107_8
	s_branch .LBB107_17
.LBB107_7:
	s_or_b32 exec_lo, exec_lo, s13
	s_and_b32 vcc_lo, exec_lo, s1
	s_cbranch_vccz .LBB107_17
.LBB107_8:
	s_mov_b32 s17, exec_lo
                                        ; implicit-def: $vgpr3_vgpr4
                                        ; implicit-def: $vgpr1_vgpr2
	v_cmpx_gt_i32_e64 s12, v0
	s_cbranch_execz .LBB107_16
; %bb.9:
	s_load_dword s18, s[4:5], 0x58
	v_mov_b32_e32 v5, 0
	v_mov_b32_e32 v6, 0
	s_waitcnt lgkmcnt(0)
	s_cmp_ge_i32 s6, s18
	s_cbranch_scc1 .LBB107_12
; %bb.10:
	s_load_dwordx2 s[0:1], s[4:5], 0x48
	v_mad_u64_u32 v[1:2], null, s12, s6, v[0:1]
	s_ashr_i32 s13, s12, 31
	s_mul_hi_u32 s4, s12, s7
	s_mul_i32 s5, s13, s7
	s_mul_i32 s7, s12, s7
	s_add_i32 s4, s4, s5
	s_mul_hi_u32 s5, s7, s18
	v_ashrrev_i32_e32 v2, 31, v1
	s_mul_i32 s19, s4, s18
	s_mul_i32 s4, s7, s18
	s_add_i32 s5, s5, s19
	v_mov_b32_e32 v5, 0
	v_lshlrev_b64 v[1:2], 3, v[1:2]
	s_lshl_b64 s[4:5], s[4:5], 3
	v_mov_b32_e32 v6, 0
	s_waitcnt lgkmcnt(0)
	s_add_u32 s0, s0, s4
	s_addc_u32 s1, s1, s5
	v_add_co_u32 v1, vcc_lo, s0, v1
	v_add_co_ci_u32_e64 v2, null, s1, v2, vcc_lo
	s_lshl_b64 s[0:1], s[12:13], 3
.LBB107_11:                             ; =>This Inner Loop Header: Depth=1
	global_load_dwordx2 v[3:4], v[1:2], off
	v_add_co_u32 v1, vcc_lo, v1, s0
	v_add_co_ci_u32_e64 v2, null, s1, v2, vcc_lo
	s_add_i32 s6, s6, 1
	s_cmp_ge_i32 s6, s18
	s_waitcnt vmcnt(0)
	v_add_f64 v[5:6], v[5:6], v[3:4]
	s_cbranch_scc0 .LBB107_11
.LBB107_12:
	v_cmp_eq_f64_e64 s0, s[10:11], 0
	v_ashrrev_i32_e32 v1, 31, v0
	v_mul_lo_u32 v7, s3, v0
	v_mul_lo_u32 v8, s2, v1
	s_and_b32 vcc_lo, exec_lo, s0
	s_cbranch_vccz .LBB107_20
; %bb.13:
	v_mad_u64_u32 v[1:2], null, s2, v0, 0
	v_mul_f64 v[3:4], s[8:9], v[5:6]
	v_add3_u32 v2, v2, v8, v7
	s_cbranch_execnz .LBB107_15
.LBB107_14:
	v_mad_u64_u32 v[1:2], null, s2, v0, 0
	v_add3_u32 v2, v2, v8, v7
	v_lshlrev_b64 v[3:4], 3, v[1:2]
	v_add_co_u32 v3, vcc_lo, s14, v3
	v_add_co_ci_u32_e64 v4, null, s15, v4, vcc_lo
	global_load_dwordx2 v[3:4], v[3:4], off
	s_waitcnt vmcnt(0)
	v_mul_f64 v[3:4], s[10:11], v[3:4]
	v_fma_f64 v[3:4], s[8:9], v[5:6], v[3:4]
.LBB107_15:
	s_or_b32 s16, s16, exec_lo
.LBB107_16:
	s_or_b32 exec_lo, exec_lo, s17
.LBB107_17:
	s_and_saveexec_b32 s0, s16
	s_cbranch_execz .LBB107_19
; %bb.18:
	v_lshlrev_b64 v[0:1], 3, v[1:2]
	v_add_co_u32 v0, vcc_lo, s14, v0
	v_add_co_ci_u32_e64 v1, null, s15, v1, vcc_lo
	global_store_dwordx2 v[0:1], v[3:4], off
.LBB107_19:
	s_endpgm
.LBB107_20:
                                        ; implicit-def: $vgpr3_vgpr4
                                        ; implicit-def: $vgpr1_vgpr2
	s_branch .LBB107_14
	.section	.rodata,"a",@progbits
	.p2align	6, 0x0
	.amdhsa_kernel _ZL36rocblas_hemvn_kernel_lower_block_sumILi64ElPKdPddEviT1_lS3_lT2_lT0_lPT3_i
		.amdhsa_group_segment_fixed_size 0
		.amdhsa_private_segment_fixed_size 0
		.amdhsa_kernarg_size 344
		.amdhsa_user_sgpr_count 6
		.amdhsa_user_sgpr_private_segment_buffer 1
		.amdhsa_user_sgpr_dispatch_ptr 0
		.amdhsa_user_sgpr_queue_ptr 0
		.amdhsa_user_sgpr_kernarg_segment_ptr 1
		.amdhsa_user_sgpr_dispatch_id 0
		.amdhsa_user_sgpr_flat_scratch_init 0
		.amdhsa_user_sgpr_private_segment_size 0
		.amdhsa_wavefront_size32 1
		.amdhsa_uses_dynamic_stack 0
		.amdhsa_system_sgpr_private_segment_wavefront_offset 0
		.amdhsa_system_sgpr_workgroup_id_x 1
		.amdhsa_system_sgpr_workgroup_id_y 0
		.amdhsa_system_sgpr_workgroup_id_z 1
		.amdhsa_system_sgpr_workgroup_info 0
		.amdhsa_system_vgpr_workitem_id 0
		.amdhsa_next_free_vgpr 9
		.amdhsa_next_free_sgpr 20
		.amdhsa_reserve_vcc 1
		.amdhsa_reserve_flat_scratch 0
		.amdhsa_float_round_mode_32 0
		.amdhsa_float_round_mode_16_64 0
		.amdhsa_float_denorm_mode_32 3
		.amdhsa_float_denorm_mode_16_64 3
		.amdhsa_dx10_clamp 1
		.amdhsa_ieee_mode 1
		.amdhsa_fp16_overflow 0
		.amdhsa_workgroup_processor_mode 1
		.amdhsa_memory_ordered 1
		.amdhsa_forward_progress 1
		.amdhsa_shared_vgpr_count 0
		.amdhsa_exception_fp_ieee_invalid_op 0
		.amdhsa_exception_fp_denorm_src 0
		.amdhsa_exception_fp_ieee_div_zero 0
		.amdhsa_exception_fp_ieee_overflow 0
		.amdhsa_exception_fp_ieee_underflow 0
		.amdhsa_exception_fp_ieee_inexact 0
		.amdhsa_exception_int_div_zero 0
	.end_amdhsa_kernel
	.section	.text._ZL36rocblas_hemvn_kernel_lower_block_sumILi64ElPKdPddEviT1_lS3_lT2_lT0_lPT3_i,"axG",@progbits,_ZL36rocblas_hemvn_kernel_lower_block_sumILi64ElPKdPddEviT1_lS3_lT2_lT0_lPT3_i,comdat
.Lfunc_end107:
	.size	_ZL36rocblas_hemvn_kernel_lower_block_sumILi64ElPKdPddEviT1_lS3_lT2_lT0_lPT3_i, .Lfunc_end107-_ZL36rocblas_hemvn_kernel_lower_block_sumILi64ElPKdPddEviT1_lS3_lT2_lT0_lPT3_i
                                        ; -- End function
	.set _ZL36rocblas_hemvn_kernel_lower_block_sumILi64ElPKdPddEviT1_lS3_lT2_lT0_lPT3_i.num_vgpr, 9
	.set _ZL36rocblas_hemvn_kernel_lower_block_sumILi64ElPKdPddEviT1_lS3_lT2_lT0_lPT3_i.num_agpr, 0
	.set _ZL36rocblas_hemvn_kernel_lower_block_sumILi64ElPKdPddEviT1_lS3_lT2_lT0_lPT3_i.numbered_sgpr, 20
	.set _ZL36rocblas_hemvn_kernel_lower_block_sumILi64ElPKdPddEviT1_lS3_lT2_lT0_lPT3_i.num_named_barrier, 0
	.set _ZL36rocblas_hemvn_kernel_lower_block_sumILi64ElPKdPddEviT1_lS3_lT2_lT0_lPT3_i.private_seg_size, 0
	.set _ZL36rocblas_hemvn_kernel_lower_block_sumILi64ElPKdPddEviT1_lS3_lT2_lT0_lPT3_i.uses_vcc, 1
	.set _ZL36rocblas_hemvn_kernel_lower_block_sumILi64ElPKdPddEviT1_lS3_lT2_lT0_lPT3_i.uses_flat_scratch, 0
	.set _ZL36rocblas_hemvn_kernel_lower_block_sumILi64ElPKdPddEviT1_lS3_lT2_lT0_lPT3_i.has_dyn_sized_stack, 0
	.set _ZL36rocblas_hemvn_kernel_lower_block_sumILi64ElPKdPddEviT1_lS3_lT2_lT0_lPT3_i.has_recursion, 0
	.set _ZL36rocblas_hemvn_kernel_lower_block_sumILi64ElPKdPddEviT1_lS3_lT2_lT0_lPT3_i.has_indirect_call, 0
	.section	.AMDGPU.csdata,"",@progbits
; Kernel info:
; codeLenInByte = 776
; TotalNumSgprs: 22
; NumVgprs: 9
; ScratchSize: 0
; MemoryBound: 0
; FloatMode: 240
; IeeeMode: 1
; LDSByteSize: 0 bytes/workgroup (compile time only)
; SGPRBlocks: 0
; VGPRBlocks: 1
; NumSGPRsForWavesPerEU: 22
; NumVGPRsForWavesPerEU: 9
; Occupancy: 16
; WaveLimiterHint : 0
; COMPUTE_PGM_RSRC2:SCRATCH_EN: 0
; COMPUTE_PGM_RSRC2:USER_SGPR: 6
; COMPUTE_PGM_RSRC2:TRAP_HANDLER: 0
; COMPUTE_PGM_RSRC2:TGID_X_EN: 1
; COMPUTE_PGM_RSRC2:TGID_Y_EN: 0
; COMPUTE_PGM_RSRC2:TGID_Z_EN: 1
; COMPUTE_PGM_RSRC2:TIDIG_COMP_CNT: 0
	.section	.text._ZL26rocblas_hemvn_kernel_lowerILb0ELi64ELi4ELi33ELi32ELi16EiPKdS1_PdEviT6_lT7_lT5_lS4_lS5_lS3_lT8_i,"axG",@progbits,_ZL26rocblas_hemvn_kernel_lowerILb0ELi64ELi4ELi33ELi32ELi16EiPKdS1_PdEviT6_lT7_lT5_lS4_lS5_lS3_lT8_i,comdat
	.globl	_ZL26rocblas_hemvn_kernel_lowerILb0ELi64ELi4ELi33ELi32ELi16EiPKdS1_PdEviT6_lT7_lT5_lS4_lS5_lS3_lT8_i ; -- Begin function _ZL26rocblas_hemvn_kernel_lowerILb0ELi64ELi4ELi33ELi32ELi16EiPKdS1_PdEviT6_lT7_lT5_lS4_lS5_lS3_lT8_i
	.p2align	8
	.type	_ZL26rocblas_hemvn_kernel_lowerILb0ELi64ELi4ELi33ELi32ELi16EiPKdS1_PdEviT6_lT7_lT5_lS4_lS5_lS3_lT8_i,@function
_ZL26rocblas_hemvn_kernel_lowerILb0ELi64ELi4ELi33ELi32ELi16EiPKdS1_PdEviT6_lT7_lT5_lS4_lS5_lS3_lT8_i: ; @_ZL26rocblas_hemvn_kernel_lowerILb0ELi64ELi4ELi33ELi32ELi16EiPKdS1_PdEviT6_lT7_lT5_lS4_lS5_lS3_lT8_i
; %bb.0:
	s_load_dwordx2 s[2:3], s[4:5], 0x84
	s_add_u32 s0, s4, 0x78
	s_addc_u32 s1, s5, 0
	s_waitcnt lgkmcnt(0)
	s_lshr_b32 s8, s2, 16
	s_and_b32 s2, s2, 0xffff
	s_and_b32 s3, s3, 0xffff
	s_mul_i32 s2, s8, s2
	s_mul_i32 s2, s2, s3
	s_cmpk_lg_i32 s2, 0x100
	s_cbranch_scc1 .LBB108_78
; %bb.1:
	s_clause 0x1
	s_load_dwordx8 s[16:23], s[4:5], 0x8
	s_load_dwordx8 s[8:15], s[4:5], 0x50
	s_waitcnt lgkmcnt(0)
	s_mul_i32 s3, s19, s7
	s_mul_hi_u32 s19, s18, s7
	s_mul_i32 s2, s18, s7
	s_add_i32 s3, s19, s3
	s_mul_i32 s13, s13, s7
	s_lshl_b64 s[2:3], s[2:3], 3
	s_mul_hi_u32 s18, s12, s7
	s_add_u32 s2, s16, s2
	s_addc_u32 s3, s17, s3
	s_add_i32 s13, s18, s13
	s_mul_i32 s12, s12, s7
	s_lshl_b64 s[12:13], s[12:13], 3
	s_add_u32 s10, s10, s12
	s_addc_u32 s11, s11, s13
	s_load_dwordx2 s[2:3], s[2:3], 0x0
	s_load_dwordx2 s[10:11], s[10:11], 0x0
	s_waitcnt lgkmcnt(0)
	v_cmp_eq_f64_e64 s2, s[2:3], 0
	v_cmp_eq_f64_e64 s3, s[10:11], 1.0
	s_and_b32 s3, s2, s3
	s_and_b32 vcc_lo, exec_lo, s3
	s_cbranch_vccnz .LBB108_78
; %bb.2:
	s_and_b32 vcc_lo, exec_lo, s2
	s_cbranch_vccnz .LBB108_78
; %bb.3:
	s_clause 0x2
	s_load_dwordx4 s[16:19], s[4:5], 0x30
	s_load_dwordx2 s[2:3], s[4:5], 0x40
	s_load_dword s24, s[4:5], 0x48
	s_mul_i32 s9, s9, s7
	s_mul_hi_u32 s10, s8, s7
	s_mul_i32 s8, s8, s7
	s_add_i32 s9, s10, s9
	s_load_dword s25, s[4:5], 0x0
	s_lshl_b64 s[8:9], s[8:9], 3
	s_load_dword s26, s[0:1], 0x0
	v_mov_b32_e32 v2, v1
	s_waitcnt lgkmcnt(0)
	s_add_u32 s8, s18, s8
	s_addc_u32 s9, s19, s9
	s_lshl_b64 s[2:3], s[2:3], 3
	s_add_u32 s2, s8, s2
	s_addc_u32 s3, s9, s3
	s_lshl_b32 s12, s6, 6
	s_ashr_i32 s27, s25, 31
	v_add_nc_u32_e32 v35, s12, v0
	s_lshr_b32 s0, s27, 26
	s_add_i32 s8, s26, -1
	s_add_i32 s1, s25, s0
	v_cmp_ne_u32_e64 s0, 0, v2
	v_mul_lo_u32 v3, s24, v35
	s_andn2_b32 s1, s1, 63
	s_sub_i32 s9, s25, s1
	v_cmp_eq_u32_e64 s1, 0, v2
	s_cmp_eq_u32 s6, s8
	s_cselect_b32 s18, s9, 0
	v_ashrrev_i32_e32 v4, 31, v3
	v_lshlrev_b64 v[3:4], 3, v[3:4]
	v_add_co_u32 v19, vcc_lo, s2, v3
	v_add_co_ci_u32_e64 v20, null, s3, v4, vcc_lo
	s_and_saveexec_b32 s2, s1
	s_cbranch_execz .LBB108_7
; %bb.4:
	v_cmp_gt_i32_e32 vcc_lo, s18, v0
	s_cmp_eq_u32 s18, 0
	v_mov_b32_e32 v3, 0
	v_mov_b32_e32 v4, 0
	s_cselect_b32 s3, -1, 0
	s_or_b32 s8, s3, vcc_lo
	s_and_saveexec_b32 s3, s8
	s_cbranch_execz .LBB108_6
; %bb.5:
	global_load_dwordx2 v[3:4], v[19:20], off
.LBB108_6:
	s_or_b32 exec_lo, exec_lo, s3
	v_lshlrev_b32_e32 v1, 3, v0
	s_waitcnt vmcnt(0)
	ds_write_b64 v1, v[3:4] offset:9088
.LBB108_7:
	s_or_b32 exec_lo, exec_lo, s2
	s_load_dword s10, s[4:5], 0x28
	v_lshl_add_u32 v25, v2, 6, v0
	v_and_b32_e32 v1, 31, v0
	s_mul_i32 s3, s17, s7
	s_mul_hi_u32 s4, s16, s7
	s_mul_i32 s2, s16, s7
	v_lshrrev_b32_e32 v13, 5, v25
	s_add_i32 s3, s4, s3
	s_lshl_b64 s[2:3], s[2:3], 3
	s_add_u32 s4, s20, s2
	s_addc_u32 s5, s21, s3
	s_lshl_b64 s[2:3], s[22:23], 3
	s_add_u32 s4, s4, s2
	s_addc_u32 s5, s5, s3
	s_ashr_i32 s13, s12, 31
	s_lshl_b64 s[2:3], s[12:13], 3
	s_waitcnt lgkmcnt(0)
	v_mad_u64_u32 v[3:4], null, s10, v13, v[1:2]
	s_add_u32 s4, s4, s2
	s_mul_i32 s2, s10, s12
	s_addc_u32 s5, s5, s3
	s_ashr_i32 s3, s2, 31
	s_lshl_b64 s[16:17], s[2:3], 3
	v_ashrrev_i32_e32 v4, 31, v3
	s_cmp_lg_u32 s18, 0
	s_mov_b32 s2, -1
	s_cselect_b32 s13, -1, 0
	s_cmp_eq_u32 s18, 0
	v_lshlrev_b64 v[21:22], 3, v[3:4]
	s_cselect_b32 s9, -1, 0
	v_add_co_u32 v3, vcc_lo, s4, v21
	v_add_co_ci_u32_e64 v4, null, s5, v22, vcc_lo
	v_add_co_u32 v3, vcc_lo, v3, s16
	v_add_co_ci_u32_e64 v4, null, s17, v4, vcc_lo
	s_and_b32 vcc_lo, exec_lo, s13
	s_cbranch_vccnz .LBB108_9
; %bb.8:
	s_lshl_b32 s2, s10, 3
	s_ashr_i32 s11, s10, 31
	s_ashr_i32 s3, s2, 31
	v_mul_u32_u24_e32 v14, 0x108, v13
	s_lshl_b64 s[2:3], s[2:3], 3
	v_add_co_u32 v5, vcc_lo, v3, s2
	v_add_co_ci_u32_e64 v6, null, s3, v4, vcc_lo
	s_lshl_b64 s[2:3], s[10:11], 6
	v_lshl_add_u32 v14, v1, 3, v14
	v_add_co_u32 v7, vcc_lo, v5, s2
	v_add_co_ci_u32_e64 v8, null, s3, v6, vcc_lo
	v_add_co_u32 v9, vcc_lo, v7, s2
	v_add_co_ci_u32_e64 v10, null, s3, v8, vcc_lo
	s_clause 0x3
	global_load_dwordx2 v[11:12], v[3:4], off
	global_load_dwordx2 v[5:6], v[5:6], off
	;; [unrolled: 1-line block ×4, first 2 shown]
	s_mov_b32 s2, 0
	s_waitcnt vmcnt(3)
	ds_write_b64 v14, v[11:12]
	s_waitcnt vmcnt(2)
	ds_write_b64 v14, v[5:6] offset:2112
	s_waitcnt vmcnt(1)
	ds_write_b64 v14, v[7:8] offset:4224
	;; [unrolled: 2-line block ×3, first 2 shown]
.LBB108_9:
	v_lshlrev_b32_e32 v14, 3, v1
	s_andn2_b32 vcc_lo, exec_lo, s2
	s_cbranch_vccnz .LBB108_19
; %bb.10:
	v_sub_co_u32 v5, vcc_lo, v3, v14
	s_ashr_i32 s19, s18, 31
	v_subrev_co_ci_u32_e64 v6, null, 0, v4, vcc_lo
	s_lshl_b64 s[4:5], s[18:19], 3
	v_mov_b32_e32 v9, 0
	v_add_co_u32 v5, vcc_lo, v5, s4
	v_add_co_ci_u32_e64 v6, null, s5, v6, vcc_lo
	v_mov_b32_e32 v7, 0
	v_add_co_u32 v5, vcc_lo, v5, -8
	v_add_co_ci_u32_e64 v6, null, -1, v6, vcc_lo
	v_cmp_gt_i32_e32 vcc_lo, s18, v1
	v_mov_b32_e32 v10, 0
	v_mov_b32_e32 v8, 0
	s_mov_b32 s3, exec_lo
	v_cndmask_b32_e32 v6, v6, v4, vcc_lo
	v_cndmask_b32_e32 v5, v5, v3, vcc_lo
	v_cmpx_gt_i32_e64 s18, v13
	s_cbranch_execz .LBB108_12
; %bb.11:
	global_load_dwordx2 v[7:8], v[5:6], off
.LBB108_12:
	s_or_b32 exec_lo, exec_lo, s3
	v_add_nc_u32_e32 v12, 8, v13
	v_mul_u32_u24_e32 v11, 0x108, v13
	v_mad_u32_u24 v15, 0x108, v13, v14
	s_mov_b32 s3, exec_lo
	s_waitcnt vmcnt(0)
	ds_write_b64 v15, v[7:8]
	v_cmpx_gt_i32_e64 s18, v12
	s_cbranch_execz .LBB108_14
; %bb.13:
	s_lshl_b32 s20, s10, 3
	s_ashr_i32 s21, s20, 31
	s_lshl_b64 s[20:21], s[20:21], 3
	v_add_co_u32 v7, s2, v5, s20
	v_add_co_ci_u32_e64 v8, null, s21, v6, s2
	global_load_dwordx2 v[9:10], v[7:8], off
.LBB108_14:
	s_or_b32 exec_lo, exec_lo, s3
	v_add_nc_u32_e32 v15, v11, v14
	v_mov_b32_e32 v7, 0
	v_mov_b32_e32 v11, 0
	v_add_nc_u32_e32 v16, 16, v13
	v_mov_b32_e32 v8, 0
	v_mov_b32_e32 v12, 0
	s_mov_b32 s3, exec_lo
	s_waitcnt vmcnt(0)
	ds_write_b64 v15, v[9:10] offset:2112
	v_cmpx_gt_i32_e64 s18, v16
	s_cbranch_execz .LBB108_16
; %bb.15:
	s_lshl_b32 s20, s10, 4
	s_ashr_i32 s21, s20, 31
	s_lshl_b64 s[20:21], s[20:21], 3
	v_add_co_u32 v9, s2, v5, s20
	v_add_co_ci_u32_e64 v10, null, s21, v6, s2
	global_load_dwordx2 v[11:12], v[9:10], off
.LBB108_16:
	s_or_b32 exec_lo, exec_lo, s3
	v_add_nc_u32_e32 v9, 24, v13
	s_mov_b32 s3, exec_lo
	s_waitcnt vmcnt(0)
	ds_write_b64 v15, v[11:12] offset:4224
	v_cmpx_gt_i32_e64 s18, v9
	s_cbranch_execz .LBB108_18
; %bb.17:
	s_mul_i32 s20, s10, 24
	s_ashr_i32 s21, s20, 31
	s_lshl_b64 s[20:21], s[20:21], 3
	v_add_co_u32 v7, s2, v5, s20
	v_add_co_ci_u32_e64 v8, null, s21, v6, s2
	global_load_dwordx2 v[7:8], v[7:8], off
.LBB108_18:
	s_or_b32 exec_lo, exec_lo, s3
	v_add_co_u32 v5, s2, v5, v14
	v_add_co_ci_u32_e64 v6, null, 0, v6, s2
	s_waitcnt vmcnt(0)
	ds_write_b64 v15, v[7:8] offset:6336
	v_sub_co_u32 v5, s2, v5, s4
	v_subrev_co_ci_u32_e64 v6, null, s5, v6, s2
	v_add_co_u32 v5, s2, v5, 8
	v_add_co_ci_u32_e64 v6, null, 0, v6, s2
	v_cndmask_b32_e32 v3, v5, v3, vcc_lo
	v_cndmask_b32_e32 v4, v6, v4, vcc_lo
.LBB108_19:
	v_lshlrev_b32_e32 v11, 2, v13
	v_lshl_or_b32 v7, v1, 8, v14
	v_mad_u32_u24 v6, 0x420, v13, v14
	s_waitcnt lgkmcnt(0)
	s_barrier
	v_cmp_lt_u32_e64 s3, v11, v1
	buffer_gl0_inv
	s_and_saveexec_b32 s2, s3
	s_cbranch_execz .LBB108_21
; %bb.20:
	ds_read_b64 v[8:9], v6
	v_lshl_add_u32 v5, v11, 3, v7
	s_waitcnt lgkmcnt(0)
	ds_write_b64 v5, v[8:9]
.LBB108_21:
	s_or_b32 exec_lo, exec_lo, s2
	v_or_b32_e32 v12, 1, v11
	v_cmp_lt_u32_e64 s4, v12, v1
	v_mad_u32_u24 v5, 0x108, v12, v14
	s_and_saveexec_b32 s2, s4
	s_cbranch_execz .LBB108_23
; %bb.22:
	ds_read_b64 v[8:9], v5
	v_lshl_add_u32 v10, v11, 3, v7
	s_waitcnt lgkmcnt(0)
	ds_write_b64 v10, v[8:9] offset:8
.LBB108_23:
	s_or_b32 exec_lo, exec_lo, s2
	v_or_b32_e32 v8, 2, v11
	v_cmp_lt_u32_e64 s5, v8, v1
	s_and_saveexec_b32 s2, s5
	s_cbranch_execz .LBB108_25
; %bb.24:
	v_mad_u32_u24 v8, 0x108, v8, v14
	v_lshl_add_u32 v10, v11, 3, v7
	ds_read_b64 v[8:9], v8
	s_waitcnt lgkmcnt(0)
	ds_write_b64 v10, v[8:9] offset:16
.LBB108_25:
	s_or_b32 exec_lo, exec_lo, s2
	v_or_b32_e32 v9, 3, v11
	s_mov_b32 s2, exec_lo
                                        ; implicit-def: $vgpr8
	v_cmp_lt_u32_e64 s8, v9, v1
	v_cmpx_ge_u32_e64 v9, v1
	s_xor_b32 s2, exec_lo, s2
; %bb.26:
	v_mul_u32_u24_e32 v8, 0x108, v9
                                        ; implicit-def: $vgpr7
                                        ; implicit-def: $vgpr9
; %bb.27:
	s_andn2_saveexec_b32 s2, s2
	s_cbranch_execz .LBB108_29
; %bb.28:
	v_mad_u32_u24 v8, 0x108, v9, v14
	v_lshl_add_u32 v7, v11, 3, v7
	ds_read_b64 v[15:16], v8
	v_mul_u32_u24_e32 v8, 0x108, v9
	s_waitcnt lgkmcnt(0)
	ds_write_b64 v7, v[15:16] offset:24
.LBB108_29:
	s_or_b32 exec_lo, exec_lo, s2
	v_lshlrev_b32_e32 v15, 3, v11
	s_waitcnt lgkmcnt(0)
	s_barrier
	buffer_gl0_inv
	ds_read_b64 v[17:18], v6
	ds_read_b128 v[26:29], v15 offset:9088
	v_add_nc_u32_e32 v16, v14, v8
	ds_read_b128 v[6:9], v15 offset:9104
	ds_read_b64 v[23:24], v16
	ds_read2_b64 v[30:33], v5 offset1:33
	v_mov_b32_e32 v36, 0
	v_mov_b32_e32 v37, 0
	v_cmp_gt_u32_e64 s2, 32, v25
	s_waitcnt lgkmcnt(0)
	s_barrier
	buffer_gl0_inv
	v_fma_f64 v[17:18], v[17:18], v[26:27], 0
	v_fma_f64 v[17:18], v[30:31], v[28:29], v[17:18]
	;; [unrolled: 1-line block ×3, first 2 shown]
	v_mul_u32_u24_e32 v7, 33, v1
	v_lshlrev_b32_e32 v26, 3, v7
	v_lshl_add_u32 v27, v13, 3, v26
	v_fma_f64 v[5:6], v[23:24], v[8:9], v[5:6]
	ds_write_b64 v27, v[5:6]
	s_waitcnt lgkmcnt(0)
	s_barrier
	buffer_gl0_inv
	s_and_saveexec_b32 s11, s2
	s_cbranch_execz .LBB108_31
; %bb.30:
	ds_read2_b64 v[5:8], v26 offset1:1
	ds_read2_b64 v[28:31], v26 offset0:2 offset1:3
	s_waitcnt lgkmcnt(1)
	v_add_f64 v[5:6], v[5:6], v[7:8]
	s_waitcnt lgkmcnt(0)
	v_add_f64 v[5:6], v[5:6], v[28:29]
	v_add_f64 v[9:10], v[5:6], v[30:31]
	ds_read2_b64 v[5:8], v26 offset0:4 offset1:5
	ds_read2_b64 v[28:31], v26 offset0:6 offset1:7
	s_waitcnt lgkmcnt(1)
	v_add_f64 v[5:6], v[9:10], v[5:6]
	v_add_f64 v[5:6], v[5:6], v[7:8]
	s_waitcnt lgkmcnt(0)
	v_add_f64 v[5:6], v[5:6], v[28:29]
	v_add_f64 v[36:37], v[5:6], v[30:31]
.LBB108_31:
	s_or_b32 exec_lo, exec_lo, s11
	s_lshl_b32 s20, s10, 5
	v_cndmask_b32_e64 v17, 0, 1, s9
	s_ashr_i32 s21, s20, 31
	s_lshl_b64 s[20:21], s[20:21], 3
	s_barrier
	v_add_co_u32 v3, vcc_lo, v3, s20
	v_add_co_ci_u32_e64 v4, null, s21, v4, vcc_lo
	buffer_gl0_inv
	v_add_co_u32 v18, vcc_lo, 0x100, v3
	v_add_co_ci_u32_e64 v24, null, 0, v4, vcc_lo
	s_andn2_b32 vcc_lo, exec_lo, s9
	s_mov_b32 s9, -1
	s_cbranch_vccnz .LBB108_33
; %bb.32:
	s_lshl_b32 s22, s10, 3
	s_ashr_i32 s11, s10, 31
	s_ashr_i32 s23, s22, 31
	v_mad_u32_u24 v23, 0x108, v13, v14
	s_lshl_b64 s[22:23], s[22:23], 3
	s_mov_b32 s9, 0
	v_add_co_u32 v5, vcc_lo, v3, s22
	v_add_co_ci_u32_e64 v6, null, s23, v4, vcc_lo
	s_lshl_b64 s[22:23], s[10:11], 6
	v_add_co_u32 v7, vcc_lo, v5, s22
	v_add_co_ci_u32_e64 v8, null, s23, v6, vcc_lo
	v_add_co_u32 v9, vcc_lo, v7, s22
	v_add_co_ci_u32_e64 v10, null, s23, v8, vcc_lo
	s_clause 0x3
	global_load_dwordx2 v[28:29], v[3:4], off offset:256
	global_load_dwordx2 v[5:6], v[5:6], off offset:256
	;; [unrolled: 1-line block ×4, first 2 shown]
	s_waitcnt vmcnt(3)
	ds_write_b64 v23, v[28:29]
	s_waitcnt vmcnt(2)
	ds_write_b64 v23, v[5:6] offset:2112
	s_waitcnt vmcnt(1)
	ds_write_b64 v23, v[7:8] offset:4224
	;; [unrolled: 2-line block ×3, first 2 shown]
.LBB108_33:
	s_andn2_b32 vcc_lo, exec_lo, s9
	s_cbranch_vccnz .LBB108_43
; %bb.34:
	v_sub_co_u32 v3, vcc_lo, v3, v14
	s_ashr_i32 s19, s18, 31
	v_subrev_co_ci_u32_e64 v4, null, 0, v4, vcc_lo
	s_lshl_b64 s[22:23], s[18:19], 3
	v_or_b32_e32 v5, 32, v1
	v_add_co_u32 v3, vcc_lo, v3, s22
	v_add_co_ci_u32_e64 v4, null, s23, v4, vcc_lo
	v_mov_b32_e32 v7, 0
	v_add_co_u32 v3, vcc_lo, v3, -8
	v_add_co_ci_u32_e64 v4, null, -1, v4, vcc_lo
	v_cmp_gt_i32_e32 vcc_lo, s18, v5
	v_mov_b32_e32 v5, 0
	v_mov_b32_e32 v8, 0
	;; [unrolled: 1-line block ×3, first 2 shown]
	s_sub_i32 s11, s18, 32
	v_cndmask_b32_e32 v4, v4, v24, vcc_lo
	v_cndmask_b32_e32 v3, v3, v18, vcc_lo
	s_mov_b32 s19, exec_lo
	v_cmpx_gt_i32_e64 s11, v13
	s_cbranch_execz .LBB108_36
; %bb.35:
	global_load_dwordx2 v[5:6], v[3:4], off
.LBB108_36:
	s_or_b32 exec_lo, exec_lo, s19
	v_add_nc_u32_e32 v10, 8, v13
	v_mul_u32_u24_e32 v9, 0x108, v13
	v_mad_u32_u24 v23, 0x108, v13, v14
	s_mov_b32 s19, exec_lo
	s_waitcnt vmcnt(0)
	ds_write_b64 v23, v[5:6]
	v_cmpx_gt_i32_e64 s11, v10
	s_cbranch_execz .LBB108_38
; %bb.37:
	s_lshl_b32 s28, s10, 3
	s_ashr_i32 s29, s28, 31
	s_lshl_b64 s[28:29], s[28:29], 3
	v_add_co_u32 v5, s9, v3, s28
	v_add_co_ci_u32_e64 v6, null, s29, v4, s9
	global_load_dwordx2 v[7:8], v[5:6], off
.LBB108_38:
	s_or_b32 exec_lo, exec_lo, s19
	v_add_nc_u32_e32 v23, v9, v14
	v_mov_b32_e32 v5, 0
	v_mov_b32_e32 v9, 0
	v_add_nc_u32_e32 v28, 16, v13
	v_mov_b32_e32 v6, 0
	v_mov_b32_e32 v10, 0
	s_mov_b32 s19, exec_lo
	s_waitcnt vmcnt(0)
	ds_write_b64 v23, v[7:8] offset:2112
	v_cmpx_gt_i32_e64 s11, v28
	s_cbranch_execz .LBB108_40
; %bb.39:
	s_lshl_b32 s28, s10, 4
	s_ashr_i32 s29, s28, 31
	s_lshl_b64 s[28:29], s[28:29], 3
	v_add_co_u32 v7, s9, v3, s28
	v_add_co_ci_u32_e64 v8, null, s29, v4, s9
	global_load_dwordx2 v[9:10], v[7:8], off
.LBB108_40:
	s_or_b32 exec_lo, exec_lo, s19
	v_add_nc_u32_e32 v7, 24, v13
	s_waitcnt vmcnt(0)
	ds_write_b64 v23, v[9:10] offset:4224
	v_cmp_gt_i32_e64 s9, s11, v7
	s_and_saveexec_b32 s11, s9
	s_cbranch_execz .LBB108_42
; %bb.41:
	s_mul_i32 s28, s10, 24
	s_ashr_i32 s29, s28, 31
	s_lshl_b64 s[28:29], s[28:29], 3
	v_add_co_u32 v5, s9, v3, s28
	v_add_co_ci_u32_e64 v6, null, s29, v4, s9
	global_load_dwordx2 v[5:6], v[5:6], off
.LBB108_42:
	s_or_b32 exec_lo, exec_lo, s11
	v_add_co_u32 v3, s9, v3, v14
	v_add_co_ci_u32_e64 v4, null, 0, v4, s9
	s_waitcnt vmcnt(0)
	ds_write_b64 v23, v[5:6] offset:6336
	v_sub_co_u32 v3, s9, v3, s22
	v_subrev_co_ci_u32_e64 v4, null, s23, v4, s9
	v_add_co_u32 v3, s9, 0x108, v3
	v_add_co_ci_u32_e64 v4, null, 0, v4, s9
	v_cndmask_b32_e32 v18, v3, v18, vcc_lo
	v_cndmask_b32_e32 v24, v4, v24, vcc_lo
.LBB108_43:
	v_mul_u32_u24_e32 v4, 0x420, v13
	v_add_nc_u32_e32 v15, 0x2380, v15
	v_mul_u32_u24_e32 v3, 0x108, v12
	s_waitcnt lgkmcnt(0)
	s_barrier
	v_add_nc_u32_e32 v4, v14, v4
	buffer_gl0_inv
	s_and_saveexec_b32 s9, s3
	s_cbranch_execnz .LBB108_52
; %bb.44:
	s_or_b32 exec_lo, exec_lo, s9
	v_add_nc_u32_e32 v3, v14, v3
	s_and_saveexec_b32 s3, s4
	s_cbranch_execnz .LBB108_53
.LBB108_45:
	s_or_b32 exec_lo, exec_lo, s3
	s_and_saveexec_b32 s3, s5
	s_cbranch_execnz .LBB108_54
.LBB108_46:
	s_or_b32 exec_lo, exec_lo, s3
	s_and_saveexec_b32 s3, s8
	s_cbranch_execz .LBB108_48
.LBB108_47:
	ds_read_b64 v[5:6], v16
	v_lshl_add_u32 v7, v11, 3, v26
	s_waitcnt lgkmcnt(0)
	ds_write_b64 v7, v[5:6] offset:24
.LBB108_48:
	s_or_b32 exec_lo, exec_lo, s3
	s_waitcnt lgkmcnt(0)
	s_barrier
	buffer_gl0_inv
	ds_read_b64 v[8:9], v4
	ds_read_b128 v[4:7], v15 offset:256
	ds_read_b128 v[28:31], v15 offset:272
	ds_read_b64 v[32:33], v16
	ds_read2_b64 v[38:41], v3 offset1:33
	v_cmp_eq_u32_e64 s3, 1, v13
	s_waitcnt lgkmcnt(0)
	s_barrier
	buffer_gl0_inv
	v_fma_f64 v[4:5], v[8:9], v[4:5], 0
	v_fma_f64 v[3:4], v[38:39], v[6:7], v[4:5]
	;; [unrolled: 1-line block ×4, first 2 shown]
	ds_write_b64 v27, v[3:4]
	s_waitcnt lgkmcnt(0)
	s_barrier
	buffer_gl0_inv
	s_and_saveexec_b32 s4, s3
	s_cbranch_execz .LBB108_50
; %bb.49:
	ds_read2_b64 v[3:6], v26 offset1:1
	ds_read2_b64 v[7:10], v26 offset0:2 offset1:3
	s_waitcnt lgkmcnt(1)
	v_add_f64 v[3:4], v[3:4], v[5:6]
	s_waitcnt lgkmcnt(0)
	v_add_f64 v[3:4], v[3:4], v[7:8]
	v_add_f64 v[28:29], v[3:4], v[9:10]
	ds_read2_b64 v[3:6], v26 offset0:4 offset1:5
	ds_read2_b64 v[7:10], v26 offset0:6 offset1:7
	s_waitcnt lgkmcnt(1)
	v_add_f64 v[3:4], v[28:29], v[3:4]
	v_add_f64 v[3:4], v[3:4], v[5:6]
	s_waitcnt lgkmcnt(0)
	v_add_f64 v[3:4], v[3:4], v[7:8]
	v_add_f64 v[36:37], v[3:4], v[9:10]
.LBB108_50:
	s_or_b32 exec_lo, exec_lo, s4
	v_cmp_ne_u32_e32 vcc_lo, 1, v17
	v_sub_co_u32 v23, s4, v18, s20
	v_subrev_co_ci_u32_e64 v24, null, s21, v24, s4
	s_barrier
	buffer_gl0_inv
	s_cbranch_vccnz .LBB108_55
; %bb.51:
	s_lshl_b32 s4, s10, 3
	s_ashr_i32 s11, s10, 31
	s_ashr_i32 s5, s4, 31
	global_load_dwordx2 v[3:4], v[23:24], off
	s_lshl_b64 s[4:5], s[4:5], 3
	v_mul_u32_u24_e32 v12, 0x108, v13
	v_add_co_u32 v5, vcc_lo, v23, s4
	v_add_co_ci_u32_e64 v6, null, s5, v24, vcc_lo
	s_lshl_b64 s[4:5], s[10:11], 6
	v_add_nc_u32_e32 v16, 8, v13
	v_add_co_u32 v7, vcc_lo, v5, s4
	v_add_co_ci_u32_e64 v8, null, s5, v6, vcc_lo
	v_add_nc_u32_e32 v17, 16, v13
	v_add_co_u32 v9, vcc_lo, v7, s4
	v_add_co_ci_u32_e64 v10, null, s5, v8, vcc_lo
	s_clause 0x2
	global_load_dwordx2 v[5:6], v[5:6], off
	global_load_dwordx2 v[28:29], v[7:8], off
	;; [unrolled: 1-line block ×3, first 2 shown]
	v_mad_u32_u24 v8, 0x108, v13, v14
	s_movk_i32 s4, 0x840
	s_movk_i32 s5, 0x1080
	v_mad_u32_u24 v18, 0x108, v13, s4
	s_movk_i32 s4, 0x18c0
	v_mad_u32_u24 v7, 0x108, v13, s5
	v_add_nc_u32_e32 v30, v14, v7
	s_waitcnt vmcnt(3)
	ds_write_b64 v8, v[3:4]
	v_mad_u32_u24 v3, 0x108, v13, s4
	v_add_nc_u32_e32 v4, v14, v18
	v_add_nc_u32_e32 v8, 24, v13
	s_waitcnt vmcnt(2)
	ds_write_b64 v4, v[5:6]
	s_waitcnt vmcnt(1)
	ds_write_b64 v30, v[28:29]
	v_add_nc_u32_e32 v31, v14, v3
	s_waitcnt vmcnt(0)
	ds_write_b64 v31, v[9:10]
	s_cbranch_execz .LBB108_56
	s_branch .LBB108_65
.LBB108_52:
	ds_read_b64 v[5:6], v4
	v_lshl_add_u32 v7, v11, 3, v26
	s_waitcnt lgkmcnt(0)
	ds_write_b64 v7, v[5:6]
	s_or_b32 exec_lo, exec_lo, s9
	v_add_nc_u32_e32 v3, v14, v3
	s_and_saveexec_b32 s3, s4
	s_cbranch_execz .LBB108_45
.LBB108_53:
	ds_read_b64 v[5:6], v3
	v_lshl_add_u32 v7, v11, 3, v26
	s_waitcnt lgkmcnt(0)
	ds_write_b64 v7, v[5:6] offset:8
	s_or_b32 exec_lo, exec_lo, s3
	s_and_saveexec_b32 s3, s5
	s_cbranch_execz .LBB108_46
.LBB108_54:
	ds_read_b64 v[5:6], v3 offset:264
	v_lshl_add_u32 v7, v11, 3, v26
	s_waitcnt lgkmcnt(0)
	ds_write_b64 v7, v[5:6] offset:16
	s_or_b32 exec_lo, exec_lo, s3
	s_and_saveexec_b32 s3, s8
	s_cbranch_execnz .LBB108_47
	s_branch .LBB108_48
.LBB108_55:
                                        ; implicit-def: $vgpr12
                                        ; implicit-def: $vgpr16
                                        ; implicit-def: $vgpr18
                                        ; implicit-def: $vgpr17
                                        ; implicit-def: $vgpr7
                                        ; implicit-def: $vgpr8
                                        ; implicit-def: $vgpr3
.LBB108_56:
	v_sub_co_u32 v3, vcc_lo, v23, v14
	s_ashr_i32 s19, s18, 31
	v_subrev_co_ci_u32_e64 v4, null, 0, v24, vcc_lo
	s_lshl_b64 s[8:9], s[18:19], 3
	v_or_b32_e32 v1, 32, v1
	v_add_co_u32 v3, vcc_lo, v3, s8
	v_add_co_ci_u32_e64 v4, null, s9, v4, vcc_lo
	v_mov_b32_e32 v7, 0
	v_add_co_u32 v3, vcc_lo, 0xfffffef8, v3
	v_add_co_ci_u32_e64 v4, null, -1, v4, vcc_lo
	v_cmp_gt_i32_e32 vcc_lo, s18, v1
	v_mov_b32_e32 v5, 0
	v_mov_b32_e32 v8, 0
	;; [unrolled: 1-line block ×3, first 2 shown]
	s_mov_b32 s5, exec_lo
	v_cndmask_b32_e32 v4, v4, v24, vcc_lo
	v_cndmask_b32_e32 v3, v3, v23, vcc_lo
	v_cmpx_gt_i32_e64 s18, v13
	s_cbranch_execz .LBB108_58
; %bb.57:
	global_load_dwordx2 v[5:6], v[3:4], off
.LBB108_58:
	s_or_b32 exec_lo, exec_lo, s5
	v_add_nc_u32_e32 v16, 8, v13
	v_mul_u32_u24_e32 v12, 0x108, v13
	v_mad_u32_u24 v1, 0x108, v13, v14
	s_mov_b32 s5, exec_lo
	s_waitcnt vmcnt(0)
	ds_write_b64 v1, v[5:6]
	v_cmpx_gt_i32_e64 s18, v16
	s_cbranch_execz .LBB108_60
; %bb.59:
	s_lshl_b32 s20, s10, 3
	s_ashr_i32 s21, s20, 31
	s_lshl_b64 s[20:21], s[20:21], 3
	v_add_co_u32 v5, s4, v3, s20
	v_add_co_ci_u32_e64 v6, null, s21, v4, s4
	global_load_dwordx2 v[7:8], v[5:6], off
.LBB108_60:
	s_or_b32 exec_lo, exec_lo, s5
	v_add_nc_u32_e32 v18, 0x840, v12
	v_mov_b32_e32 v5, 0
	v_mov_b32_e32 v9, 0
	v_add_nc_u32_e32 v17, 16, v13
	v_mov_b32_e32 v6, 0
	v_add_nc_u32_e32 v1, v14, v18
	v_mov_b32_e32 v10, 0
	s_mov_b32 s5, exec_lo
	s_waitcnt vmcnt(0)
	ds_write_b64 v1, v[7:8]
	v_cmpx_gt_i32_e64 s18, v17
	s_cbranch_execz .LBB108_62
; %bb.61:
	s_lshl_b32 s20, s10, 4
	s_ashr_i32 s21, s20, 31
	s_lshl_b64 s[20:21], s[20:21], 3
	v_add_co_u32 v7, s4, v3, s20
	v_add_co_ci_u32_e64 v8, null, s21, v4, s4
	global_load_dwordx2 v[9:10], v[7:8], off
.LBB108_62:
	s_or_b32 exec_lo, exec_lo, s5
	v_add_nc_u32_e32 v7, 0x840, v18
	v_add_nc_u32_e32 v8, 24, v13
	s_mov_b32 s5, exec_lo
	v_add_nc_u32_e32 v1, v14, v7
	s_waitcnt vmcnt(0)
	ds_write_b64 v1, v[9:10]
	v_cmpx_gt_i32_e64 s18, v8
	s_cbranch_execz .LBB108_64
; %bb.63:
	s_mul_i32 s20, s10, 24
	s_ashr_i32 s21, s20, 31
	s_lshl_b64 s[20:21], s[20:21], 3
	v_add_co_u32 v5, s4, v3, s20
	v_add_co_ci_u32_e64 v6, null, s21, v4, s4
	global_load_dwordx2 v[5:6], v[5:6], off
.LBB108_64:
	s_or_b32 exec_lo, exec_lo, s5
	v_add_co_u32 v1, s4, v3, v14
	v_add_co_ci_u32_e64 v3, null, 0, v4, s4
	v_sub_co_u32 v1, s4, v1, s8
	v_subrev_co_ci_u32_e64 v4, null, s9, v3, s4
	v_add_nc_u32_e32 v3, 0x840, v7
	v_add_co_u32 v1, s4, 0x108, v1
	v_add_co_ci_u32_e64 v4, null, 0, v4, s4
	v_add_nc_u32_e32 v9, v14, v3
	v_cndmask_b32_e32 v23, v1, v23, vcc_lo
	v_cndmask_b32_e32 v24, v4, v24, vcc_lo
	s_waitcnt vmcnt(0)
	ds_write_b64 v9, v[5:6]
.LBB108_65:
	v_add_nc_u32_e32 v1, v14, v12
	v_lshlrev_b32_e32 v6, 3, v13
	s_waitcnt lgkmcnt(0)
	s_barrier
	buffer_gl0_inv
	ds_read_b64 v[4:5], v1
	ds_read_b64 v[9:10], v6 offset:9088
	v_add_nc_u32_e32 v1, v14, v18
	v_lshlrev_b32_e32 v6, 3, v16
	ds_read_b64 v[12:13], v1
	ds_read_b64 v[28:29], v6 offset:9088
	v_add_nc_u32_e32 v1, v14, v7
	s_waitcnt lgkmcnt(2)
	v_fma_f64 v[4:5], v[4:5], v[9:10], 0
	v_lshlrev_b32_e32 v9, 3, v17
	ds_read_b64 v[6:7], v1
	ds_read_b64 v[9:10], v9 offset:9088
	v_add_nc_u32_e32 v1, v14, v3
	v_lshlrev_b32_e32 v3, 3, v8
	s_waitcnt lgkmcnt(2)
	v_fma_f64 v[4:5], v[12:13], v[28:29], v[4:5]
	ds_read_b64 v[12:13], v1
	ds_read_b64 v[16:17], v3 offset:9088
	v_lshl_add_u32 v1, v11, 3, v26
	s_waitcnt lgkmcnt(2)
	v_fma_f64 v[3:4], v[6:7], v[9:10], v[4:5]
	s_waitcnt lgkmcnt(0)
	v_fma_f64 v[28:29], v[12:13], v[16:17], v[3:4]
	ds_read_b128 v[11:14], v15 offset:256
	ds_read_b128 v[3:6], v15 offset:272
	ds_read2_b64 v[15:18], v1 offset1:1
	ds_read2_b64 v[7:10], v1 offset0:2 offset1:3
	s_waitcnt lgkmcnt(0)
	s_barrier
	buffer_gl0_inv
	ds_write_b64 v27, v[28:29]
	s_waitcnt lgkmcnt(0)
	s_barrier
	buffer_gl0_inv
	s_and_saveexec_b32 s4, s3
	s_cbranch_execz .LBB108_67
; %bb.66:
	ds_read2_b64 v[28:31], v26 offset1:1
	ds_read2_b64 v[38:41], v26 offset0:2 offset1:3
	s_waitcnt lgkmcnt(1)
	v_add_f64 v[28:29], v[36:37], v[28:29]
	v_add_f64 v[28:29], v[28:29], v[30:31]
	s_waitcnt lgkmcnt(0)
	v_add_f64 v[28:29], v[28:29], v[38:39]
	v_add_f64 v[32:33], v[28:29], v[40:41]
	ds_read2_b64 v[28:31], v26 offset0:4 offset1:5
	ds_read2_b64 v[36:39], v26 offset0:6 offset1:7
	s_waitcnt lgkmcnt(1)
	v_add_f64 v[28:29], v[32:33], v[28:29]
	v_add_f64 v[28:29], v[28:29], v[30:31]
	s_waitcnt lgkmcnt(0)
	v_add_f64 v[28:29], v[28:29], v[36:37]
	v_add_f64 v[36:37], v[28:29], v[38:39]
.LBB108_67:
	s_or_b32 exec_lo, exec_lo, s4
	v_fma_f64 v[11:12], v[15:16], v[11:12], 0
	s_barrier
	buffer_gl0_inv
	v_fma_f64 v[11:12], v[17:18], v[13:14], v[11:12]
	v_fma_f64 v[3:4], v[7:8], v[3:4], v[11:12]
	;; [unrolled: 1-line block ×3, first 2 shown]
	ds_write_b64 v27, v[3:4]
	s_waitcnt lgkmcnt(0)
	s_barrier
	buffer_gl0_inv
	s_and_saveexec_b32 s3, s2
	s_cbranch_execz .LBB108_69
; %bb.68:
	ds_read2_b64 v[3:6], v26 offset1:1
	ds_read2_b64 v[7:10], v26 offset0:2 offset1:3
	s_waitcnt lgkmcnt(1)
	v_add_f64 v[3:4], v[36:37], v[3:4]
	v_add_f64 v[3:4], v[3:4], v[5:6]
	s_waitcnt lgkmcnt(0)
	v_add_f64 v[3:4], v[3:4], v[7:8]
	v_add_f64 v[11:12], v[3:4], v[9:10]
	ds_read2_b64 v[3:6], v26 offset0:4 offset1:5
	ds_read2_b64 v[7:10], v26 offset0:6 offset1:7
	s_waitcnt lgkmcnt(1)
	v_add_f64 v[3:4], v[11:12], v[3:4]
	v_add_f64 v[3:4], v[3:4], v[5:6]
	s_waitcnt lgkmcnt(0)
	v_add_f64 v[3:4], v[3:4], v[7:8]
	v_add_f64 v[36:37], v[3:4], v[9:10]
.LBB108_69:
	s_or_b32 exec_lo, exec_lo, s3
	s_mul_hi_u32 s2, s25, s7
	s_mul_i32 s27, s27, s7
	s_mul_i32 s3, s25, s7
	s_add_i32 s2, s2, s27
	s_mul_hi_u32 s5, s3, s26
	s_mul_i32 s4, s2, s26
	s_mul_i32 s2, s3, s26
	s_add_i32 s3, s5, s4
	s_mul_i32 s4, s25, s6
	s_lshl_b64 s[2:3], s[2:3], 3
	v_cmp_le_i32_e32 vcc_lo, s18, v0
	s_add_u32 s7, s14, s2
	s_addc_u32 s8, s15, s3
	s_ashr_i32 s5, s4, 31
	v_lshlrev_b32_e32 v72, 3, v0
	s_lshl_b64 s[2:3], s[4:5], 3
	s_add_u32 s7, s7, s2
	s_addc_u32 s20, s8, s3
	s_and_b32 vcc_lo, s13, vcc_lo
	s_cmp_lt_i32 s6, 1
	s_barrier
	buffer_gl0_inv
	s_cbranch_scc1 .LBB108_76
; %bb.70:
	v_mul_lo_u32 v1, v2, s10
	v_sub_co_u32 v7, s2, v23, s16
	v_subrev_co_ci_u32_e64 v8, null, s17, v24, s2
	s_ashr_i32 s19, s18, 31
	v_sub_co_u32 v7, s2, v7, v21
	v_lshl_add_u32 v3, v1, 2, v0
	v_sub_co_ci_u32_e64 v8, null, v8, v22, s2
	s_lshl_b64 s[8:9], s[18:19], 3
	v_lshrrev_b32_e32 v5, 4, v25
	v_ashrrev_i32_e32 v4, 31, v3
	v_and_b32_e32 v6, 15, v0
	s_mul_i32 s4, s24, s12
	v_mov_b32_e32 v1, 0
	s_ashr_i32 s5, s4, 31
	v_lshlrev_b64 v[3:4], 3, v[3:4]
	s_lshl_b64 s[4:5], s[4:5], 3
	v_add_nc_u32_e32 v75, 0x2180, v72
	v_lshl_add_u32 v76, v2, 5, 0x2180
	v_add_nc_u32_e32 v77, 0x2380, v72
	v_mad_u32_u24 v78, 0x860, v2, v72
	v_add_co_u32 v3, s2, v7, v3
	v_add_co_ci_u32_e64 v4, null, v8, v4, s2
	s_ashr_i32 s11, s10, 31
	v_sub_co_u32 v7, s2, v3, v72
	v_subrev_co_ci_u32_e64 v8, null, 0, v4, s2
	s_lshl_b32 s18, s24, 6
	v_add_co_u32 v7, s2, v7, s8
	v_add_co_ci_u32_e64 v8, null, s9, v8, s2
	v_add_co_u32 v3, s2, 0xffffff00, v3
	v_add_co_ci_u32_e64 v4, null, -1, v4, s2
	v_add_co_u32 v7, s2, 0xfffffef8, v7
	v_add_co_ci_u32_e64 v8, null, -1, v8, s2
	v_sub_co_u32 v73, s2, v19, s4
	v_cndmask_b32_e32 v38, v3, v7, vcc_lo
	v_cndmask_b32_e32 v39, v4, v8, vcc_lo
	v_and_b32_e32 v3, 48, v0
	v_lshlrev_b32_e32 v4, 5, v5
	v_mul_i32_i24_e32 v5, 0xffffffe8, v5
	v_subrev_co_ci_u32_e64 v74, null, s5, v20, s2
	v_lshlrev_b32_e32 v3, 3, v3
	v_mad_u32_u24 v79, 0x218, v6, v4
	v_or_b32_e32 v4, 0x78, v72
	v_cmp_gt_u32_e64 s2, 64, v25
	s_lshl_b64 s[4:5], s[10:11], 3
	v_mad_u32_u24 v80, 0x218, v6, v3
	v_add_nc_u32_e32 v82, v79, v5
	v_mad_u32_u24 v81, 0x218, v6, v4
	s_lshl_b64 s[8:9], s[10:11], 9
	s_lshl_b64 s[12:13], s[10:11], 4
	s_mul_hi_i32 s19, s10, 24
	s_mul_i32 s21, s10, 24
	s_mul_hi_i32 s22, s10, 0x90
	s_mul_i32 s23, s10, 0x90
	;; [unrolled: 2-line block ×10, first 2 shown]
	s_lshl_b64 s[14:15], s[10:11], 8
	s_mul_hi_i32 s41, s10, 0x88
	s_mul_i32 s42, s10, 0x88
	s_lshl_b64 s[10:11], s[10:11], 7
	s_mov_b32 s16, 0
	s_branch .LBB108_72
.LBB108_71:                             ;   in Loop: Header=BB108_72 Depth=1
	s_or_b32 exec_lo, exec_lo, s17
	v_fma_f64 v[7:8], v[40:41], v[7:8], v[36:37]
	v_add_co_u32 v38, s3, v38, s8
	v_add_co_ci_u32_e64 v39, null, s9, v39, s3
	v_add_nc_u32_e32 v0, 64, v0
	s_add_i32 s6, s6, -1
	s_add_i32 s16, s16, s18
	s_cmp_eq_u32 s6, 0
	s_waitcnt_vscnt null, 0x0
	s_barrier
	buffer_gl0_inv
	v_fma_f64 v[7:8], v[42:43], v[9:10], v[7:8]
	v_fma_f64 v[3:4], v[44:45], v[3:4], v[7:8]
	;; [unrolled: 1-line block ×15, first 2 shown]
	s_cbranch_scc1 .LBB108_76
.LBB108_72:                             ; =>This Inner Loop Header: Depth=1
	s_and_saveexec_b32 s43, s1
	s_cbranch_execz .LBB108_74
; %bb.73:                               ;   in Loop: Header=BB108_72 Depth=1
	s_ashr_i32 s17, s16, 31
	s_lshl_b64 s[44:45], s[16:17], 3
	v_add_co_u32 v3, s3, v73, s44
	v_add_co_ci_u32_e64 v4, null, s45, v74, s3
	global_load_dwordx2 v[3:4], v[3:4], off
	s_waitcnt vmcnt(0)
	ds_write_b64 v75, v[3:4]
.LBB108_74:                             ;   in Loop: Header=BB108_72 Depth=1
	s_or_b32 exec_lo, exec_lo, s43
	v_add_co_u32 v3, s3, v38, s4
	v_add_co_ci_u32_e64 v4, null, s5, v39, s3
	v_add_co_u32 v5, s3, v38, s12
	v_add_co_ci_u32_e64 v6, null, s13, v39, s3
	;; [unrolled: 2-line block ×3, first 2 shown]
	s_waitcnt lgkmcnt(0)
	s_barrier
	buffer_gl0_inv
	s_clause 0x3
	global_load_dwordx2 v[40:41], v[38:39], off
	global_load_dwordx2 v[42:43], v[3:4], off
	;; [unrolled: 1-line block ×4, first 2 shown]
	ds_read_b64 v[3:4], v77
	v_add_co_u32 v19, s3, v38, s10
	v_add_co_ci_u32_e64 v20, null, s11, v39, s3
	v_add_co_u32 v21, s3, v38, s42
	v_add_co_ci_u32_e64 v22, null, s41, v39, s3
	;; [unrolled: 2-line block ×12, first 2 shown]
	s_waitcnt vmcnt(3) lgkmcnt(0)
	v_mul_f64 v[11:12], v[40:41], v[3:4]
	s_waitcnt vmcnt(2)
	v_mul_f64 v[13:14], v[42:43], v[3:4]
	s_waitcnt vmcnt(1)
	;; [unrolled: 2-line block ×3, first 2 shown]
	v_mul_f64 v[17:18], v[46:47], v[3:4]
	ds_read_b128 v[7:10], v76
	ds_read_b128 v[3:6], v76 offset:16
	ds_write2_b64 v78, v[11:12], v[13:14] offset1:67
	ds_write2_b64 v78, v[15:16], v[17:18] offset0:134 offset1:201
	s_waitcnt lgkmcnt(0)
	s_barrier
	buffer_gl0_inv
	ds_read2_b64 v[83:86], v79 offset1:1
	ds_read2_b64 v[87:90], v79 offset0:2 offset1:3
	s_waitcnt lgkmcnt(0)
	s_barrier
	buffer_gl0_inv
	s_clause 0x3
	global_load_dwordx2 v[48:49], v[19:20], off
	global_load_dwordx2 v[50:51], v[21:22], off
	;; [unrolled: 1-line block ×4, first 2 shown]
	ds_read_b64 v[11:12], v77
	v_add_f64 v[83:84], v[83:84], 0
	s_waitcnt vmcnt(3) lgkmcnt(0)
	v_mul_f64 v[19:20], v[48:49], v[11:12]
	s_waitcnt vmcnt(2)
	v_mul_f64 v[21:22], v[50:51], v[11:12]
	s_waitcnt vmcnt(1)
	v_mul_f64 v[23:24], v[52:53], v[11:12]
	s_waitcnt vmcnt(0)
	v_mul_f64 v[25:26], v[54:55], v[11:12]
	ds_read_b128 v[15:18], v76 offset:128
	ds_read_b128 v[11:14], v76 offset:144
	ds_write2_b64 v78, v[19:20], v[21:22] offset1:67
	ds_write2_b64 v78, v[23:24], v[25:26] offset0:134 offset1:201
	s_waitcnt lgkmcnt(0)
	s_barrier
	buffer_gl0_inv
	ds_read2_b64 v[91:94], v79 offset1:1
	ds_read2_b64 v[95:98], v79 offset0:2 offset1:3
	s_waitcnt lgkmcnt(0)
	s_barrier
	buffer_gl0_inv
	s_clause 0x3
	global_load_dwordx2 v[56:57], v[27:28], off
	global_load_dwordx2 v[58:59], v[29:30], off
	;; [unrolled: 1-line block ×4, first 2 shown]
	ds_read_b64 v[19:20], v77
	v_add_f64 v[91:92], v[91:92], 0
	v_add_f64 v[91:92], v[91:92], v[93:94]
	v_add_f64 v[91:92], v[91:92], v[95:96]
	s_waitcnt vmcnt(3) lgkmcnt(0)
	v_mul_f64 v[27:28], v[56:57], v[19:20]
	s_waitcnt vmcnt(2)
	v_mul_f64 v[29:30], v[58:59], v[19:20]
	s_waitcnt vmcnt(1)
	;; [unrolled: 2-line block ×3, first 2 shown]
	v_mul_f64 v[33:34], v[62:63], v[19:20]
	ds_read_b128 v[19:22], v76 offset:256
	ds_read_b128 v[23:26], v76 offset:272
	ds_write2_b64 v78, v[27:28], v[29:30] offset1:67
	ds_write2_b64 v78, v[31:32], v[33:34] offset0:134 offset1:201
	s_waitcnt lgkmcnt(0)
	s_barrier
	buffer_gl0_inv
	ds_read2_b64 v[99:102], v79 offset1:1
	ds_read2_b64 v[103:106], v79 offset0:2 offset1:3
	s_waitcnt lgkmcnt(0)
	s_barrier
	buffer_gl0_inv
	s_clause 0x3
	global_load_dwordx2 v[64:65], v[64:65], off
	global_load_dwordx2 v[66:67], v[66:67], off
	;; [unrolled: 1-line block ×4, first 2 shown]
	ds_read_b64 v[27:28], v77
	v_add_f64 v[99:100], v[99:100], 0
	v_add_f64 v[93:94], v[99:100], v[101:102]
	;; [unrolled: 1-line block ×3, first 2 shown]
	s_waitcnt vmcnt(3) lgkmcnt(0)
	v_mul_f64 v[107:108], v[64:65], v[27:28]
	s_waitcnt vmcnt(2)
	v_mul_f64 v[109:110], v[66:67], v[27:28]
	s_waitcnt vmcnt(1)
	;; [unrolled: 2-line block ×3, first 2 shown]
	v_mul_f64 v[113:114], v[70:71], v[27:28]
	ds_read_b128 v[27:30], v76 offset:384
	ds_read_b128 v[31:34], v76 offset:400
	ds_write2_b64 v78, v[107:108], v[109:110] offset1:67
	ds_write2_b64 v78, v[111:112], v[113:114] offset0:134 offset1:201
	s_waitcnt lgkmcnt(0)
	s_barrier
	buffer_gl0_inv
	ds_read2_b64 v[107:110], v79 offset1:1
	v_add_f64 v[111:112], v[83:84], v[85:86]
	ds_read2_b64 v[83:86], v79 offset0:2 offset1:3
	s_waitcnt lgkmcnt(0)
	s_barrier
	buffer_gl0_inv
	v_add_f64 v[107:108], v[107:108], 0
	v_add_f64 v[87:88], v[111:112], v[87:88]
	;; [unrolled: 1-line block ×8, first 2 shown]
	ds_write2_b64 v82, v[87:88], v[89:90] offset1:16
	ds_write2_b64 v82, v[91:92], v[83:84] offset0:32 offset1:48
	s_waitcnt lgkmcnt(0)
	s_barrier
	buffer_gl0_inv
	s_and_saveexec_b32 s17, s2
	s_cbranch_execz .LBB108_71
; %bb.75:                               ;   in Loop: Header=BB108_72 Depth=1
	ds_read2_b64 v[83:86], v80 offset1:1
	ds_read2_b64 v[87:90], v80 offset0:2 offset1:3
	s_waitcnt lgkmcnt(1)
	v_add_f64 v[83:84], v[83:84], v[85:86]
	s_waitcnt lgkmcnt(0)
	v_add_f64 v[83:84], v[83:84], v[87:88]
	v_add_f64 v[91:92], v[83:84], v[89:90]
	ds_read2_b64 v[83:86], v80 offset0:4 offset1:5
	ds_read2_b64 v[87:90], v80 offset0:6 offset1:7
	s_waitcnt lgkmcnt(1)
	v_add_f64 v[83:84], v[91:92], v[83:84]
	v_add_f64 v[83:84], v[83:84], v[85:86]
	s_waitcnt lgkmcnt(0)
	v_add_f64 v[83:84], v[83:84], v[87:88]
	v_add_f64 v[91:92], v[83:84], v[89:90]
	ds_read2_b64 v[83:86], v80 offset0:8 offset1:9
	ds_read2_b64 v[87:90], v80 offset0:10 offset1:11
	s_waitcnt lgkmcnt(1)
	v_add_f64 v[83:84], v[91:92], v[83:84]
	v_add_f64 v[83:84], v[83:84], v[85:86]
	s_waitcnt lgkmcnt(0)
	v_add_f64 v[83:84], v[83:84], v[87:88]
	v_add_f64 v[87:88], v[83:84], v[89:90]
	ds_read2_b64 v[83:86], v80 offset0:12 offset1:13
	ds_read_b64 v[89:90], v80 offset:112
	s_waitcnt lgkmcnt(1)
	v_add_f64 v[83:84], v[87:88], v[83:84]
	v_add_f64 v[83:84], v[83:84], v[85:86]
	ds_read_b64 v[85:86], v81
	s_waitcnt lgkmcnt(1)
	v_add_f64 v[83:84], v[83:84], v[89:90]
	s_waitcnt lgkmcnt(0)
	v_add_f64 v[83:84], v[83:84], v[85:86]
	v_lshlrev_b64 v[85:86], 3, v[0:1]
	v_add_co_u32 v85, s3, s7, v85
	v_add_co_ci_u32_e64 v86, null, s20, v86, s3
	global_store_dwordx2 v[85:86], v[83:84], off
	s_branch .LBB108_71
.LBB108_76:
	v_mad_u32_u24 v0, 0x218, v2, v72
	s_nor_b32 s0, s0, vcc_lo
	ds_write_b64 v0, v[36:37]
	s_waitcnt lgkmcnt(0)
	s_barrier
	buffer_gl0_inv
	s_and_saveexec_b32 s1, s0
	s_cbranch_execz .LBB108_78
; %bb.77:
	ds_read2_b64 v[0:3], v72 offset1:67
	v_ashrrev_i32_e32 v36, 31, v35
	s_waitcnt lgkmcnt(0)
	v_add_f64 v[4:5], v[0:1], v[2:3]
	ds_read2_b64 v[0:3], v72 offset0:134 offset1:201
	s_waitcnt lgkmcnt(0)
	v_add_f64 v[0:1], v[4:5], v[0:1]
	v_add_f64 v[0:1], v[0:1], v[2:3]
	v_lshlrev_b64 v[2:3], 3, v[35:36]
	v_add_co_u32 v2, vcc_lo, s7, v2
	v_add_co_ci_u32_e64 v3, null, s20, v3, vcc_lo
	global_store_dwordx2 v[2:3], v[0:1], off
.LBB108_78:
	s_endpgm
	.section	.rodata,"a",@progbits
	.p2align	6, 0x0
	.amdhsa_kernel _ZL26rocblas_hemvn_kernel_lowerILb0ELi64ELi4ELi33ELi32ELi16EiPKdS1_PdEviT6_lT7_lT5_lS4_lS5_lS3_lT8_i
		.amdhsa_group_segment_fixed_size 9600
		.amdhsa_private_segment_fixed_size 0
		.amdhsa_kernarg_size 376
		.amdhsa_user_sgpr_count 6
		.amdhsa_user_sgpr_private_segment_buffer 1
		.amdhsa_user_sgpr_dispatch_ptr 0
		.amdhsa_user_sgpr_queue_ptr 0
		.amdhsa_user_sgpr_kernarg_segment_ptr 1
		.amdhsa_user_sgpr_dispatch_id 0
		.amdhsa_user_sgpr_flat_scratch_init 0
		.amdhsa_user_sgpr_private_segment_size 0
		.amdhsa_wavefront_size32 1
		.amdhsa_uses_dynamic_stack 0
		.amdhsa_system_sgpr_private_segment_wavefront_offset 0
		.amdhsa_system_sgpr_workgroup_id_x 1
		.amdhsa_system_sgpr_workgroup_id_y 0
		.amdhsa_system_sgpr_workgroup_id_z 1
		.amdhsa_system_sgpr_workgroup_info 0
		.amdhsa_system_vgpr_workitem_id 1
		.amdhsa_next_free_vgpr 115
		.amdhsa_next_free_sgpr 46
		.amdhsa_reserve_vcc 1
		.amdhsa_reserve_flat_scratch 0
		.amdhsa_float_round_mode_32 0
		.amdhsa_float_round_mode_16_64 0
		.amdhsa_float_denorm_mode_32 3
		.amdhsa_float_denorm_mode_16_64 3
		.amdhsa_dx10_clamp 1
		.amdhsa_ieee_mode 1
		.amdhsa_fp16_overflow 0
		.amdhsa_workgroup_processor_mode 1
		.amdhsa_memory_ordered 1
		.amdhsa_forward_progress 1
		.amdhsa_shared_vgpr_count 0
		.amdhsa_exception_fp_ieee_invalid_op 0
		.amdhsa_exception_fp_denorm_src 0
		.amdhsa_exception_fp_ieee_div_zero 0
		.amdhsa_exception_fp_ieee_overflow 0
		.amdhsa_exception_fp_ieee_underflow 0
		.amdhsa_exception_fp_ieee_inexact 0
		.amdhsa_exception_int_div_zero 0
	.end_amdhsa_kernel
	.section	.text._ZL26rocblas_hemvn_kernel_lowerILb0ELi64ELi4ELi33ELi32ELi16EiPKdS1_PdEviT6_lT7_lT5_lS4_lS5_lS3_lT8_i,"axG",@progbits,_ZL26rocblas_hemvn_kernel_lowerILb0ELi64ELi4ELi33ELi32ELi16EiPKdS1_PdEviT6_lT7_lT5_lS4_lS5_lS3_lT8_i,comdat
.Lfunc_end108:
	.size	_ZL26rocblas_hemvn_kernel_lowerILb0ELi64ELi4ELi33ELi32ELi16EiPKdS1_PdEviT6_lT7_lT5_lS4_lS5_lS3_lT8_i, .Lfunc_end108-_ZL26rocblas_hemvn_kernel_lowerILb0ELi64ELi4ELi33ELi32ELi16EiPKdS1_PdEviT6_lT7_lT5_lS4_lS5_lS3_lT8_i
                                        ; -- End function
	.set _ZL26rocblas_hemvn_kernel_lowerILb0ELi64ELi4ELi33ELi32ELi16EiPKdS1_PdEviT6_lT7_lT5_lS4_lS5_lS3_lT8_i.num_vgpr, 115
	.set _ZL26rocblas_hemvn_kernel_lowerILb0ELi64ELi4ELi33ELi32ELi16EiPKdS1_PdEviT6_lT7_lT5_lS4_lS5_lS3_lT8_i.num_agpr, 0
	.set _ZL26rocblas_hemvn_kernel_lowerILb0ELi64ELi4ELi33ELi32ELi16EiPKdS1_PdEviT6_lT7_lT5_lS4_lS5_lS3_lT8_i.numbered_sgpr, 46
	.set _ZL26rocblas_hemvn_kernel_lowerILb0ELi64ELi4ELi33ELi32ELi16EiPKdS1_PdEviT6_lT7_lT5_lS4_lS5_lS3_lT8_i.num_named_barrier, 0
	.set _ZL26rocblas_hemvn_kernel_lowerILb0ELi64ELi4ELi33ELi32ELi16EiPKdS1_PdEviT6_lT7_lT5_lS4_lS5_lS3_lT8_i.private_seg_size, 0
	.set _ZL26rocblas_hemvn_kernel_lowerILb0ELi64ELi4ELi33ELi32ELi16EiPKdS1_PdEviT6_lT7_lT5_lS4_lS5_lS3_lT8_i.uses_vcc, 1
	.set _ZL26rocblas_hemvn_kernel_lowerILb0ELi64ELi4ELi33ELi32ELi16EiPKdS1_PdEviT6_lT7_lT5_lS4_lS5_lS3_lT8_i.uses_flat_scratch, 0
	.set _ZL26rocblas_hemvn_kernel_lowerILb0ELi64ELi4ELi33ELi32ELi16EiPKdS1_PdEviT6_lT7_lT5_lS4_lS5_lS3_lT8_i.has_dyn_sized_stack, 0
	.set _ZL26rocblas_hemvn_kernel_lowerILb0ELi64ELi4ELi33ELi32ELi16EiPKdS1_PdEviT6_lT7_lT5_lS4_lS5_lS3_lT8_i.has_recursion, 0
	.set _ZL26rocblas_hemvn_kernel_lowerILb0ELi64ELi4ELi33ELi32ELi16EiPKdS1_PdEviT6_lT7_lT5_lS4_lS5_lS3_lT8_i.has_indirect_call, 0
	.section	.AMDGPU.csdata,"",@progbits
; Kernel info:
; codeLenInByte = 6748
; TotalNumSgprs: 48
; NumVgprs: 115
; ScratchSize: 0
; MemoryBound: 0
; FloatMode: 240
; IeeeMode: 1
; LDSByteSize: 9600 bytes/workgroup (compile time only)
; SGPRBlocks: 0
; VGPRBlocks: 14
; NumSGPRsForWavesPerEU: 48
; NumVGPRsForWavesPerEU: 115
; Occupancy: 8
; WaveLimiterHint : 1
; COMPUTE_PGM_RSRC2:SCRATCH_EN: 0
; COMPUTE_PGM_RSRC2:USER_SGPR: 6
; COMPUTE_PGM_RSRC2:TRAP_HANDLER: 0
; COMPUTE_PGM_RSRC2:TGID_X_EN: 1
; COMPUTE_PGM_RSRC2:TGID_Y_EN: 0
; COMPUTE_PGM_RSRC2:TGID_Z_EN: 1
; COMPUTE_PGM_RSRC2:TIDIG_COMP_CNT: 1
	.section	.text._ZL36rocblas_hemvn_kernel_lower_block_sumILi64EiPKdPddEviT1_lS3_lT2_lT0_lPT3_i,"axG",@progbits,_ZL36rocblas_hemvn_kernel_lower_block_sumILi64EiPKdPddEviT1_lS3_lT2_lT0_lPT3_i,comdat
	.globl	_ZL36rocblas_hemvn_kernel_lower_block_sumILi64EiPKdPddEviT1_lS3_lT2_lT0_lPT3_i ; -- Begin function _ZL36rocblas_hemvn_kernel_lower_block_sumILi64EiPKdPddEviT1_lS3_lT2_lT0_lPT3_i
	.p2align	8
	.type	_ZL36rocblas_hemvn_kernel_lower_block_sumILi64EiPKdPddEviT1_lS3_lT2_lT0_lPT3_i,@function
_ZL36rocblas_hemvn_kernel_lower_block_sumILi64EiPKdPddEviT1_lS3_lT2_lT0_lPT3_i: ; @_ZL36rocblas_hemvn_kernel_lower_block_sumILi64EiPKdPddEviT1_lS3_lT2_lT0_lPT3_i
; %bb.0:
	s_load_dwordx8 s[8:15], s[4:5], 0x8
	s_waitcnt lgkmcnt(0)
	s_mul_i32 s1, s11, s7
	s_mul_hi_u32 s2, s10, s7
	s_mul_i32 s0, s10, s7
	s_add_i32 s1, s2, s1
	s_mul_i32 s2, s15, s7
	s_lshl_b64 s[0:1], s[0:1], 3
	s_mul_hi_u32 s3, s14, s7
	s_add_u32 s0, s8, s0
	s_addc_u32 s1, s9, s1
	s_add_i32 s3, s3, s2
	s_mul_i32 s2, s14, s7
	s_lshl_b64 s[2:3], s[2:3], 3
	s_add_u32 s8, s12, s2
	s_addc_u32 s9, s13, s3
	s_load_dwordx2 s[2:3], s[0:1], 0x0
	s_load_dwordx2 s[8:9], s[8:9], 0x0
	s_waitcnt lgkmcnt(0)
	v_cmp_eq_f64_e64 s0, s[2:3], 0
	v_cmp_eq_f64_e64 s1, s[8:9], 1.0
	s_and_b32 s0, s0, s1
	s_and_b32 vcc_lo, exec_lo, s0
	s_cbranch_vccnz .LBB109_19
; %bb.1:
	s_clause 0x3
	s_load_dwordx2 s[0:1], s[4:5], 0x40
	s_load_dwordx4 s[16:19], s[4:5], 0x28
	s_load_dword s15, s[4:5], 0x38
	s_load_dword s10, s[4:5], 0x0
	v_cmp_neq_f64_e64 s11, s[2:3], 0
	v_lshl_or_b32 v0, s6, 6, v0
	s_mov_b32 s14, 0
	s_waitcnt lgkmcnt(0)
	s_mul_i32 s1, s1, s7
	s_mul_hi_u32 s12, s0, s7
	s_mul_i32 s0, s0, s7
	s_add_i32 s1, s12, s1
	s_lshl_b64 s[0:1], s[0:1], 3
	s_add_u32 s12, s16, s0
	s_addc_u32 s13, s17, s1
	s_lshl_b64 s[0:1], s[18:19], 3
	s_add_u32 s12, s12, s0
	v_cmp_gt_i32_e64 s0, s10, v0
	s_addc_u32 s13, s13, s1
	s_and_b32 vcc_lo, exec_lo, s11
	s_cbranch_vccnz .LBB109_6
; %bb.2:
	s_mov_b32 s1, 0
                                        ; implicit-def: $vgpr3_vgpr4
                                        ; implicit-def: $vgpr1_vgpr2
	s_and_saveexec_b32 s11, s0
	s_cbranch_execz .LBB109_7
; %bb.3:
	v_cmp_eq_f64_e64 s0, s[8:9], 0
	v_mul_lo_u32 v1, s15, v0
	v_mov_b32_e32 v3, 0
	v_mov_b32_e32 v4, 0
	v_ashrrev_i32_e32 v2, 31, v1
	s_and_b32 vcc_lo, exec_lo, s0
	s_cbranch_vccnz .LBB109_5
; %bb.4:
	v_lshlrev_b64 v[3:4], 3, v[1:2]
	v_add_co_u32 v3, vcc_lo, s12, v3
	v_add_co_ci_u32_e64 v4, null, s13, v4, vcc_lo
	global_load_dwordx2 v[3:4], v[3:4], off
	s_waitcnt vmcnt(0)
	v_mul_f64 v[3:4], s[8:9], v[3:4]
.LBB109_5:
	s_mov_b32 s14, exec_lo
	s_or_b32 exec_lo, exec_lo, s11
	s_and_b32 vcc_lo, exec_lo, s1
	s_cbranch_vccnz .LBB109_8
	s_branch .LBB109_17
.LBB109_6:
                                        ; implicit-def: $vgpr3_vgpr4
                                        ; implicit-def: $vgpr1_vgpr2
	s_cbranch_execnz .LBB109_8
	s_branch .LBB109_17
.LBB109_7:
	s_or_b32 exec_lo, exec_lo, s11
	s_and_b32 vcc_lo, exec_lo, s1
	s_cbranch_vccz .LBB109_17
.LBB109_8:
	s_mov_b32 s16, exec_lo
                                        ; implicit-def: $vgpr3_vgpr4
                                        ; implicit-def: $vgpr1_vgpr2
	v_cmpx_gt_i32_e64 s10, v0
	s_cbranch_execz .LBB109_16
; %bb.9:
	s_load_dword s17, s[4:5], 0x58
	v_mov_b32_e32 v5, 0
	v_mov_b32_e32 v6, 0
	s_waitcnt lgkmcnt(0)
	s_cmp_ge_i32 s6, s17
	s_cbranch_scc1 .LBB109_12
; %bb.10:
	s_load_dwordx2 s[0:1], s[4:5], 0x48
	v_mad_u64_u32 v[1:2], null, s10, s6, v[0:1]
	s_ashr_i32 s11, s10, 31
	s_mul_hi_u32 s4, s10, s7
	s_mul_i32 s5, s11, s7
	s_mul_i32 s7, s10, s7
	s_add_i32 s4, s4, s5
	s_mul_hi_u32 s5, s7, s17
	v_ashrrev_i32_e32 v2, 31, v1
	s_mul_i32 s18, s4, s17
	s_mul_i32 s4, s7, s17
	s_add_i32 s5, s5, s18
	v_mov_b32_e32 v5, 0
	v_lshlrev_b64 v[1:2], 3, v[1:2]
	s_lshl_b64 s[4:5], s[4:5], 3
	v_mov_b32_e32 v6, 0
	s_waitcnt lgkmcnt(0)
	s_add_u32 s0, s0, s4
	s_addc_u32 s1, s1, s5
	v_add_co_u32 v1, vcc_lo, s0, v1
	v_add_co_ci_u32_e64 v2, null, s1, v2, vcc_lo
	s_lshl_b64 s[0:1], s[10:11], 3
.LBB109_11:                             ; =>This Inner Loop Header: Depth=1
	global_load_dwordx2 v[3:4], v[1:2], off
	v_add_co_u32 v1, vcc_lo, v1, s0
	v_add_co_ci_u32_e64 v2, null, s1, v2, vcc_lo
	s_add_i32 s6, s6, 1
	s_cmp_ge_i32 s6, s17
	s_waitcnt vmcnt(0)
	v_add_f64 v[5:6], v[5:6], v[3:4]
	s_cbranch_scc0 .LBB109_11
.LBB109_12:
	v_cmp_eq_f64_e64 s0, s[8:9], 0
	v_mul_lo_u32 v1, s15, v0
	v_ashrrev_i32_e32 v2, 31, v1
	s_and_b32 vcc_lo, exec_lo, s0
	s_cbranch_vccz .LBB109_20
; %bb.13:
	v_mul_f64 v[3:4], s[2:3], v[5:6]
	s_cbranch_execnz .LBB109_15
.LBB109_14:
	v_lshlrev_b64 v[3:4], 3, v[1:2]
	v_add_co_u32 v3, vcc_lo, s12, v3
	v_add_co_ci_u32_e64 v4, null, s13, v4, vcc_lo
	global_load_dwordx2 v[3:4], v[3:4], off
	s_waitcnt vmcnt(0)
	v_mul_f64 v[3:4], s[8:9], v[3:4]
	v_fma_f64 v[3:4], s[2:3], v[5:6], v[3:4]
.LBB109_15:
	s_or_b32 s14, s14, exec_lo
.LBB109_16:
	s_or_b32 exec_lo, exec_lo, s16
.LBB109_17:
	s_and_saveexec_b32 s0, s14
	s_cbranch_execz .LBB109_19
; %bb.18:
	v_lshlrev_b64 v[0:1], 3, v[1:2]
	v_add_co_u32 v0, vcc_lo, s12, v0
	v_add_co_ci_u32_e64 v1, null, s13, v1, vcc_lo
	global_store_dwordx2 v[0:1], v[3:4], off
.LBB109_19:
	s_endpgm
.LBB109_20:
                                        ; implicit-def: $vgpr3_vgpr4
	s_branch .LBB109_14
	.section	.rodata,"a",@progbits
	.p2align	6, 0x0
	.amdhsa_kernel _ZL36rocblas_hemvn_kernel_lower_block_sumILi64EiPKdPddEviT1_lS3_lT2_lT0_lPT3_i
		.amdhsa_group_segment_fixed_size 0
		.amdhsa_private_segment_fixed_size 0
		.amdhsa_kernarg_size 344
		.amdhsa_user_sgpr_count 6
		.amdhsa_user_sgpr_private_segment_buffer 1
		.amdhsa_user_sgpr_dispatch_ptr 0
		.amdhsa_user_sgpr_queue_ptr 0
		.amdhsa_user_sgpr_kernarg_segment_ptr 1
		.amdhsa_user_sgpr_dispatch_id 0
		.amdhsa_user_sgpr_flat_scratch_init 0
		.amdhsa_user_sgpr_private_segment_size 0
		.amdhsa_wavefront_size32 1
		.amdhsa_uses_dynamic_stack 0
		.amdhsa_system_sgpr_private_segment_wavefront_offset 0
		.amdhsa_system_sgpr_workgroup_id_x 1
		.amdhsa_system_sgpr_workgroup_id_y 0
		.amdhsa_system_sgpr_workgroup_id_z 1
		.amdhsa_system_sgpr_workgroup_info 0
		.amdhsa_system_vgpr_workitem_id 0
		.amdhsa_next_free_vgpr 7
		.amdhsa_next_free_sgpr 20
		.amdhsa_reserve_vcc 1
		.amdhsa_reserve_flat_scratch 0
		.amdhsa_float_round_mode_32 0
		.amdhsa_float_round_mode_16_64 0
		.amdhsa_float_denorm_mode_32 3
		.amdhsa_float_denorm_mode_16_64 3
		.amdhsa_dx10_clamp 1
		.amdhsa_ieee_mode 1
		.amdhsa_fp16_overflow 0
		.amdhsa_workgroup_processor_mode 1
		.amdhsa_memory_ordered 1
		.amdhsa_forward_progress 1
		.amdhsa_shared_vgpr_count 0
		.amdhsa_exception_fp_ieee_invalid_op 0
		.amdhsa_exception_fp_denorm_src 0
		.amdhsa_exception_fp_ieee_div_zero 0
		.amdhsa_exception_fp_ieee_overflow 0
		.amdhsa_exception_fp_ieee_underflow 0
		.amdhsa_exception_fp_ieee_inexact 0
		.amdhsa_exception_int_div_zero 0
	.end_amdhsa_kernel
	.section	.text._ZL36rocblas_hemvn_kernel_lower_block_sumILi64EiPKdPddEviT1_lS3_lT2_lT0_lPT3_i,"axG",@progbits,_ZL36rocblas_hemvn_kernel_lower_block_sumILi64EiPKdPddEviT1_lS3_lT2_lT0_lPT3_i,comdat
.Lfunc_end109:
	.size	_ZL36rocblas_hemvn_kernel_lower_block_sumILi64EiPKdPddEviT1_lS3_lT2_lT0_lPT3_i, .Lfunc_end109-_ZL36rocblas_hemvn_kernel_lower_block_sumILi64EiPKdPddEviT1_lS3_lT2_lT0_lPT3_i
                                        ; -- End function
	.set _ZL36rocblas_hemvn_kernel_lower_block_sumILi64EiPKdPddEviT1_lS3_lT2_lT0_lPT3_i.num_vgpr, 7
	.set _ZL36rocblas_hemvn_kernel_lower_block_sumILi64EiPKdPddEviT1_lS3_lT2_lT0_lPT3_i.num_agpr, 0
	.set _ZL36rocblas_hemvn_kernel_lower_block_sumILi64EiPKdPddEviT1_lS3_lT2_lT0_lPT3_i.numbered_sgpr, 20
	.set _ZL36rocblas_hemvn_kernel_lower_block_sumILi64EiPKdPddEviT1_lS3_lT2_lT0_lPT3_i.num_named_barrier, 0
	.set _ZL36rocblas_hemvn_kernel_lower_block_sumILi64EiPKdPddEviT1_lS3_lT2_lT0_lPT3_i.private_seg_size, 0
	.set _ZL36rocblas_hemvn_kernel_lower_block_sumILi64EiPKdPddEviT1_lS3_lT2_lT0_lPT3_i.uses_vcc, 1
	.set _ZL36rocblas_hemvn_kernel_lower_block_sumILi64EiPKdPddEviT1_lS3_lT2_lT0_lPT3_i.uses_flat_scratch, 0
	.set _ZL36rocblas_hemvn_kernel_lower_block_sumILi64EiPKdPddEviT1_lS3_lT2_lT0_lPT3_i.has_dyn_sized_stack, 0
	.set _ZL36rocblas_hemvn_kernel_lower_block_sumILi64EiPKdPddEviT1_lS3_lT2_lT0_lPT3_i.has_recursion, 0
	.set _ZL36rocblas_hemvn_kernel_lower_block_sumILi64EiPKdPddEviT1_lS3_lT2_lT0_lPT3_i.has_indirect_call, 0
	.section	.AMDGPU.csdata,"",@progbits
; Kernel info:
; codeLenInByte = 712
; TotalNumSgprs: 22
; NumVgprs: 7
; ScratchSize: 0
; MemoryBound: 0
; FloatMode: 240
; IeeeMode: 1
; LDSByteSize: 0 bytes/workgroup (compile time only)
; SGPRBlocks: 0
; VGPRBlocks: 0
; NumSGPRsForWavesPerEU: 22
; NumVGPRsForWavesPerEU: 7
; Occupancy: 16
; WaveLimiterHint : 0
; COMPUTE_PGM_RSRC2:SCRATCH_EN: 0
; COMPUTE_PGM_RSRC2:USER_SGPR: 6
; COMPUTE_PGM_RSRC2:TRAP_HANDLER: 0
; COMPUTE_PGM_RSRC2:TGID_X_EN: 1
; COMPUTE_PGM_RSRC2:TGID_Y_EN: 0
; COMPUTE_PGM_RSRC2:TGID_Z_EN: 1
; COMPUTE_PGM_RSRC2:TIDIG_COMP_CNT: 0
	.section	.text._ZL26rocblas_hemvn_kernel_lowerILb0ELi64ELi4ELi33ELi32ELi16EldPKdPdEviT6_lT7_lT5_lS4_lS5_lS3_lT8_i,"axG",@progbits,_ZL26rocblas_hemvn_kernel_lowerILb0ELi64ELi4ELi33ELi32ELi16EldPKdPdEviT6_lT7_lT5_lS4_lS5_lS3_lT8_i,comdat
	.globl	_ZL26rocblas_hemvn_kernel_lowerILb0ELi64ELi4ELi33ELi32ELi16EldPKdPdEviT6_lT7_lT5_lS4_lS5_lS3_lT8_i ; -- Begin function _ZL26rocblas_hemvn_kernel_lowerILb0ELi64ELi4ELi33ELi32ELi16EldPKdPdEviT6_lT7_lT5_lS4_lS5_lS3_lT8_i
	.p2align	8
	.type	_ZL26rocblas_hemvn_kernel_lowerILb0ELi64ELi4ELi33ELi32ELi16EldPKdPdEviT6_lT7_lT5_lS4_lS5_lS3_lT8_i,@function
_ZL26rocblas_hemvn_kernel_lowerILb0ELi64ELi4ELi33ELi32ELi16EldPKdPdEviT6_lT7_lT5_lS4_lS5_lS3_lT8_i: ; @_ZL26rocblas_hemvn_kernel_lowerILb0ELi64ELi4ELi33ELi32ELi16EldPKdPdEviT6_lT7_lT5_lS4_lS5_lS3_lT8_i
; %bb.0:
	s_load_dwordx2 s[2:3], s[4:5], 0x84
	s_add_u32 s0, s4, 0x78
	s_addc_u32 s1, s5, 0
	s_waitcnt lgkmcnt(0)
	s_lshr_b32 s8, s2, 16
	s_and_b32 s2, s2, 0xffff
	s_and_b32 s3, s3, 0xffff
	s_mul_i32 s2, s8, s2
	s_mul_i32 s2, s2, s3
	s_cmpk_lg_i32 s2, 0x100
	s_cbranch_scc1 .LBB110_78
; %bb.1:
	s_clause 0x1
	s_load_dwordx2 s[2:3], s[4:5], 0x8
	s_load_dwordx2 s[8:9], s[4:5], 0x58
	s_waitcnt lgkmcnt(0)
	v_cmp_eq_f64_e64 s2, s[2:3], 0
	v_cmp_eq_f64_e64 s3, s[8:9], 1.0
	s_and_b32 s3, s2, s3
	s_and_b32 vcc_lo, exec_lo, s3
	s_cbranch_vccnz .LBB110_78
; %bb.2:
	s_and_b32 vcc_lo, exec_lo, s2
	s_cbranch_vccnz .LBB110_78
; %bb.3:
	s_clause 0x1
	s_load_dwordx16 s[8:23], s[4:5], 0x18
	s_load_dword s26, s[4:5], 0x0
	s_load_dword s27, s[0:1], 0x0
	s_waitcnt lgkmcnt(0)
	s_mul_i32 s3, s23, s7
	s_mul_hi_u32 s23, s22, s7
	s_mul_i32 s2, s22, s7
	s_add_i32 s3, s23, s3
	s_lshl_b64 s[2:3], s[2:3], 3
	s_add_u32 s16, s16, s2
	s_addc_u32 s17, s17, s3
	s_lshl_b64 s[2:3], s[18:19], 3
	s_add_u32 s2, s16, s2
	s_addc_u32 s3, s17, s3
	s_lshl_b32 s16, s6, 6
	s_ashr_i32 s28, s26, 31
	v_add_nc_u32_e32 v34, s16, v0
	s_lshr_b32 s0, s28, 26
	s_add_i32 s17, s27, -1
	s_add_i32 s1, s26, s0
	v_cmp_ne_u32_e64 s0, 0, v1
	v_ashrrev_i32_e32 v35, 31, v34
	v_mul_lo_u32 v4, s21, v34
	v_mad_u64_u32 v[2:3], null, s20, v34, 0
	s_andn2_b32 s1, s1, 63
	v_mul_lo_u32 v5, s20, v35
	s_sub_i32 s18, s26, s1
	v_cmp_eq_u32_e64 s1, 0, v1
	s_cmp_eq_u32 s6, s17
	s_cselect_b32 s18, s18, 0
	v_add3_u32 v3, v3, v5, v4
	v_lshlrev_b64 v[2:3], 3, v[2:3]
	v_add_co_u32 v18, vcc_lo, s2, v2
	v_add_co_ci_u32_e64 v19, null, s3, v3, vcc_lo
	s_and_saveexec_b32 s2, s1
	s_cbranch_execz .LBB110_7
; %bb.4:
	v_cmp_gt_i32_e32 vcc_lo, s18, v0
	s_cmp_eq_u32 s18, 0
	v_mov_b32_e32 v2, 0
	v_mov_b32_e32 v3, 0
	s_cselect_b32 s3, -1, 0
	s_or_b32 s17, s3, vcc_lo
	s_and_saveexec_b32 s3, s17
	s_cbranch_execz .LBB110_6
; %bb.5:
	global_load_dwordx2 v[2:3], v[18:19], off
.LBB110_6:
	s_or_b32 exec_lo, exec_lo, s3
	v_lshlrev_b32_e32 v4, 3, v0
	s_waitcnt vmcnt(0)
	ds_write_b64 v4, v[2:3] offset:9088
.LBB110_7:
	s_or_b32 exec_lo, exec_lo, s2
	v_lshl_add_u32 v24, v1, 6, v0
	v_and_b32_e32 v2, 31, v0
	v_mov_b32_e32 v3, 0
	s_mul_i32 s3, s15, s7
	s_mul_hi_u32 s15, s14, s7
	v_lshrrev_b32_e32 v13, 5, v24
	s_mul_i32 s2, s14, s7
	s_add_i32 s3, s15, s3
	s_lshl_b64 s[2:3], s[2:3], 3
	v_mad_u64_u32 v[3:4], null, s12, v13, v[2:3]
	s_add_u32 s8, s8, s2
	s_addc_u32 s9, s9, s3
	s_lshl_b64 s[2:3], s[10:11], 3
	s_mul_hi_u32 s10, s12, s16
	s_add_u32 s8, s8, s2
	s_addc_u32 s9, s9, s3
	v_mad_u64_u32 v[4:5], null, s13, v13, v[4:5]
	s_ashr_i32 s17, s16, 31
	s_mul_i32 s11, s13, s16
	s_lshl_b64 s[2:3], s[16:17], 3
	s_mul_i32 s14, s12, s17
	s_add_u32 s8, s8, s2
	s_addc_u32 s9, s9, s3
	v_lshlrev_b64 v[20:21], 3, v[3:4]
	s_add_i32 s3, s10, s14
	s_mul_i32 s2, s12, s16
	s_add_i32 s3, s3, s11
	s_lshl_b64 s[22:23], s[2:3], 3
	v_add_co_u32 v3, vcc_lo, s8, v20
	v_add_co_ci_u32_e64 v4, null, s9, v21, vcc_lo
	s_cmp_lg_u32 s18, 0
	v_add_co_u32 v3, vcc_lo, v3, s22
	v_add_co_ci_u32_e64 v4, null, s23, v4, vcc_lo
	s_cselect_b32 s29, -1, 0
	s_cmp_eq_u32 s18, 0
	s_mov_b32 s2, -1
	s_cselect_b32 s11, -1, 0
	s_and_b32 vcc_lo, exec_lo, s29
	s_cbranch_vccnz .LBB110_9
; %bb.8:
	s_lshl_b64 s[2:3], s[12:13], 6
	v_mul_u32_u24_e32 v14, 0x108, v13
	v_add_co_u32 v5, vcc_lo, v3, s2
	v_add_co_ci_u32_e64 v6, null, s3, v4, vcc_lo
	v_lshl_add_u32 v14, v2, 3, v14
	v_add_co_u32 v7, vcc_lo, v5, s2
	v_add_co_ci_u32_e64 v8, null, s3, v6, vcc_lo
	v_add_co_u32 v9, vcc_lo, v7, s2
	v_add_co_ci_u32_e64 v10, null, s3, v8, vcc_lo
	s_clause 0x3
	global_load_dwordx2 v[11:12], v[3:4], off
	global_load_dwordx2 v[5:6], v[5:6], off
	;; [unrolled: 1-line block ×4, first 2 shown]
	s_mov_b32 s2, 0
	s_waitcnt vmcnt(3)
	ds_write_b64 v14, v[11:12]
	s_waitcnt vmcnt(2)
	ds_write_b64 v14, v[5:6] offset:2112
	s_waitcnt vmcnt(1)
	ds_write_b64 v14, v[7:8] offset:4224
	;; [unrolled: 2-line block ×3, first 2 shown]
.LBB110_9:
	s_andn2_b32 vcc_lo, exec_lo, s2
	s_cbranch_vccnz .LBB110_19
; %bb.10:
	v_lshlrev_b32_e32 v14, 3, v2
	s_ashr_i32 s19, s18, 31
	v_mov_b32_e32 v7, 0
	s_lshl_b64 s[8:9], s[18:19], 3
	v_mov_b32_e32 v9, 0
	v_sub_co_u32 v5, vcc_lo, v3, v14
	v_subrev_co_ci_u32_e64 v6, null, 0, v4, vcc_lo
	v_mov_b32_e32 v8, 0
	v_add_co_u32 v5, vcc_lo, v5, s8
	v_add_co_ci_u32_e64 v6, null, s9, v6, vcc_lo
	v_mov_b32_e32 v10, 0
	v_add_co_u32 v5, vcc_lo, v5, -8
	v_add_co_ci_u32_e64 v6, null, -1, v6, vcc_lo
	v_cmp_gt_i32_e32 vcc_lo, s18, v2
	s_mov_b32 s3, exec_lo
	v_cndmask_b32_e32 v6, v6, v4, vcc_lo
	v_cndmask_b32_e32 v5, v5, v3, vcc_lo
	v_cmpx_gt_i32_e64 s18, v13
	s_cbranch_execz .LBB110_12
; %bb.11:
	global_load_dwordx2 v[9:10], v[5:6], off
.LBB110_12:
	s_or_b32 exec_lo, exec_lo, s3
	v_lshlrev_b32_e32 v11, 3, v2
	v_add_nc_u32_e32 v15, 8, v13
	v_mul_u32_u24_e32 v12, 0x108, v13
	s_mov_b32 s3, exec_lo
	v_mad_u32_u24 v16, 0x108, v13, v11
	s_waitcnt vmcnt(0)
	ds_write_b64 v16, v[9:10]
	v_cmpx_gt_i32_e64 s18, v15
	s_cbranch_execz .LBB110_14
; %bb.13:
	s_lshl_b64 s[14:15], s[12:13], 6
	v_add_co_u32 v7, s2, v5, s14
	v_add_co_ci_u32_e64 v8, null, s15, v6, s2
	global_load_dwordx2 v[7:8], v[7:8], off
.LBB110_14:
	s_or_b32 exec_lo, exec_lo, s3
	v_add_nc_u32_e32 v15, v12, v11
	v_mov_b32_e32 v9, 0
	v_mov_b32_e32 v11, 0
	v_add_nc_u32_e32 v16, 16, v13
	v_mov_b32_e32 v10, 0
	v_mov_b32_e32 v12, 0
	s_mov_b32 s3, exec_lo
	s_waitcnt vmcnt(0)
	ds_write_b64 v15, v[7:8] offset:2112
	v_cmpx_gt_i32_e64 s18, v16
	s_cbranch_execz .LBB110_16
; %bb.15:
	s_lshl_b64 s[14:15], s[12:13], 7
	v_add_co_u32 v7, s2, v5, s14
	v_add_co_ci_u32_e64 v8, null, s15, v6, s2
	global_load_dwordx2 v[11:12], v[7:8], off
.LBB110_16:
	s_or_b32 exec_lo, exec_lo, s3
	v_add_nc_u32_e32 v7, 24, v13
	s_mov_b32 s3, exec_lo
	s_waitcnt vmcnt(0)
	ds_write_b64 v15, v[11:12] offset:4224
	v_cmpx_gt_i32_e64 s18, v7
	s_cbranch_execz .LBB110_18
; %bb.17:
	v_mad_u64_u32 v[7:8], null, 0xc0, s12, v[5:6]
	v_mad_u64_u32 v[8:9], null, 0xc0, s13, v[8:9]
	global_load_dwordx2 v[9:10], v[7:8], off
.LBB110_18:
	s_or_b32 exec_lo, exec_lo, s3
	v_add_co_u32 v5, s2, v5, v14
	v_add_co_ci_u32_e64 v6, null, 0, v6, s2
	s_waitcnt vmcnt(0)
	ds_write_b64 v15, v[9:10] offset:6336
	v_sub_co_u32 v5, s2, v5, s8
	v_subrev_co_ci_u32_e64 v6, null, s9, v6, s2
	v_add_co_u32 v5, s2, v5, 8
	v_add_co_ci_u32_e64 v6, null, 0, v6, s2
	v_cndmask_b32_e32 v3, v5, v3, vcc_lo
	v_cndmask_b32_e32 v4, v6, v4, vcc_lo
.LBB110_19:
	v_lshlrev_b32_e32 v12, 3, v2
	v_lshlrev_b32_e32 v11, 2, v13
	s_waitcnt lgkmcnt(0)
	s_barrier
	buffer_gl0_inv
	v_lshl_or_b32 v7, v2, 8, v12
	v_cmp_lt_u32_e64 s3, v11, v2
	v_mad_u32_u24 v6, 0x420, v13, v12
	s_and_saveexec_b32 s2, s3
	s_cbranch_execz .LBB110_21
; %bb.20:
	ds_read_b64 v[8:9], v6
	v_lshl_add_u32 v5, v11, 3, v7
	s_waitcnt lgkmcnt(0)
	ds_write_b64 v5, v[8:9]
.LBB110_21:
	s_or_b32 exec_lo, exec_lo, s2
	v_or_b32_e32 v15, 1, v11
	v_cmp_lt_u32_e64 s8, v15, v2
	v_mad_u32_u24 v5, 0x108, v15, v12
	s_and_saveexec_b32 s2, s8
	s_cbranch_execz .LBB110_23
; %bb.22:
	ds_read_b64 v[8:9], v5
	v_lshl_add_u32 v10, v11, 3, v7
	s_waitcnt lgkmcnt(0)
	ds_write_b64 v10, v[8:9] offset:8
.LBB110_23:
	s_or_b32 exec_lo, exec_lo, s2
	v_or_b32_e32 v8, 2, v11
	v_cmp_lt_u32_e64 s9, v8, v2
	s_and_saveexec_b32 s2, s9
	s_cbranch_execz .LBB110_25
; %bb.24:
	v_mad_u32_u24 v8, 0x108, v8, v12
	v_lshl_add_u32 v10, v11, 3, v7
	ds_read_b64 v[8:9], v8
	s_waitcnt lgkmcnt(0)
	ds_write_b64 v10, v[8:9] offset:16
.LBB110_25:
	s_or_b32 exec_lo, exec_lo, s2
	v_or_b32_e32 v9, 3, v11
	s_mov_b32 s2, exec_lo
                                        ; implicit-def: $vgpr8
	v_cmp_lt_u32_e64 s10, v9, v2
	v_cmpx_ge_u32_e64 v9, v2
	s_xor_b32 s2, exec_lo, s2
; %bb.26:
	v_mul_u32_u24_e32 v8, 0x108, v9
                                        ; implicit-def: $vgpr7
                                        ; implicit-def: $vgpr9
; %bb.27:
	s_andn2_saveexec_b32 s2, s2
	s_cbranch_execz .LBB110_29
; %bb.28:
	v_mad_u32_u24 v8, 0x108, v9, v12
	v_lshl_add_u32 v7, v11, 3, v7
	ds_read_b64 v[16:17], v8
	v_mul_u32_u24_e32 v8, 0x108, v9
	s_waitcnt lgkmcnt(0)
	ds_write_b64 v7, v[16:17] offset:24
.LBB110_29:
	s_or_b32 exec_lo, exec_lo, s2
	v_lshlrev_b32_e32 v14, 3, v11
	s_waitcnt lgkmcnt(0)
	s_barrier
	buffer_gl0_inv
	ds_read_b64 v[22:23], v6
	ds_read_b128 v[25:28], v14 offset:9088
	v_add_nc_u32_e32 v16, v12, v8
	ds_read_b128 v[6:9], v14 offset:9104
	ds_read_b64 v[36:37], v16
	ds_read2_b64 v[29:32], v5 offset1:33
	v_cmp_gt_u32_e64 s2, 32, v24
	s_waitcnt lgkmcnt(0)
	s_barrier
	buffer_gl0_inv
	v_fma_f64 v[22:23], v[22:23], v[25:26], 0
	v_fma_f64 v[22:23], v[29:30], v[27:28], v[22:23]
	;; [unrolled: 1-line block ×3, first 2 shown]
	v_mul_u32_u24_e32 v7, 33, v2
	v_lshlrev_b32_e32 v25, 3, v7
	v_lshl_add_u32 v26, v13, 3, v25
	v_fma_f64 v[5:6], v[36:37], v[8:9], v[5:6]
	v_mov_b32_e32 v36, 0
	v_mov_b32_e32 v37, 0
	ds_write_b64 v26, v[5:6]
	s_waitcnt lgkmcnt(0)
	s_barrier
	buffer_gl0_inv
	s_and_saveexec_b32 s14, s2
	s_cbranch_execz .LBB110_31
; %bb.30:
	ds_read2_b64 v[5:8], v25 offset1:1
	ds_read2_b64 v[27:30], v25 offset0:2 offset1:3
	s_waitcnt lgkmcnt(1)
	v_add_f64 v[5:6], v[5:6], v[7:8]
	s_waitcnt lgkmcnt(0)
	v_add_f64 v[5:6], v[5:6], v[27:28]
	v_add_f64 v[9:10], v[5:6], v[29:30]
	ds_read2_b64 v[5:8], v25 offset0:4 offset1:5
	ds_read2_b64 v[27:30], v25 offset0:6 offset1:7
	s_waitcnt lgkmcnt(1)
	v_add_f64 v[5:6], v[9:10], v[5:6]
	v_add_f64 v[5:6], v[5:6], v[7:8]
	s_waitcnt lgkmcnt(0)
	v_add_f64 v[5:6], v[5:6], v[27:28]
	v_add_f64 v[36:37], v[5:6], v[29:30]
.LBB110_31:
	s_or_b32 exec_lo, exec_lo, s14
	s_lshl_b64 s[14:15], s[12:13], 8
	v_cndmask_b32_e64 v17, 0, 1, s11
	v_add_co_u32 v3, vcc_lo, v3, s14
	v_add_co_ci_u32_e64 v4, null, s15, v4, vcc_lo
	v_add_co_u32 v22, vcc_lo, 0x100, v3
	v_add_co_ci_u32_e64 v23, null, 0, v4, vcc_lo
	s_andn2_b32 vcc_lo, exec_lo, s11
	s_mov_b32 s11, -1
	s_barrier
	buffer_gl0_inv
	s_cbranch_vccnz .LBB110_33
; %bb.32:
	s_lshl_b64 s[24:25], s[12:13], 6
	v_mad_u32_u24 v29, 0x108, v13, v12
	v_add_co_u32 v5, vcc_lo, v3, s24
	v_add_co_ci_u32_e64 v6, null, s25, v4, vcc_lo
	s_mov_b32 s11, 0
	v_add_co_u32 v7, vcc_lo, v5, s24
	v_add_co_ci_u32_e64 v8, null, s25, v6, vcc_lo
	v_add_co_u32 v9, vcc_lo, v7, s24
	v_add_co_ci_u32_e64 v10, null, s25, v8, vcc_lo
	s_clause 0x3
	global_load_dwordx2 v[27:28], v[3:4], off offset:256
	global_load_dwordx2 v[5:6], v[5:6], off offset:256
	;; [unrolled: 1-line block ×4, first 2 shown]
	s_waitcnt vmcnt(3)
	ds_write_b64 v29, v[27:28]
	s_waitcnt vmcnt(2)
	ds_write_b64 v29, v[5:6] offset:2112
	s_waitcnt vmcnt(1)
	ds_write_b64 v29, v[7:8] offset:4224
	;; [unrolled: 2-line block ×3, first 2 shown]
.LBB110_33:
	s_andn2_b32 vcc_lo, exec_lo, s11
	s_cbranch_vccnz .LBB110_43
; %bb.34:
	v_lshlrev_b32_e32 v27, 3, v2
	s_ashr_i32 s19, s18, 31
	v_or_b32_e32 v5, 32, v2
	s_lshl_b64 s[24:25], s[18:19], 3
	v_mov_b32_e32 v7, 0
	v_sub_co_u32 v3, vcc_lo, v3, v27
	v_subrev_co_ci_u32_e64 v4, null, 0, v4, vcc_lo
	v_mov_b32_e32 v8, 0
	v_add_co_u32 v3, vcc_lo, v3, s24
	v_add_co_ci_u32_e64 v4, null, s25, v4, vcc_lo
	s_sub_i32 s19, s18, 32
	v_add_co_u32 v3, vcc_lo, v3, -8
	v_add_co_ci_u32_e64 v4, null, -1, v4, vcc_lo
	v_cmp_gt_i32_e32 vcc_lo, s18, v5
	v_mov_b32_e32 v5, 0
	v_mov_b32_e32 v6, 0
	s_mov_b32 s30, exec_lo
	v_cndmask_b32_e32 v4, v4, v23, vcc_lo
	v_cndmask_b32_e32 v3, v3, v22, vcc_lo
	v_cmpx_gt_i32_e64 s19, v13
	s_cbranch_execz .LBB110_36
; %bb.35:
	global_load_dwordx2 v[7:8], v[3:4], off
.LBB110_36:
	s_or_b32 exec_lo, exec_lo, s30
	v_add_nc_u32_e32 v10, 8, v13
	v_mul_u32_u24_e32 v9, 0x108, v13
	v_mad_u32_u24 v28, 0x108, v13, v12
	s_mov_b32 s30, exec_lo
	s_waitcnt vmcnt(0)
	ds_write_b64 v28, v[7:8]
	v_cmpx_gt_i32_e64 s19, v10
	s_cbranch_execz .LBB110_38
; %bb.37:
	s_lshl_b64 s[34:35], s[12:13], 6
	v_add_co_u32 v5, s11, v3, s34
	v_add_co_ci_u32_e64 v6, null, s35, v4, s11
	global_load_dwordx2 v[5:6], v[5:6], off
.LBB110_38:
	s_or_b32 exec_lo, exec_lo, s30
	v_add_nc_u32_e32 v28, v9, v12
	v_mov_b32_e32 v7, 0
	v_mov_b32_e32 v9, 0
	v_add_nc_u32_e32 v29, 16, v13
	v_mov_b32_e32 v8, 0
	v_mov_b32_e32 v10, 0
	s_mov_b32 s30, exec_lo
	s_waitcnt vmcnt(0)
	ds_write_b64 v28, v[5:6] offset:2112
	v_cmpx_gt_i32_e64 s19, v29
	s_cbranch_execz .LBB110_40
; %bb.39:
	s_lshl_b64 s[34:35], s[12:13], 7
	v_add_co_u32 v5, s11, v3, s34
	v_add_co_ci_u32_e64 v6, null, s35, v4, s11
	global_load_dwordx2 v[9:10], v[5:6], off
.LBB110_40:
	s_or_b32 exec_lo, exec_lo, s30
	v_add_nc_u32_e32 v5, 24, v13
	s_waitcnt vmcnt(0)
	ds_write_b64 v28, v[9:10] offset:4224
	v_cmp_gt_i32_e64 s11, s19, v5
	s_and_saveexec_b32 s19, s11
	s_cbranch_execz .LBB110_42
; %bb.41:
	v_mad_u64_u32 v[5:6], null, 0xc0, s12, v[3:4]
	v_mad_u64_u32 v[6:7], null, 0xc0, s13, v[6:7]
	global_load_dwordx2 v[7:8], v[5:6], off
.LBB110_42:
	s_or_b32 exec_lo, exec_lo, s19
	v_add_co_u32 v3, s11, v3, v27
	v_add_co_ci_u32_e64 v4, null, 0, v4, s11
	s_waitcnt vmcnt(0)
	ds_write_b64 v28, v[7:8] offset:6336
	v_sub_co_u32 v3, s11, v3, s24
	v_subrev_co_ci_u32_e64 v4, null, s25, v4, s11
	v_add_co_u32 v3, s11, 0x108, v3
	v_add_co_ci_u32_e64 v4, null, 0, v4, s11
	v_cndmask_b32_e32 v22, v3, v22, vcc_lo
	v_cndmask_b32_e32 v23, v4, v23, vcc_lo
.LBB110_43:
	v_mul_u32_u24_e32 v4, 0x420, v13
	v_add_nc_u32_e32 v14, 0x2380, v14
	v_mul_u32_u24_e32 v3, 0x108, v15
	s_lshl_b64 s[24:25], s[12:13], 5
	s_waitcnt lgkmcnt(0)
	v_add_nc_u32_e32 v4, v12, v4
	s_barrier
	buffer_gl0_inv
	s_and_saveexec_b32 s11, s3
	s_cbranch_execnz .LBB110_52
; %bb.44:
	s_or_b32 exec_lo, exec_lo, s11
	v_add_nc_u32_e32 v3, v12, v3
	s_and_saveexec_b32 s3, s8
	s_cbranch_execnz .LBB110_53
.LBB110_45:
	s_or_b32 exec_lo, exec_lo, s3
	s_and_saveexec_b32 s3, s9
	s_cbranch_execnz .LBB110_54
.LBB110_46:
	s_or_b32 exec_lo, exec_lo, s3
	s_and_saveexec_b32 s3, s10
	s_cbranch_execz .LBB110_48
.LBB110_47:
	ds_read_b64 v[5:6], v16
	v_lshl_add_u32 v7, v11, 3, v25
	s_waitcnt lgkmcnt(0)
	ds_write_b64 v7, v[5:6] offset:24
.LBB110_48:
	s_or_b32 exec_lo, exec_lo, s3
	s_waitcnt lgkmcnt(0)
	s_barrier
	buffer_gl0_inv
	ds_read_b64 v[8:9], v4
	ds_read_b128 v[4:7], v14 offset:256
	ds_read_b128 v[27:30], v14 offset:272
	ds_read_b64 v[15:16], v16
	ds_read2_b64 v[38:41], v3 offset1:33
	v_cmp_eq_u32_e64 s3, 1, v13
	s_waitcnt lgkmcnt(0)
	s_barrier
	buffer_gl0_inv
	v_fma_f64 v[4:5], v[8:9], v[4:5], 0
	v_fma_f64 v[3:4], v[38:39], v[6:7], v[4:5]
	;; [unrolled: 1-line block ×4, first 2 shown]
	ds_write_b64 v26, v[3:4]
	s_waitcnt lgkmcnt(0)
	s_barrier
	buffer_gl0_inv
	s_and_saveexec_b32 s8, s3
	s_cbranch_execz .LBB110_50
; %bb.49:
	ds_read2_b64 v[3:6], v25 offset1:1
	ds_read2_b64 v[7:10], v25 offset0:2 offset1:3
	s_waitcnt lgkmcnt(1)
	v_add_f64 v[3:4], v[3:4], v[5:6]
	s_waitcnt lgkmcnt(0)
	v_add_f64 v[3:4], v[3:4], v[7:8]
	v_add_f64 v[15:16], v[3:4], v[9:10]
	ds_read2_b64 v[3:6], v25 offset0:4 offset1:5
	ds_read2_b64 v[7:10], v25 offset0:6 offset1:7
	s_waitcnt lgkmcnt(1)
	v_add_f64 v[3:4], v[15:16], v[3:4]
	v_add_f64 v[3:4], v[3:4], v[5:6]
	s_waitcnt lgkmcnt(0)
	v_add_f64 v[3:4], v[3:4], v[7:8]
	v_add_f64 v[36:37], v[3:4], v[9:10]
.LBB110_50:
	s_or_b32 exec_lo, exec_lo, s8
	s_lshl_b64 s[8:9], s[24:25], 3
	v_cmp_ne_u32_e32 vcc_lo, 1, v17
	v_sub_co_u32 v22, s8, v22, s8
	v_subrev_co_ci_u32_e64 v23, null, s9, v23, s8
	s_barrier
	buffer_gl0_inv
	s_cbranch_vccnz .LBB110_55
; %bb.51:
	s_lshl_b64 s[8:9], s[12:13], 6
	global_load_dwordx2 v[7:8], v[22:23], off
	v_add_co_u32 v3, vcc_lo, v22, s8
	v_add_co_ci_u32_e64 v4, null, s9, v23, vcc_lo
	v_add_nc_u32_e32 v15, 8, v13
	v_add_co_u32 v5, vcc_lo, v3, s8
	v_add_co_ci_u32_e64 v6, null, s9, v4, vcc_lo
	v_add_nc_u32_e32 v16, 16, v13
	v_add_co_u32 v9, vcc_lo, v5, s8
	v_add_co_ci_u32_e64 v10, null, s9, v6, vcc_lo
	s_movk_i32 s8, 0x840
	s_clause 0x2
	global_load_dwordx2 v[27:28], v[3:4], off
	global_load_dwordx2 v[4:5], v[5:6], off
	;; [unrolled: 1-line block ×3, first 2 shown]
	v_mad_u32_u24 v3, 0x108, v13, v12
	v_mad_u32_u24 v17, 0x108, v13, s8
	s_movk_i32 s8, 0x18c0
	s_movk_i32 s9, 0x1080
	v_mul_u32_u24_e32 v10, 0x108, v13
	v_mad_u32_u24 v6, 0x108, v13, s9
	v_add_nc_u32_e32 v9, v12, v6
	s_waitcnt vmcnt(3)
	ds_write_b64 v3, v[7:8]
	v_mad_u32_u24 v3, 0x108, v13, s8
	v_add_nc_u32_e32 v8, v12, v17
	v_add_nc_u32_e32 v7, 24, v13
	s_waitcnt vmcnt(2)
	ds_write_b64 v8, v[27:28]
	s_waitcnt vmcnt(1)
	ds_write_b64 v9, v[4:5]
	v_add_nc_u32_e32 v31, v12, v3
	s_waitcnt vmcnt(0)
	ds_write_b64 v31, v[29:30]
	s_cbranch_execz .LBB110_56
	s_branch .LBB110_65
.LBB110_52:
	ds_read_b64 v[5:6], v4
	v_lshl_add_u32 v7, v11, 3, v25
	s_waitcnt lgkmcnt(0)
	ds_write_b64 v7, v[5:6]
	s_or_b32 exec_lo, exec_lo, s11
	v_add_nc_u32_e32 v3, v12, v3
	s_and_saveexec_b32 s3, s8
	s_cbranch_execz .LBB110_45
.LBB110_53:
	ds_read_b64 v[5:6], v3
	v_lshl_add_u32 v7, v11, 3, v25
	s_waitcnt lgkmcnt(0)
	ds_write_b64 v7, v[5:6] offset:8
	s_or_b32 exec_lo, exec_lo, s3
	s_and_saveexec_b32 s3, s9
	s_cbranch_execz .LBB110_46
.LBB110_54:
	ds_read_b64 v[5:6], v3 offset:264
	v_lshl_add_u32 v7, v11, 3, v25
	s_waitcnt lgkmcnt(0)
	ds_write_b64 v7, v[5:6] offset:16
	s_or_b32 exec_lo, exec_lo, s3
	s_and_saveexec_b32 s3, s10
	s_cbranch_execnz .LBB110_47
	s_branch .LBB110_48
.LBB110_55:
                                        ; implicit-def: $vgpr10
                                        ; implicit-def: $vgpr15
                                        ; implicit-def: $vgpr17
                                        ; implicit-def: $vgpr16
                                        ; implicit-def: $vgpr6
                                        ; implicit-def: $vgpr7
                                        ; implicit-def: $vgpr3
.LBB110_56:
	v_lshlrev_b32_e32 v27, 3, v2
	s_ashr_i32 s19, s18, 31
	v_or_b32_e32 v2, 32, v2
	s_lshl_b64 s[10:11], s[18:19], 3
	v_mov_b32_e32 v6, 0
	v_sub_co_u32 v3, vcc_lo, v22, v27
	v_subrev_co_ci_u32_e64 v4, null, 0, v23, vcc_lo
	v_mov_b32_e32 v7, 0
	v_add_co_u32 v3, vcc_lo, v3, s10
	v_add_co_ci_u32_e64 v4, null, s11, v4, vcc_lo
	s_mov_b32 s9, exec_lo
	v_add_co_u32 v8, vcc_lo, 0xfffffef8, v3
	v_add_co_ci_u32_e64 v3, null, -1, v4, vcc_lo
	v_cmp_gt_i32_e32 vcc_lo, s18, v2
	v_mov_b32_e32 v4, 0
	v_mov_b32_e32 v5, 0
	v_cndmask_b32_e32 v3, v3, v23, vcc_lo
	v_cndmask_b32_e32 v2, v8, v22, vcc_lo
	v_cmpx_gt_i32_e64 s18, v13
	s_cbranch_execz .LBB110_58
; %bb.57:
	global_load_dwordx2 v[4:5], v[2:3], off
.LBB110_58:
	s_or_b32 exec_lo, exec_lo, s9
	v_add_nc_u32_e32 v15, 8, v13
	v_mul_u32_u24_e32 v10, 0x108, v13
	v_mad_u32_u24 v8, 0x108, v13, v12
	s_mov_b32 s9, exec_lo
	s_waitcnt vmcnt(0)
	ds_write_b64 v8, v[4:5]
	v_cmpx_gt_i32_e64 s18, v15
	s_cbranch_execz .LBB110_60
; %bb.59:
	s_lshl_b64 s[24:25], s[12:13], 6
	v_add_co_u32 v4, s8, v2, s24
	v_add_co_ci_u32_e64 v5, null, s25, v3, s8
	global_load_dwordx2 v[6:7], v[4:5], off
.LBB110_60:
	s_or_b32 exec_lo, exec_lo, s9
	v_add_nc_u32_e32 v17, 0x840, v10
	v_mov_b32_e32 v4, 0
	v_mov_b32_e32 v8, 0
	v_add_nc_u32_e32 v16, 16, v13
	v_mov_b32_e32 v5, 0
	v_add_nc_u32_e32 v28, v12, v17
	v_mov_b32_e32 v9, 0
	s_mov_b32 s9, exec_lo
	s_waitcnt vmcnt(0)
	ds_write_b64 v28, v[6:7]
	v_cmpx_gt_i32_e64 s18, v16
	s_cbranch_execz .LBB110_62
; %bb.61:
	s_lshl_b64 s[24:25], s[12:13], 7
	v_add_co_u32 v6, s8, v2, s24
	v_add_co_ci_u32_e64 v7, null, s25, v3, s8
	global_load_dwordx2 v[8:9], v[6:7], off
.LBB110_62:
	s_or_b32 exec_lo, exec_lo, s9
	v_add_nc_u32_e32 v6, 0x840, v17
	v_add_nc_u32_e32 v7, 24, v13
	s_mov_b32 s9, exec_lo
	v_add_nc_u32_e32 v28, v12, v6
	s_waitcnt vmcnt(0)
	ds_write_b64 v28, v[8:9]
	v_cmpx_gt_i32_e64 s18, v7
	s_cbranch_execz .LBB110_64
; %bb.63:
	v_mad_u64_u32 v[4:5], null, 0xc0, s12, v[2:3]
	v_mad_u64_u32 v[8:9], null, 0xc0, s13, v[5:6]
	v_mov_b32_e32 v5, v8
	global_load_dwordx2 v[4:5], v[4:5], off
.LBB110_64:
	s_or_b32 exec_lo, exec_lo, s9
	v_add_co_u32 v2, s8, v2, v27
	v_add_co_ci_u32_e64 v3, null, 0, v3, s8
	v_sub_co_u32 v2, s8, v2, s10
	v_subrev_co_ci_u32_e64 v8, null, s11, v3, s8
	v_add_nc_u32_e32 v3, 0x840, v6
	v_add_co_u32 v2, s8, 0x108, v2
	v_add_co_ci_u32_e64 v8, null, 0, v8, s8
	v_add_nc_u32_e32 v9, v12, v3
	v_cndmask_b32_e32 v22, v2, v22, vcc_lo
	v_cndmask_b32_e32 v23, v8, v23, vcc_lo
	s_waitcnt vmcnt(0)
	ds_write_b64 v9, v[4:5]
.LBB110_65:
	v_add_nc_u32_e32 v2, v12, v10
	v_lshlrev_b32_e32 v8, 3, v13
	s_waitcnt lgkmcnt(0)
	s_barrier
	buffer_gl0_inv
	ds_read_b64 v[4:5], v2
	ds_read_b64 v[8:9], v8 offset:9088
	v_add_nc_u32_e32 v2, v12, v17
	v_lshlrev_b32_e32 v10, 3, v15
	ds_read_b64 v[27:28], v2
	ds_read_b64 v[29:30], v10 offset:9088
	v_add_nc_u32_e32 v2, v12, v6
	v_lshlrev_b32_e32 v6, 3, v16
	s_waitcnt lgkmcnt(2)
	v_fma_f64 v[4:5], v[4:5], v[8:9], 0
	ds_read_b64 v[8:9], v2
	ds_read_b64 v[15:16], v6 offset:9088
	v_add_nc_u32_e32 v2, v12, v3
	v_lshlrev_b32_e32 v6, 3, v7
	ds_read_b64 v[2:3], v2
	ds_read_b64 v[6:7], v6 offset:9088
	s_waitcnt lgkmcnt(4)
	v_fma_f64 v[4:5], v[27:28], v[29:30], v[4:5]
	s_waitcnt lgkmcnt(2)
	v_fma_f64 v[4:5], v[8:9], v[15:16], v[4:5]
	v_lshl_add_u32 v8, v11, 3, v25
	s_waitcnt lgkmcnt(0)
	v_fma_f64 v[27:28], v[2:3], v[6:7], v[4:5]
	ds_read_b128 v[10:13], v14 offset:256
	ds_read_b128 v[2:5], v14 offset:272
	ds_read2_b64 v[14:17], v8 offset1:1
	ds_read2_b64 v[6:9], v8 offset0:2 offset1:3
	s_waitcnt lgkmcnt(0)
	s_barrier
	buffer_gl0_inv
	ds_write_b64 v26, v[27:28]
	s_waitcnt lgkmcnt(0)
	s_barrier
	buffer_gl0_inv
	s_and_saveexec_b32 s8, s3
	s_cbranch_execz .LBB110_67
; %bb.66:
	ds_read2_b64 v[27:30], v25 offset1:1
	ds_read2_b64 v[38:41], v25 offset0:2 offset1:3
	s_waitcnt lgkmcnt(1)
	v_add_f64 v[27:28], v[36:37], v[27:28]
	v_add_f64 v[27:28], v[27:28], v[29:30]
	s_waitcnt lgkmcnt(0)
	v_add_f64 v[27:28], v[27:28], v[38:39]
	v_add_f64 v[31:32], v[27:28], v[40:41]
	ds_read2_b64 v[27:30], v25 offset0:4 offset1:5
	ds_read2_b64 v[36:39], v25 offset0:6 offset1:7
	s_waitcnt lgkmcnt(1)
	v_add_f64 v[27:28], v[31:32], v[27:28]
	v_add_f64 v[27:28], v[27:28], v[29:30]
	s_waitcnt lgkmcnt(0)
	v_add_f64 v[27:28], v[27:28], v[36:37]
	v_add_f64 v[36:37], v[27:28], v[38:39]
.LBB110_67:
	s_or_b32 exec_lo, exec_lo, s8
	v_fma_f64 v[10:11], v[14:15], v[10:11], 0
	s_barrier
	buffer_gl0_inv
	v_fma_f64 v[10:11], v[16:17], v[12:13], v[10:11]
	v_fma_f64 v[2:3], v[6:7], v[2:3], v[10:11]
	;; [unrolled: 1-line block ×3, first 2 shown]
	ds_write_b64 v26, v[2:3]
	s_waitcnt lgkmcnt(0)
	s_barrier
	buffer_gl0_inv
	s_and_saveexec_b32 s3, s2
	s_cbranch_execz .LBB110_69
; %bb.68:
	ds_read2_b64 v[2:5], v25 offset1:1
	ds_read2_b64 v[6:9], v25 offset0:2 offset1:3
	s_waitcnt lgkmcnt(1)
	v_add_f64 v[2:3], v[36:37], v[2:3]
	v_add_f64 v[2:3], v[2:3], v[4:5]
	s_waitcnt lgkmcnt(0)
	v_add_f64 v[2:3], v[2:3], v[6:7]
	v_add_f64 v[10:11], v[2:3], v[8:9]
	ds_read2_b64 v[2:5], v25 offset0:4 offset1:5
	ds_read2_b64 v[6:9], v25 offset0:6 offset1:7
	s_waitcnt lgkmcnt(1)
	v_add_f64 v[2:3], v[10:11], v[2:3]
	v_add_f64 v[2:3], v[2:3], v[4:5]
	s_waitcnt lgkmcnt(0)
	v_add_f64 v[2:3], v[2:3], v[6:7]
	v_add_f64 v[36:37], v[2:3], v[8:9]
.LBB110_69:
	s_or_b32 exec_lo, exec_lo, s3
	s_load_dwordx2 s[2:3], s[4:5], 0x68
	s_mul_hi_u32 s4, s26, s7
	s_mul_i32 s28, s28, s7
	s_mul_i32 s5, s26, s7
	s_add_i32 s4, s4, s28
	s_mul_hi_u32 s7, s5, s27
	s_mul_i32 s8, s4, s27
	s_mul_i32 s4, s5, s27
	s_add_i32 s5, s7, s8
	s_mul_i32 s8, s26, s6
	s_lshl_b64 s[4:5], s[4:5], 3
	v_cmp_le_i32_e32 vcc_lo, s18, v0
	v_lshlrev_b32_e32 v74, 3, v0
	s_waitcnt lgkmcnt(0)
	s_barrier
	buffer_gl0_inv
	s_add_u32 s4, s2, s4
	s_addc_u32 s5, s3, s5
	s_ashr_i32 s9, s8, 31
	s_lshl_b64 s[2:3], s[8:9], 3
	s_add_u32 s7, s4, s2
	s_addc_u32 s24, s5, s3
	s_and_b32 vcc_lo, s29, vcc_lo
	s_cmp_lt_i32 s6, 1
	s_cbranch_scc1 .LBB110_76
; %bb.70:
	v_lshlrev_b32_e32 v4, 2, v1
	v_sub_co_u32 v6, s2, v22, s22
	v_subrev_co_ci_u32_e64 v7, null, s23, v23, s2
	v_mad_u64_u32 v[2:3], null, s12, v4, 0
	v_sub_co_u32 v6, s2, v6, v20
	v_sub_co_ci_u32_e64 v7, null, v7, v21, s2
	s_ashr_i32 s19, s18, 31
	s_mul_i32 s3, s20, s17
	v_mad_u64_u32 v[3:4], null, s13, v4, v[3:4]
	s_lshl_b64 s[8:9], s[18:19], 3
	s_mul_hi_u32 s5, s20, s16
	s_mul_i32 s10, s21, s16
	s_add_i32 s3, s5, s3
	s_mul_i32 s4, s20, s16
	s_add_i32 s5, s3, s10
	v_lshlrev_b64 v[2:3], 3, v[2:3]
	s_mul_i32 s3, s13, 24
	s_mul_hi_u32 s16, s12, 24
	s_mul_hi_u32 s18, s12, 0x90
	s_add_i32 s16, s16, s3
	s_mul_i32 s3, s13, 0x90
	v_add_co_u32 v2, s2, v6, v2
	v_add_co_ci_u32_e64 v3, null, v7, v3, s2
	v_lshrrev_b32_e32 v4, 4, v24
	v_add_co_u32 v6, s2, v2, s8
	v_add_co_ci_u32_e64 v7, null, s9, v3, s2
	v_add_co_u32 v2, s2, v2, v74
	v_add_co_ci_u32_e64 v3, null, 0, v3, s2
	v_add_co_u32 v6, s2, 0xfffffef8, v6
	v_add_co_ci_u32_e64 v7, null, -1, v7, s2
	v_add_co_u32 v2, s2, 0xffffff00, v2
	v_add_co_ci_u32_e64 v3, null, -1, v3, s2
	s_add_i32 s18, s18, s3
	s_mul_i32 s3, s13, 0x98
	s_mul_hi_u32 s22, s12, 0x98
	s_mul_hi_u32 s25, s12, 0x110
	s_add_i32 s22, s22, s3
	s_mul_i32 s3, s13, 0x110
	s_mul_hi_u32 s27, s12, 0x118
	s_add_i32 s25, s25, s3
	s_mul_i32 s3, s13, 0x118
	v_and_b32_e32 v5, 15, v0
	v_cndmask_b32_e32 v41, v3, v7, vcc_lo
	v_cndmask_b32_e32 v40, v2, v6, vcc_lo
	v_and_b32_e32 v2, 48, v0
	v_lshlrev_b32_e32 v3, 5, v4
	s_add_i32 s27, s27, s3
	s_mul_i32 s3, s13, 0x190
	s_mul_hi_u32 s29, s12, 0x190
	s_mul_hi_u32 s31, s12, 0x198
	s_add_i32 s29, s29, s3
	s_mul_i32 s3, s13, 0x198
	v_lshlrev_b32_e32 v2, 3, v2
	v_or_b32_e32 v6, 0x78, v74
	v_mad_u32_u24 v81, 0x218, v5, v3
	v_mul_i32_i24_e32 v3, 0xffffffe8, v4
	s_add_i32 s31, s31, s3
	s_mul_i32 s3, s13, 0x188
	s_mul_hi_u32 s34, s12, 0x188
	s_lshl_b64 s[4:5], s[4:5], 3
	s_add_i32 s34, s34, s3
	s_mul_i32 s3, s13, 0x180
	s_mul_hi_u32 s36, s12, 0x180
	v_sub_co_u32 v75, s2, v18, s4
	s_add_i32 s36, s36, s3
	s_mul_i32 s3, s13, 0x108
	s_mul_hi_u32 s38, s12, 0x108
	v_mov_b32_e32 v39, 0
	v_subrev_co_ci_u32_e64 v76, null, s5, v19, s2
	v_add_nc_u32_e32 v77, 0x2180, v74
	v_lshl_add_u32 v78, v1, 5, 0x2180
	v_add_nc_u32_e32 v79, 0x2380, v74
	v_mad_u32_u24 v80, 0x860, v1, v74
	v_cmp_gt_u32_e64 s2, 64, v24
	v_mad_u32_u24 v82, 0x218, v5, v2
	v_mad_u32_u24 v83, 0x218, v5, v6
	v_add_nc_u32_e32 v84, v81, v3
	s_add_i32 s38, s38, s3
	s_mul_i32 s3, s13, 0x88
	s_mul_hi_u32 s40, s12, 0x88
	s_lshl_b64 s[4:5], s[12:13], 3
	s_lshl_b64 s[8:9], s[12:13], 9
	;; [unrolled: 1-line block ×3, first 2 shown]
	s_mul_i32 s17, s12, 24
	s_mul_i32 s19, s12, 0x90
	;; [unrolled: 1-line block ×10, first 2 shown]
	s_add_i32 s40, s40, s3
	s_mul_i32 s41, s12, 0x88
	s_lshl_b64 s[12:13], s[12:13], 7
	s_mov_b32 s42, 0
	s_branch .LBB110_72
.LBB110_71:                             ;   in Loop: Header=BB110_72 Depth=1
	s_or_b32 exec_lo, exec_lo, s43
	v_fma_f64 v[6:7], v[42:43], v[6:7], v[36:37]
	v_add_co_u32 v40, s3, v40, s8
	v_add_co_ci_u32_e64 v41, null, s9, v41, s3
	s_add_i32 s6, s6, -1
	s_add_i32 s42, s42, 64
	s_cmp_eq_u32 s6, 0
	s_waitcnt_vscnt null, 0x0
	s_barrier
	buffer_gl0_inv
	v_fma_f64 v[6:7], v[44:45], v[8:9], v[6:7]
	v_fma_f64 v[2:3], v[46:47], v[2:3], v[6:7]
	;; [unrolled: 1-line block ×15, first 2 shown]
	s_cbranch_scc1 .LBB110_76
.LBB110_72:                             ; =>This Inner Loop Header: Depth=1
	s_and_saveexec_b32 s43, s1
	s_cbranch_execz .LBB110_74
; %bb.73:                               ;   in Loop: Header=BB110_72 Depth=1
	s_mul_i32 s3, s21, s42
	s_mul_hi_u32 s45, s20, s42
	s_mul_i32 s44, s20, s42
	s_add_i32 s45, s45, s3
	s_lshl_b64 s[44:45], s[44:45], 3
	v_add_co_u32 v2, s3, v75, s44
	v_add_co_ci_u32_e64 v3, null, s45, v76, s3
	global_load_dwordx2 v[2:3], v[2:3], off
	s_waitcnt vmcnt(0)
	ds_write_b64 v77, v[2:3]
.LBB110_74:                             ;   in Loop: Header=BB110_72 Depth=1
	s_or_b32 exec_lo, exec_lo, s43
	v_add_co_u32 v2, s3, v40, s4
	v_add_co_ci_u32_e64 v3, null, s5, v41, s3
	v_add_co_u32 v4, s3, v40, s10
	v_add_co_ci_u32_e64 v5, null, s11, v41, s3
	;; [unrolled: 2-line block ×3, first 2 shown]
	s_waitcnt lgkmcnt(0)
	s_barrier
	buffer_gl0_inv
	s_clause 0x3
	global_load_dwordx2 v[42:43], v[40:41], off
	global_load_dwordx2 v[44:45], v[2:3], off
	;; [unrolled: 1-line block ×4, first 2 shown]
	ds_read_b64 v[2:3], v79
	v_add_co_u32 v18, s3, v40, s12
	v_add_co_ci_u32_e64 v19, null, s13, v41, s3
	v_add_co_u32 v20, s3, v40, s41
	v_add_co_ci_u32_e64 v21, null, s40, v41, s3
	;; [unrolled: 2-line block ×12, first 2 shown]
	s_waitcnt vmcnt(3) lgkmcnt(0)
	v_mul_f64 v[10:11], v[42:43], v[2:3]
	s_waitcnt vmcnt(2)
	v_mul_f64 v[12:13], v[44:45], v[2:3]
	s_waitcnt vmcnt(1)
	;; [unrolled: 2-line block ×3, first 2 shown]
	v_mul_f64 v[16:17], v[48:49], v[2:3]
	ds_read_b128 v[6:9], v78
	ds_read_b128 v[2:5], v78 offset:16
	ds_write2_b64 v80, v[10:11], v[12:13] offset1:67
	ds_write2_b64 v80, v[14:15], v[16:17] offset0:134 offset1:201
	s_waitcnt lgkmcnt(0)
	s_barrier
	buffer_gl0_inv
	ds_read2_b64 v[85:88], v81 offset1:1
	ds_read2_b64 v[89:92], v81 offset0:2 offset1:3
	s_waitcnt lgkmcnt(0)
	s_barrier
	buffer_gl0_inv
	s_clause 0x3
	global_load_dwordx2 v[50:51], v[18:19], off
	global_load_dwordx2 v[52:53], v[20:21], off
	;; [unrolled: 1-line block ×4, first 2 shown]
	ds_read_b64 v[10:11], v79
	v_add_f64 v[85:86], v[85:86], 0
	s_waitcnt vmcnt(3) lgkmcnt(0)
	v_mul_f64 v[18:19], v[50:51], v[10:11]
	s_waitcnt vmcnt(2)
	v_mul_f64 v[20:21], v[52:53], v[10:11]
	s_waitcnt vmcnt(1)
	;; [unrolled: 2-line block ×3, first 2 shown]
	v_mul_f64 v[24:25], v[56:57], v[10:11]
	ds_read_b128 v[14:17], v78 offset:128
	ds_read_b128 v[10:13], v78 offset:144
	ds_write2_b64 v80, v[18:19], v[20:21] offset1:67
	ds_write2_b64 v80, v[22:23], v[24:25] offset0:134 offset1:201
	s_waitcnt lgkmcnt(0)
	s_barrier
	buffer_gl0_inv
	ds_read2_b64 v[93:96], v81 offset1:1
	ds_read2_b64 v[97:100], v81 offset0:2 offset1:3
	s_waitcnt lgkmcnt(0)
	s_barrier
	buffer_gl0_inv
	s_clause 0x3
	global_load_dwordx2 v[58:59], v[26:27], off
	global_load_dwordx2 v[60:61], v[28:29], off
	;; [unrolled: 1-line block ×4, first 2 shown]
	ds_read_b64 v[18:19], v79
	v_add_f64 v[93:94], v[93:94], 0
	v_add_f64 v[93:94], v[93:94], v[95:96]
	;; [unrolled: 1-line block ×3, first 2 shown]
	s_waitcnt vmcnt(3) lgkmcnt(0)
	v_mul_f64 v[26:27], v[58:59], v[18:19]
	s_waitcnt vmcnt(2)
	v_mul_f64 v[28:29], v[60:61], v[18:19]
	s_waitcnt vmcnt(1)
	;; [unrolled: 2-line block ×3, first 2 shown]
	v_mul_f64 v[32:33], v[64:65], v[18:19]
	ds_read_b128 v[18:21], v78 offset:256
	ds_read_b128 v[22:25], v78 offset:272
	ds_write2_b64 v80, v[26:27], v[28:29] offset1:67
	ds_write2_b64 v80, v[30:31], v[32:33] offset0:134 offset1:201
	s_waitcnt lgkmcnt(0)
	s_barrier
	buffer_gl0_inv
	ds_read2_b64 v[101:104], v81 offset1:1
	ds_read2_b64 v[105:108], v81 offset0:2 offset1:3
	s_waitcnt lgkmcnt(0)
	s_barrier
	buffer_gl0_inv
	s_clause 0x3
	global_load_dwordx2 v[66:67], v[66:67], off
	global_load_dwordx2 v[68:69], v[68:69], off
	;; [unrolled: 1-line block ×4, first 2 shown]
	ds_read_b64 v[26:27], v79
	v_add_f64 v[101:102], v[101:102], 0
	v_add_f64 v[95:96], v[101:102], v[103:104]
	;; [unrolled: 1-line block ×3, first 2 shown]
	s_waitcnt vmcnt(3) lgkmcnt(0)
	v_mul_f64 v[109:110], v[66:67], v[26:27]
	s_waitcnt vmcnt(2)
	v_mul_f64 v[111:112], v[68:69], v[26:27]
	s_waitcnt vmcnt(1)
	;; [unrolled: 2-line block ×3, first 2 shown]
	v_mul_f64 v[115:116], v[72:73], v[26:27]
	ds_read_b128 v[26:29], v78 offset:384
	ds_read_b128 v[30:33], v78 offset:400
	ds_write2_b64 v80, v[109:110], v[111:112] offset1:67
	ds_write2_b64 v80, v[113:114], v[115:116] offset0:134 offset1:201
	s_waitcnt lgkmcnt(0)
	s_barrier
	buffer_gl0_inv
	ds_read2_b64 v[109:112], v81 offset1:1
	v_add_f64 v[113:114], v[85:86], v[87:88]
	ds_read2_b64 v[85:88], v81 offset0:2 offset1:3
	s_waitcnt lgkmcnt(0)
	s_barrier
	buffer_gl0_inv
	v_add_f64 v[109:110], v[109:110], 0
	v_add_f64 v[89:90], v[113:114], v[89:90]
	;; [unrolled: 1-line block ×8, first 2 shown]
	ds_write2_b64 v84, v[89:90], v[91:92] offset1:16
	ds_write2_b64 v84, v[93:94], v[85:86] offset0:32 offset1:48
	s_waitcnt lgkmcnt(0)
	s_barrier
	buffer_gl0_inv
	s_and_saveexec_b32 s43, s2
	s_cbranch_execz .LBB110_71
; %bb.75:                               ;   in Loop: Header=BB110_72 Depth=1
	ds_read2_b64 v[85:88], v82 offset1:1
	ds_read2_b64 v[89:92], v82 offset0:2 offset1:3
	v_add_nc_u32_e32 v38, s42, v0
	s_waitcnt lgkmcnt(1)
	v_add_f64 v[85:86], v[85:86], v[87:88]
	s_waitcnt lgkmcnt(0)
	v_add_f64 v[85:86], v[85:86], v[89:90]
	v_add_f64 v[93:94], v[85:86], v[91:92]
	ds_read2_b64 v[85:88], v82 offset0:4 offset1:5
	ds_read2_b64 v[89:92], v82 offset0:6 offset1:7
	s_waitcnt lgkmcnt(1)
	v_add_f64 v[85:86], v[93:94], v[85:86]
	v_add_f64 v[85:86], v[85:86], v[87:88]
	s_waitcnt lgkmcnt(0)
	v_add_f64 v[85:86], v[85:86], v[89:90]
	v_add_f64 v[93:94], v[85:86], v[91:92]
	ds_read2_b64 v[85:88], v82 offset0:8 offset1:9
	ds_read2_b64 v[89:92], v82 offset0:10 offset1:11
	s_waitcnt lgkmcnt(1)
	v_add_f64 v[85:86], v[93:94], v[85:86]
	v_add_f64 v[85:86], v[85:86], v[87:88]
	s_waitcnt lgkmcnt(0)
	v_add_f64 v[85:86], v[85:86], v[89:90]
	v_add_f64 v[89:90], v[85:86], v[91:92]
	ds_read2_b64 v[85:88], v82 offset0:12 offset1:13
	ds_read_b64 v[91:92], v82 offset:112
	s_waitcnt lgkmcnt(1)
	v_add_f64 v[85:86], v[89:90], v[85:86]
	v_add_f64 v[85:86], v[85:86], v[87:88]
	ds_read_b64 v[87:88], v83
	s_waitcnt lgkmcnt(1)
	v_add_f64 v[85:86], v[85:86], v[91:92]
	s_waitcnt lgkmcnt(0)
	v_add_f64 v[85:86], v[85:86], v[87:88]
	v_lshlrev_b64 v[87:88], 3, v[38:39]
	v_add_co_u32 v87, s3, s7, v87
	v_add_co_ci_u32_e64 v88, null, s24, v88, s3
	global_store_dwordx2 v[87:88], v[85:86], off
	s_branch .LBB110_71
.LBB110_76:
	v_mad_u32_u24 v0, 0x218, v1, v74
	s_nor_b32 s0, s0, vcc_lo
	ds_write_b64 v0, v[36:37]
	s_waitcnt lgkmcnt(0)
	s_barrier
	buffer_gl0_inv
	s_and_saveexec_b32 s1, s0
	s_cbranch_execz .LBB110_78
; %bb.77:
	ds_read2_b64 v[0:3], v74 offset1:67
	s_waitcnt lgkmcnt(0)
	v_add_f64 v[4:5], v[0:1], v[2:3]
	ds_read2_b64 v[0:3], v74 offset0:134 offset1:201
	s_waitcnt lgkmcnt(0)
	v_add_f64 v[0:1], v[4:5], v[0:1]
	v_add_f64 v[0:1], v[0:1], v[2:3]
	v_lshlrev_b64 v[2:3], 3, v[34:35]
	v_add_co_u32 v2, vcc_lo, s7, v2
	v_add_co_ci_u32_e64 v3, null, s24, v3, vcc_lo
	global_store_dwordx2 v[2:3], v[0:1], off
.LBB110_78:
	s_endpgm
	.section	.rodata,"a",@progbits
	.p2align	6, 0x0
	.amdhsa_kernel _ZL26rocblas_hemvn_kernel_lowerILb0ELi64ELi4ELi33ELi32ELi16EldPKdPdEviT6_lT7_lT5_lS4_lS5_lS3_lT8_i
		.amdhsa_group_segment_fixed_size 9600
		.amdhsa_private_segment_fixed_size 0
		.amdhsa_kernarg_size 376
		.amdhsa_user_sgpr_count 6
		.amdhsa_user_sgpr_private_segment_buffer 1
		.amdhsa_user_sgpr_dispatch_ptr 0
		.amdhsa_user_sgpr_queue_ptr 0
		.amdhsa_user_sgpr_kernarg_segment_ptr 1
		.amdhsa_user_sgpr_dispatch_id 0
		.amdhsa_user_sgpr_flat_scratch_init 0
		.amdhsa_user_sgpr_private_segment_size 0
		.amdhsa_wavefront_size32 1
		.amdhsa_uses_dynamic_stack 0
		.amdhsa_system_sgpr_private_segment_wavefront_offset 0
		.amdhsa_system_sgpr_workgroup_id_x 1
		.amdhsa_system_sgpr_workgroup_id_y 0
		.amdhsa_system_sgpr_workgroup_id_z 1
		.amdhsa_system_sgpr_workgroup_info 0
		.amdhsa_system_vgpr_workitem_id 1
		.amdhsa_next_free_vgpr 117
		.amdhsa_next_free_sgpr 46
		.amdhsa_reserve_vcc 1
		.amdhsa_reserve_flat_scratch 0
		.amdhsa_float_round_mode_32 0
		.amdhsa_float_round_mode_16_64 0
		.amdhsa_float_denorm_mode_32 3
		.amdhsa_float_denorm_mode_16_64 3
		.amdhsa_dx10_clamp 1
		.amdhsa_ieee_mode 1
		.amdhsa_fp16_overflow 0
		.amdhsa_workgroup_processor_mode 1
		.amdhsa_memory_ordered 1
		.amdhsa_forward_progress 1
		.amdhsa_shared_vgpr_count 0
		.amdhsa_exception_fp_ieee_invalid_op 0
		.amdhsa_exception_fp_denorm_src 0
		.amdhsa_exception_fp_ieee_div_zero 0
		.amdhsa_exception_fp_ieee_overflow 0
		.amdhsa_exception_fp_ieee_underflow 0
		.amdhsa_exception_fp_ieee_inexact 0
		.amdhsa_exception_int_div_zero 0
	.end_amdhsa_kernel
	.section	.text._ZL26rocblas_hemvn_kernel_lowerILb0ELi64ELi4ELi33ELi32ELi16EldPKdPdEviT6_lT7_lT5_lS4_lS5_lS3_lT8_i,"axG",@progbits,_ZL26rocblas_hemvn_kernel_lowerILb0ELi64ELi4ELi33ELi32ELi16EldPKdPdEviT6_lT7_lT5_lS4_lS5_lS3_lT8_i,comdat
.Lfunc_end110:
	.size	_ZL26rocblas_hemvn_kernel_lowerILb0ELi64ELi4ELi33ELi32ELi16EldPKdPdEviT6_lT7_lT5_lS4_lS5_lS3_lT8_i, .Lfunc_end110-_ZL26rocblas_hemvn_kernel_lowerILb0ELi64ELi4ELi33ELi32ELi16EldPKdPdEviT6_lT7_lT5_lS4_lS5_lS3_lT8_i
                                        ; -- End function
	.set _ZL26rocblas_hemvn_kernel_lowerILb0ELi64ELi4ELi33ELi32ELi16EldPKdPdEviT6_lT7_lT5_lS4_lS5_lS3_lT8_i.num_vgpr, 117
	.set _ZL26rocblas_hemvn_kernel_lowerILb0ELi64ELi4ELi33ELi32ELi16EldPKdPdEviT6_lT7_lT5_lS4_lS5_lS3_lT8_i.num_agpr, 0
	.set _ZL26rocblas_hemvn_kernel_lowerILb0ELi64ELi4ELi33ELi32ELi16EldPKdPdEviT6_lT7_lT5_lS4_lS5_lS3_lT8_i.numbered_sgpr, 46
	.set _ZL26rocblas_hemvn_kernel_lowerILb0ELi64ELi4ELi33ELi32ELi16EldPKdPdEviT6_lT7_lT5_lS4_lS5_lS3_lT8_i.num_named_barrier, 0
	.set _ZL26rocblas_hemvn_kernel_lowerILb0ELi64ELi4ELi33ELi32ELi16EldPKdPdEviT6_lT7_lT5_lS4_lS5_lS3_lT8_i.private_seg_size, 0
	.set _ZL26rocblas_hemvn_kernel_lowerILb0ELi64ELi4ELi33ELi32ELi16EldPKdPdEviT6_lT7_lT5_lS4_lS5_lS3_lT8_i.uses_vcc, 1
	.set _ZL26rocblas_hemvn_kernel_lowerILb0ELi64ELi4ELi33ELi32ELi16EldPKdPdEviT6_lT7_lT5_lS4_lS5_lS3_lT8_i.uses_flat_scratch, 0
	.set _ZL26rocblas_hemvn_kernel_lowerILb0ELi64ELi4ELi33ELi32ELi16EldPKdPdEviT6_lT7_lT5_lS4_lS5_lS3_lT8_i.has_dyn_sized_stack, 0
	.set _ZL26rocblas_hemvn_kernel_lowerILb0ELi64ELi4ELi33ELi32ELi16EldPKdPdEviT6_lT7_lT5_lS4_lS5_lS3_lT8_i.has_recursion, 0
	.set _ZL26rocblas_hemvn_kernel_lowerILb0ELi64ELi4ELi33ELi32ELi16EldPKdPdEviT6_lT7_lT5_lS4_lS5_lS3_lT8_i.has_indirect_call, 0
	.section	.AMDGPU.csdata,"",@progbits
; Kernel info:
; codeLenInByte = 6752
; TotalNumSgprs: 48
; NumVgprs: 117
; ScratchSize: 0
; MemoryBound: 0
; FloatMode: 240
; IeeeMode: 1
; LDSByteSize: 9600 bytes/workgroup (compile time only)
; SGPRBlocks: 0
; VGPRBlocks: 14
; NumSGPRsForWavesPerEU: 48
; NumVGPRsForWavesPerEU: 117
; Occupancy: 8
; WaveLimiterHint : 1
; COMPUTE_PGM_RSRC2:SCRATCH_EN: 0
; COMPUTE_PGM_RSRC2:USER_SGPR: 6
; COMPUTE_PGM_RSRC2:TRAP_HANDLER: 0
; COMPUTE_PGM_RSRC2:TGID_X_EN: 1
; COMPUTE_PGM_RSRC2:TGID_Y_EN: 0
; COMPUTE_PGM_RSRC2:TGID_Z_EN: 1
; COMPUTE_PGM_RSRC2:TIDIG_COMP_CNT: 1
	.section	.text._ZL36rocblas_hemvn_kernel_lower_block_sumILi64EldPddEviT1_lS1_lT2_lT0_lPT3_i,"axG",@progbits,_ZL36rocblas_hemvn_kernel_lower_block_sumILi64EldPddEviT1_lS1_lT2_lT0_lPT3_i,comdat
	.globl	_ZL36rocblas_hemvn_kernel_lower_block_sumILi64EldPddEviT1_lS1_lT2_lT0_lPT3_i ; -- Begin function _ZL36rocblas_hemvn_kernel_lower_block_sumILi64EldPddEviT1_lS1_lT2_lT0_lPT3_i
	.p2align	8
	.type	_ZL36rocblas_hemvn_kernel_lower_block_sumILi64EldPddEviT1_lS1_lT2_lT0_lPT3_i,@function
_ZL36rocblas_hemvn_kernel_lower_block_sumILi64EldPddEviT1_lS1_lT2_lT0_lPT3_i: ; @_ZL36rocblas_hemvn_kernel_lower_block_sumILi64EldPddEviT1_lS1_lT2_lT0_lPT3_i
; %bb.0:
	s_clause 0x1
	s_load_dwordx2 s[8:9], s[4:5], 0x8
	s_load_dwordx2 s[10:11], s[4:5], 0x18
	s_waitcnt lgkmcnt(0)
	v_cmp_eq_f64_e64 s0, s[8:9], 0
	v_cmp_eq_f64_e64 s1, s[10:11], 1.0
	s_and_b32 s0, s0, s1
	s_and_b32 vcc_lo, exec_lo, s0
	s_cbranch_vccnz .LBB111_19
; %bb.1:
	s_clause 0x3
	s_load_dwordx2 s[14:15], s[4:5], 0x40
	s_load_dwordx2 s[16:17], s[4:5], 0x28
	s_load_dwordx4 s[0:3], s[4:5], 0x30
	s_load_dword s12, s[4:5], 0x0
	v_cmp_neq_f64_e64 s13, s[8:9], 0
	v_lshl_or_b32 v0, s6, 6, v0
	s_waitcnt lgkmcnt(0)
	s_mul_i32 s15, s15, s7
	s_mul_hi_u32 s18, s14, s7
	s_mul_i32 s14, s14, s7
	s_add_i32 s15, s18, s15
	s_lshl_b64 s[14:15], s[14:15], 3
	s_add_u32 s14, s16, s14
	s_addc_u32 s15, s17, s15
	s_lshl_b64 s[0:1], s[0:1], 3
	s_mov_b32 s16, 0
	s_add_u32 s14, s14, s0
	v_cmp_gt_i32_e64 s0, s12, v0
	s_addc_u32 s15, s15, s1
	s_and_b32 vcc_lo, exec_lo, s13
	s_cbranch_vccnz .LBB111_6
; %bb.2:
	s_mov_b32 s1, 0
                                        ; implicit-def: $vgpr3_vgpr4
                                        ; implicit-def: $vgpr1_vgpr2
	s_and_saveexec_b32 s13, s0
	s_cbranch_execz .LBB111_7
; %bb.3:
	v_cmp_eq_f64_e64 s0, s[10:11], 0
	v_ashrrev_i32_e32 v1, 31, v0
	v_mul_lo_u32 v5, s3, v0
	v_mov_b32_e32 v3, 0
	v_mov_b32_e32 v4, 0
	v_mul_lo_u32 v6, s2, v1
	v_mad_u64_u32 v[1:2], null, s2, v0, 0
	v_add3_u32 v2, v2, v6, v5
	s_and_b32 vcc_lo, exec_lo, s0
	s_cbranch_vccnz .LBB111_5
; %bb.4:
	v_lshlrev_b64 v[3:4], 3, v[1:2]
	v_add_co_u32 v3, vcc_lo, s14, v3
	v_add_co_ci_u32_e64 v4, null, s15, v4, vcc_lo
	global_load_dwordx2 v[3:4], v[3:4], off
	s_waitcnt vmcnt(0)
	v_mul_f64 v[3:4], s[10:11], v[3:4]
.LBB111_5:
	s_mov_b32 s16, exec_lo
	s_or_b32 exec_lo, exec_lo, s13
	s_and_b32 vcc_lo, exec_lo, s1
	s_cbranch_vccnz .LBB111_8
	s_branch .LBB111_17
.LBB111_6:
                                        ; implicit-def: $vgpr3_vgpr4
                                        ; implicit-def: $vgpr1_vgpr2
	s_cbranch_execnz .LBB111_8
	s_branch .LBB111_17
.LBB111_7:
	s_or_b32 exec_lo, exec_lo, s13
	s_and_b32 vcc_lo, exec_lo, s1
	s_cbranch_vccz .LBB111_17
.LBB111_8:
	s_mov_b32 s17, exec_lo
                                        ; implicit-def: $vgpr3_vgpr4
                                        ; implicit-def: $vgpr1_vgpr2
	v_cmpx_gt_i32_e64 s12, v0
	s_cbranch_execz .LBB111_16
; %bb.9:
	s_load_dword s18, s[4:5], 0x58
	v_mov_b32_e32 v5, 0
	v_mov_b32_e32 v6, 0
	s_waitcnt lgkmcnt(0)
	s_cmp_ge_i32 s6, s18
	s_cbranch_scc1 .LBB111_12
; %bb.10:
	s_load_dwordx2 s[0:1], s[4:5], 0x48
	v_mad_u64_u32 v[1:2], null, s12, s6, v[0:1]
	s_ashr_i32 s13, s12, 31
	s_mul_hi_u32 s4, s12, s7
	s_mul_i32 s5, s13, s7
	s_mul_i32 s7, s12, s7
	s_add_i32 s4, s4, s5
	s_mul_hi_u32 s5, s7, s18
	v_ashrrev_i32_e32 v2, 31, v1
	s_mul_i32 s19, s4, s18
	s_mul_i32 s4, s7, s18
	s_add_i32 s5, s5, s19
	v_mov_b32_e32 v5, 0
	v_lshlrev_b64 v[1:2], 3, v[1:2]
	s_lshl_b64 s[4:5], s[4:5], 3
	v_mov_b32_e32 v6, 0
	s_waitcnt lgkmcnt(0)
	s_add_u32 s0, s0, s4
	s_addc_u32 s1, s1, s5
	v_add_co_u32 v1, vcc_lo, s0, v1
	v_add_co_ci_u32_e64 v2, null, s1, v2, vcc_lo
	s_lshl_b64 s[0:1], s[12:13], 3
.LBB111_11:                             ; =>This Inner Loop Header: Depth=1
	global_load_dwordx2 v[3:4], v[1:2], off
	v_add_co_u32 v1, vcc_lo, v1, s0
	v_add_co_ci_u32_e64 v2, null, s1, v2, vcc_lo
	s_add_i32 s6, s6, 1
	s_cmp_ge_i32 s6, s18
	s_waitcnt vmcnt(0)
	v_add_f64 v[5:6], v[5:6], v[3:4]
	s_cbranch_scc0 .LBB111_11
.LBB111_12:
	v_cmp_eq_f64_e64 s0, s[10:11], 0
	v_ashrrev_i32_e32 v1, 31, v0
	v_mul_lo_u32 v7, s3, v0
	v_mul_lo_u32 v8, s2, v1
	s_and_b32 vcc_lo, exec_lo, s0
	s_cbranch_vccz .LBB111_20
; %bb.13:
	v_mad_u64_u32 v[1:2], null, s2, v0, 0
	v_mul_f64 v[3:4], s[8:9], v[5:6]
	v_add3_u32 v2, v2, v8, v7
	s_cbranch_execnz .LBB111_15
.LBB111_14:
	v_mad_u64_u32 v[1:2], null, s2, v0, 0
	v_add3_u32 v2, v2, v8, v7
	v_lshlrev_b64 v[3:4], 3, v[1:2]
	v_add_co_u32 v3, vcc_lo, s14, v3
	v_add_co_ci_u32_e64 v4, null, s15, v4, vcc_lo
	global_load_dwordx2 v[3:4], v[3:4], off
	s_waitcnt vmcnt(0)
	v_mul_f64 v[3:4], s[10:11], v[3:4]
	v_fma_f64 v[3:4], s[8:9], v[5:6], v[3:4]
.LBB111_15:
	s_or_b32 s16, s16, exec_lo
.LBB111_16:
	s_or_b32 exec_lo, exec_lo, s17
.LBB111_17:
	s_and_saveexec_b32 s0, s16
	s_cbranch_execz .LBB111_19
; %bb.18:
	v_lshlrev_b64 v[0:1], 3, v[1:2]
	v_add_co_u32 v0, vcc_lo, s14, v0
	v_add_co_ci_u32_e64 v1, null, s15, v1, vcc_lo
	global_store_dwordx2 v[0:1], v[3:4], off
.LBB111_19:
	s_endpgm
.LBB111_20:
                                        ; implicit-def: $vgpr3_vgpr4
                                        ; implicit-def: $vgpr1_vgpr2
	s_branch .LBB111_14
	.section	.rodata,"a",@progbits
	.p2align	6, 0x0
	.amdhsa_kernel _ZL36rocblas_hemvn_kernel_lower_block_sumILi64EldPddEviT1_lS1_lT2_lT0_lPT3_i
		.amdhsa_group_segment_fixed_size 0
		.amdhsa_private_segment_fixed_size 0
		.amdhsa_kernarg_size 344
		.amdhsa_user_sgpr_count 6
		.amdhsa_user_sgpr_private_segment_buffer 1
		.amdhsa_user_sgpr_dispatch_ptr 0
		.amdhsa_user_sgpr_queue_ptr 0
		.amdhsa_user_sgpr_kernarg_segment_ptr 1
		.amdhsa_user_sgpr_dispatch_id 0
		.amdhsa_user_sgpr_flat_scratch_init 0
		.amdhsa_user_sgpr_private_segment_size 0
		.amdhsa_wavefront_size32 1
		.amdhsa_uses_dynamic_stack 0
		.amdhsa_system_sgpr_private_segment_wavefront_offset 0
		.amdhsa_system_sgpr_workgroup_id_x 1
		.amdhsa_system_sgpr_workgroup_id_y 0
		.amdhsa_system_sgpr_workgroup_id_z 1
		.amdhsa_system_sgpr_workgroup_info 0
		.amdhsa_system_vgpr_workitem_id 0
		.amdhsa_next_free_vgpr 9
		.amdhsa_next_free_sgpr 20
		.amdhsa_reserve_vcc 1
		.amdhsa_reserve_flat_scratch 0
		.amdhsa_float_round_mode_32 0
		.amdhsa_float_round_mode_16_64 0
		.amdhsa_float_denorm_mode_32 3
		.amdhsa_float_denorm_mode_16_64 3
		.amdhsa_dx10_clamp 1
		.amdhsa_ieee_mode 1
		.amdhsa_fp16_overflow 0
		.amdhsa_workgroup_processor_mode 1
		.amdhsa_memory_ordered 1
		.amdhsa_forward_progress 1
		.amdhsa_shared_vgpr_count 0
		.amdhsa_exception_fp_ieee_invalid_op 0
		.amdhsa_exception_fp_denorm_src 0
		.amdhsa_exception_fp_ieee_div_zero 0
		.amdhsa_exception_fp_ieee_overflow 0
		.amdhsa_exception_fp_ieee_underflow 0
		.amdhsa_exception_fp_ieee_inexact 0
		.amdhsa_exception_int_div_zero 0
	.end_amdhsa_kernel
	.section	.text._ZL36rocblas_hemvn_kernel_lower_block_sumILi64EldPddEviT1_lS1_lT2_lT0_lPT3_i,"axG",@progbits,_ZL36rocblas_hemvn_kernel_lower_block_sumILi64EldPddEviT1_lS1_lT2_lT0_lPT3_i,comdat
.Lfunc_end111:
	.size	_ZL36rocblas_hemvn_kernel_lower_block_sumILi64EldPddEviT1_lS1_lT2_lT0_lPT3_i, .Lfunc_end111-_ZL36rocblas_hemvn_kernel_lower_block_sumILi64EldPddEviT1_lS1_lT2_lT0_lPT3_i
                                        ; -- End function
	.set _ZL36rocblas_hemvn_kernel_lower_block_sumILi64EldPddEviT1_lS1_lT2_lT0_lPT3_i.num_vgpr, 9
	.set _ZL36rocblas_hemvn_kernel_lower_block_sumILi64EldPddEviT1_lS1_lT2_lT0_lPT3_i.num_agpr, 0
	.set _ZL36rocblas_hemvn_kernel_lower_block_sumILi64EldPddEviT1_lS1_lT2_lT0_lPT3_i.numbered_sgpr, 20
	.set _ZL36rocblas_hemvn_kernel_lower_block_sumILi64EldPddEviT1_lS1_lT2_lT0_lPT3_i.num_named_barrier, 0
	.set _ZL36rocblas_hemvn_kernel_lower_block_sumILi64EldPddEviT1_lS1_lT2_lT0_lPT3_i.private_seg_size, 0
	.set _ZL36rocblas_hemvn_kernel_lower_block_sumILi64EldPddEviT1_lS1_lT2_lT0_lPT3_i.uses_vcc, 1
	.set _ZL36rocblas_hemvn_kernel_lower_block_sumILi64EldPddEviT1_lS1_lT2_lT0_lPT3_i.uses_flat_scratch, 0
	.set _ZL36rocblas_hemvn_kernel_lower_block_sumILi64EldPddEviT1_lS1_lT2_lT0_lPT3_i.has_dyn_sized_stack, 0
	.set _ZL36rocblas_hemvn_kernel_lower_block_sumILi64EldPddEviT1_lS1_lT2_lT0_lPT3_i.has_recursion, 0
	.set _ZL36rocblas_hemvn_kernel_lower_block_sumILi64EldPddEviT1_lS1_lT2_lT0_lPT3_i.has_indirect_call, 0
	.section	.AMDGPU.csdata,"",@progbits
; Kernel info:
; codeLenInByte = 712
; TotalNumSgprs: 22
; NumVgprs: 9
; ScratchSize: 0
; MemoryBound: 0
; FloatMode: 240
; IeeeMode: 1
; LDSByteSize: 0 bytes/workgroup (compile time only)
; SGPRBlocks: 0
; VGPRBlocks: 1
; NumSGPRsForWavesPerEU: 22
; NumVGPRsForWavesPerEU: 9
; Occupancy: 16
; WaveLimiterHint : 0
; COMPUTE_PGM_RSRC2:SCRATCH_EN: 0
; COMPUTE_PGM_RSRC2:USER_SGPR: 6
; COMPUTE_PGM_RSRC2:TRAP_HANDLER: 0
; COMPUTE_PGM_RSRC2:TGID_X_EN: 1
; COMPUTE_PGM_RSRC2:TGID_Y_EN: 0
; COMPUTE_PGM_RSRC2:TGID_Z_EN: 1
; COMPUTE_PGM_RSRC2:TIDIG_COMP_CNT: 0
	.section	.text._ZL26rocblas_hemvn_kernel_lowerILb0ELi64ELi4ELi33ELi32ELi16EidPKdPdEviT6_lT7_lT5_lS4_lS5_lS3_lT8_i,"axG",@progbits,_ZL26rocblas_hemvn_kernel_lowerILb0ELi64ELi4ELi33ELi32ELi16EidPKdPdEviT6_lT7_lT5_lS4_lS5_lS3_lT8_i,comdat
	.globl	_ZL26rocblas_hemvn_kernel_lowerILb0ELi64ELi4ELi33ELi32ELi16EidPKdPdEviT6_lT7_lT5_lS4_lS5_lS3_lT8_i ; -- Begin function _ZL26rocblas_hemvn_kernel_lowerILb0ELi64ELi4ELi33ELi32ELi16EidPKdPdEviT6_lT7_lT5_lS4_lS5_lS3_lT8_i
	.p2align	8
	.type	_ZL26rocblas_hemvn_kernel_lowerILb0ELi64ELi4ELi33ELi32ELi16EidPKdPdEviT6_lT7_lT5_lS4_lS5_lS3_lT8_i,@function
_ZL26rocblas_hemvn_kernel_lowerILb0ELi64ELi4ELi33ELi32ELi16EidPKdPdEviT6_lT7_lT5_lS4_lS5_lS3_lT8_i: ; @_ZL26rocblas_hemvn_kernel_lowerILb0ELi64ELi4ELi33ELi32ELi16EidPKdPdEviT6_lT7_lT5_lS4_lS5_lS3_lT8_i
; %bb.0:
	s_load_dwordx2 s[0:1], s[4:5], 0x84
	s_add_u32 s12, s4, 0x78
	s_addc_u32 s13, s5, 0
	s_waitcnt lgkmcnt(0)
	s_lshr_b32 s2, s0, 16
	s_and_b32 s0, s0, 0xffff
	s_and_b32 s1, s1, 0xffff
	s_mul_i32 s0, s2, s0
	s_mul_i32 s0, s0, s1
	s_cmpk_lg_i32 s0, 0x100
	s_cbranch_scc1 .LBB112_78
; %bb.1:
	s_clause 0x1
	s_load_dwordx2 s[8:9], s[4:5], 0x8
	s_load_dwordx4 s[0:3], s[4:5], 0x50
	s_waitcnt lgkmcnt(0)
	v_cmp_eq_f64_e64 s8, s[8:9], 0
	v_cmp_eq_f64_e64 s2, s[2:3], 1.0
	s_and_b32 s2, s8, s2
	s_and_b32 vcc_lo, exec_lo, s2
	s_cbranch_vccnz .LBB112_78
; %bb.2:
	s_and_b32 vcc_lo, exec_lo, s8
	s_cbranch_vccnz .LBB112_78
; %bb.3:
	s_clause 0x2
	s_load_dwordx4 s[8:11], s[4:5], 0x30
	s_load_dwordx2 s[2:3], s[4:5], 0x40
	s_load_dword s24, s[4:5], 0x48
	s_mul_i32 s1, s1, s7
	s_mul_hi_u32 s14, s0, s7
	s_mul_i32 s0, s0, s7
	s_add_i32 s1, s14, s1
	s_load_dword s25, s[4:5], 0x0
	s_lshl_b64 s[0:1], s[0:1], 3
	s_load_dword s26, s[12:13], 0x0
	v_mov_b32_e32 v2, v1
	s_waitcnt lgkmcnt(0)
	s_add_u32 s10, s10, s0
	s_addc_u32 s11, s11, s1
	s_lshl_b64 s[0:1], s[2:3], 3
	s_add_u32 s2, s10, s0
	s_addc_u32 s1, s11, s1
	s_lshl_b32 s14, s6, 6
	s_ashr_i32 s27, s25, 31
	v_add_nc_u32_e32 v35, s14, v0
	s_lshr_b32 s0, s27, 26
	s_add_i32 s10, s26, -1
	s_add_i32 s3, s25, s0
	v_cmp_ne_u32_e64 s0, 0, v2
	v_mul_lo_u32 v3, s24, v35
	s_andn2_b32 s3, s3, 63
	s_sub_i32 s3, s25, s3
	s_cmp_eq_u32 s6, s10
	s_cselect_b32 s16, s3, 0
	v_ashrrev_i32_e32 v4, 31, v3
	v_lshlrev_b64 v[3:4], 3, v[3:4]
	v_add_co_u32 v19, vcc_lo, s2, v3
	v_add_co_ci_u32_e64 v20, null, s1, v4, vcc_lo
	v_cmp_eq_u32_e64 s1, 0, v2
	s_and_saveexec_b32 s2, s1
	s_cbranch_execz .LBB112_7
; %bb.4:
	v_cmp_gt_i32_e32 vcc_lo, s16, v0
	s_cmp_eq_u32 s16, 0
	v_mov_b32_e32 v3, 0
	v_mov_b32_e32 v4, 0
	s_cselect_b32 s3, -1, 0
	s_or_b32 s10, s3, vcc_lo
	s_and_saveexec_b32 s3, s10
	s_cbranch_execz .LBB112_6
; %bb.5:
	global_load_dwordx2 v[3:4], v[19:20], off
.LBB112_6:
	s_or_b32 exec_lo, exec_lo, s3
	v_lshlrev_b32_e32 v1, 3, v0
	s_waitcnt vmcnt(0)
	ds_write_b64 v1, v[3:4] offset:9088
.LBB112_7:
	s_or_b32 exec_lo, exec_lo, s2
	s_clause 0x1
	s_load_dwordx4 s[20:23], s[4:5], 0x18
	s_load_dword s12, s[4:5], 0x28
	v_lshl_add_u32 v25, v2, 6, v0
	v_and_b32_e32 v1, 31, v0
	s_mul_i32 s3, s9, s7
	s_mul_hi_u32 s9, s8, s7
	s_mul_i32 s2, s8, s7
	v_lshrrev_b32_e32 v13, 5, v25
	s_add_i32 s3, s9, s3
	s_lshl_b64 s[2:3], s[2:3], 3
	s_waitcnt lgkmcnt(0)
	s_add_u32 s8, s20, s2
	v_mad_u64_u32 v[3:4], null, s12, v13, v[1:2]
	s_addc_u32 s9, s21, s3
	s_lshl_b64 s[2:3], s[22:23], 3
	s_add_u32 s10, s8, s2
	s_addc_u32 s9, s9, s3
	s_ashr_i32 s15, s14, 31
	v_ashrrev_i32_e32 v4, 31, v3
	s_lshl_b64 s[2:3], s[14:15], 3
	s_mul_i32 s8, s12, s14
	s_add_u32 s2, s10, s2
	s_addc_u32 s3, s9, s3
	v_lshlrev_b64 v[21:22], 3, v[3:4]
	s_ashr_i32 s9, s8, 31
	s_lshl_b64 s[18:19], s[8:9], 3
	s_cmp_lg_u32 s16, 0
	s_cselect_b32 s15, -1, 0
	v_add_co_u32 v3, vcc_lo, s2, v21
	v_add_co_ci_u32_e64 v4, null, s3, v22, vcc_lo
	s_cmp_eq_u32 s16, 0
	v_add_co_u32 v3, vcc_lo, v3, s18
	v_add_co_ci_u32_e64 v4, null, s19, v4, vcc_lo
	s_cselect_b32 s11, -1, 0
	s_and_b32 vcc_lo, exec_lo, s15
	s_mov_b32 s2, -1
	s_cbranch_vccnz .LBB112_9
; %bb.8:
	s_lshl_b32 s2, s12, 3
	s_ashr_i32 s13, s12, 31
	s_ashr_i32 s3, s2, 31
	v_mul_u32_u24_e32 v14, 0x108, v13
	s_lshl_b64 s[2:3], s[2:3], 3
	v_add_co_u32 v5, vcc_lo, v3, s2
	v_add_co_ci_u32_e64 v6, null, s3, v4, vcc_lo
	s_lshl_b64 s[2:3], s[12:13], 6
	v_lshl_add_u32 v14, v1, 3, v14
	v_add_co_u32 v7, vcc_lo, v5, s2
	v_add_co_ci_u32_e64 v8, null, s3, v6, vcc_lo
	v_add_co_u32 v9, vcc_lo, v7, s2
	v_add_co_ci_u32_e64 v10, null, s3, v8, vcc_lo
	s_clause 0x3
	global_load_dwordx2 v[11:12], v[3:4], off
	global_load_dwordx2 v[5:6], v[5:6], off
	;; [unrolled: 1-line block ×4, first 2 shown]
	s_mov_b32 s2, 0
	s_waitcnt vmcnt(3)
	ds_write_b64 v14, v[11:12]
	s_waitcnt vmcnt(2)
	ds_write_b64 v14, v[5:6] offset:2112
	s_waitcnt vmcnt(1)
	ds_write_b64 v14, v[7:8] offset:4224
	;; [unrolled: 2-line block ×3, first 2 shown]
.LBB112_9:
	v_lshlrev_b32_e32 v14, 3, v1
	s_andn2_b32 vcc_lo, exec_lo, s2
	s_cbranch_vccnz .LBB112_19
; %bb.10:
	v_sub_co_u32 v5, vcc_lo, v3, v14
	s_ashr_i32 s17, s16, 31
	v_subrev_co_ci_u32_e64 v6, null, 0, v4, vcc_lo
	s_lshl_b64 s[8:9], s[16:17], 3
	v_mov_b32_e32 v9, 0
	v_add_co_u32 v5, vcc_lo, v5, s8
	v_add_co_ci_u32_e64 v6, null, s9, v6, vcc_lo
	v_mov_b32_e32 v7, 0
	v_add_co_u32 v5, vcc_lo, v5, -8
	v_add_co_ci_u32_e64 v6, null, -1, v6, vcc_lo
	v_cmp_gt_i32_e32 vcc_lo, s16, v1
	v_mov_b32_e32 v10, 0
	v_mov_b32_e32 v8, 0
	s_mov_b32 s3, exec_lo
	v_cndmask_b32_e32 v6, v6, v4, vcc_lo
	v_cndmask_b32_e32 v5, v5, v3, vcc_lo
	v_cmpx_gt_i32_e64 s16, v13
	s_cbranch_execz .LBB112_12
; %bb.11:
	global_load_dwordx2 v[7:8], v[5:6], off
.LBB112_12:
	s_or_b32 exec_lo, exec_lo, s3
	v_add_nc_u32_e32 v12, 8, v13
	v_mul_u32_u24_e32 v11, 0x108, v13
	v_mad_u32_u24 v15, 0x108, v13, v14
	s_mov_b32 s3, exec_lo
	s_waitcnt vmcnt(0)
	ds_write_b64 v15, v[7:8]
	v_cmpx_gt_i32_e64 s16, v12
	s_cbranch_execz .LBB112_14
; %bb.13:
	s_lshl_b32 s20, s12, 3
	s_ashr_i32 s21, s20, 31
	s_lshl_b64 s[20:21], s[20:21], 3
	v_add_co_u32 v7, s2, v5, s20
	v_add_co_ci_u32_e64 v8, null, s21, v6, s2
	global_load_dwordx2 v[9:10], v[7:8], off
.LBB112_14:
	s_or_b32 exec_lo, exec_lo, s3
	v_add_nc_u32_e32 v15, v11, v14
	v_mov_b32_e32 v7, 0
	v_mov_b32_e32 v11, 0
	v_add_nc_u32_e32 v16, 16, v13
	v_mov_b32_e32 v8, 0
	v_mov_b32_e32 v12, 0
	s_mov_b32 s3, exec_lo
	s_waitcnt vmcnt(0)
	ds_write_b64 v15, v[9:10] offset:2112
	v_cmpx_gt_i32_e64 s16, v16
	s_cbranch_execz .LBB112_16
; %bb.15:
	s_lshl_b32 s20, s12, 4
	s_ashr_i32 s21, s20, 31
	s_lshl_b64 s[20:21], s[20:21], 3
	v_add_co_u32 v9, s2, v5, s20
	v_add_co_ci_u32_e64 v10, null, s21, v6, s2
	global_load_dwordx2 v[11:12], v[9:10], off
.LBB112_16:
	s_or_b32 exec_lo, exec_lo, s3
	v_add_nc_u32_e32 v9, 24, v13
	s_mov_b32 s3, exec_lo
	s_waitcnt vmcnt(0)
	ds_write_b64 v15, v[11:12] offset:4224
	v_cmpx_gt_i32_e64 s16, v9
	s_cbranch_execz .LBB112_18
; %bb.17:
	s_mul_i32 s20, s12, 24
	s_ashr_i32 s21, s20, 31
	s_lshl_b64 s[20:21], s[20:21], 3
	v_add_co_u32 v7, s2, v5, s20
	v_add_co_ci_u32_e64 v8, null, s21, v6, s2
	global_load_dwordx2 v[7:8], v[7:8], off
.LBB112_18:
	s_or_b32 exec_lo, exec_lo, s3
	v_add_co_u32 v5, s2, v5, v14
	v_add_co_ci_u32_e64 v6, null, 0, v6, s2
	s_waitcnt vmcnt(0)
	ds_write_b64 v15, v[7:8] offset:6336
	v_sub_co_u32 v5, s2, v5, s8
	v_subrev_co_ci_u32_e64 v6, null, s9, v6, s2
	v_add_co_u32 v5, s2, v5, 8
	v_add_co_ci_u32_e64 v6, null, 0, v6, s2
	v_cndmask_b32_e32 v3, v5, v3, vcc_lo
	v_cndmask_b32_e32 v4, v6, v4, vcc_lo
.LBB112_19:
	v_lshlrev_b32_e32 v11, 2, v13
	v_lshl_or_b32 v7, v1, 8, v14
	v_mad_u32_u24 v6, 0x420, v13, v14
	s_waitcnt lgkmcnt(0)
	s_barrier
	v_cmp_lt_u32_e64 s3, v11, v1
	buffer_gl0_inv
	s_and_saveexec_b32 s2, s3
	s_cbranch_execz .LBB112_21
; %bb.20:
	ds_read_b64 v[8:9], v6
	v_lshl_add_u32 v5, v11, 3, v7
	s_waitcnt lgkmcnt(0)
	ds_write_b64 v5, v[8:9]
.LBB112_21:
	s_or_b32 exec_lo, exec_lo, s2
	v_or_b32_e32 v12, 1, v11
	v_cmp_lt_u32_e64 s8, v12, v1
	v_mad_u32_u24 v5, 0x108, v12, v14
	s_and_saveexec_b32 s2, s8
	s_cbranch_execz .LBB112_23
; %bb.22:
	ds_read_b64 v[8:9], v5
	v_lshl_add_u32 v10, v11, 3, v7
	s_waitcnt lgkmcnt(0)
	ds_write_b64 v10, v[8:9] offset:8
.LBB112_23:
	s_or_b32 exec_lo, exec_lo, s2
	v_or_b32_e32 v8, 2, v11
	v_cmp_lt_u32_e64 s9, v8, v1
	s_and_saveexec_b32 s2, s9
	s_cbranch_execz .LBB112_25
; %bb.24:
	v_mad_u32_u24 v8, 0x108, v8, v14
	v_lshl_add_u32 v10, v11, 3, v7
	ds_read_b64 v[8:9], v8
	s_waitcnt lgkmcnt(0)
	ds_write_b64 v10, v[8:9] offset:16
.LBB112_25:
	s_or_b32 exec_lo, exec_lo, s2
	v_or_b32_e32 v9, 3, v11
	s_mov_b32 s2, exec_lo
                                        ; implicit-def: $vgpr8
	v_cmp_lt_u32_e64 s10, v9, v1
	v_cmpx_ge_u32_e64 v9, v1
	s_xor_b32 s2, exec_lo, s2
; %bb.26:
	v_mul_u32_u24_e32 v8, 0x108, v9
                                        ; implicit-def: $vgpr7
                                        ; implicit-def: $vgpr9
; %bb.27:
	s_andn2_saveexec_b32 s2, s2
	s_cbranch_execz .LBB112_29
; %bb.28:
	v_mad_u32_u24 v8, 0x108, v9, v14
	v_lshl_add_u32 v7, v11, 3, v7
	ds_read_b64 v[15:16], v8
	v_mul_u32_u24_e32 v8, 0x108, v9
	s_waitcnt lgkmcnt(0)
	ds_write_b64 v7, v[15:16] offset:24
.LBB112_29:
	s_or_b32 exec_lo, exec_lo, s2
	v_lshlrev_b32_e32 v15, 3, v11
	s_waitcnt lgkmcnt(0)
	s_barrier
	buffer_gl0_inv
	ds_read_b64 v[17:18], v6
	ds_read_b128 v[26:29], v15 offset:9088
	v_add_nc_u32_e32 v16, v14, v8
	ds_read_b128 v[6:9], v15 offset:9104
	ds_read_b64 v[23:24], v16
	ds_read2_b64 v[30:33], v5 offset1:33
	v_mov_b32_e32 v36, 0
	v_mov_b32_e32 v37, 0
	v_cmp_gt_u32_e64 s2, 32, v25
	s_waitcnt lgkmcnt(0)
	s_barrier
	buffer_gl0_inv
	v_fma_f64 v[17:18], v[17:18], v[26:27], 0
	v_fma_f64 v[17:18], v[30:31], v[28:29], v[17:18]
	;; [unrolled: 1-line block ×3, first 2 shown]
	v_mul_u32_u24_e32 v7, 33, v1
	v_lshlrev_b32_e32 v26, 3, v7
	v_lshl_add_u32 v27, v13, 3, v26
	v_fma_f64 v[5:6], v[23:24], v[8:9], v[5:6]
	ds_write_b64 v27, v[5:6]
	s_waitcnt lgkmcnt(0)
	s_barrier
	buffer_gl0_inv
	s_and_saveexec_b32 s13, s2
	s_cbranch_execz .LBB112_31
; %bb.30:
	ds_read2_b64 v[5:8], v26 offset1:1
	ds_read2_b64 v[28:31], v26 offset0:2 offset1:3
	s_waitcnt lgkmcnt(1)
	v_add_f64 v[5:6], v[5:6], v[7:8]
	s_waitcnt lgkmcnt(0)
	v_add_f64 v[5:6], v[5:6], v[28:29]
	v_add_f64 v[9:10], v[5:6], v[30:31]
	ds_read2_b64 v[5:8], v26 offset0:4 offset1:5
	ds_read2_b64 v[28:31], v26 offset0:6 offset1:7
	s_waitcnt lgkmcnt(1)
	v_add_f64 v[5:6], v[9:10], v[5:6]
	v_add_f64 v[5:6], v[5:6], v[7:8]
	s_waitcnt lgkmcnt(0)
	v_add_f64 v[5:6], v[5:6], v[28:29]
	v_add_f64 v[36:37], v[5:6], v[30:31]
.LBB112_31:
	s_or_b32 exec_lo, exec_lo, s13
	s_lshl_b32 s20, s12, 5
	v_cndmask_b32_e64 v17, 0, 1, s11
	s_ashr_i32 s21, s20, 31
	s_lshl_b64 s[20:21], s[20:21], 3
	s_barrier
	v_add_co_u32 v3, vcc_lo, v3, s20
	v_add_co_ci_u32_e64 v4, null, s21, v4, vcc_lo
	buffer_gl0_inv
	v_add_co_u32 v18, vcc_lo, 0x100, v3
	v_add_co_ci_u32_e64 v24, null, 0, v4, vcc_lo
	s_andn2_b32 vcc_lo, exec_lo, s11
	s_mov_b32 s11, -1
	s_cbranch_vccnz .LBB112_33
; %bb.32:
	s_lshl_b32 s22, s12, 3
	s_ashr_i32 s13, s12, 31
	s_ashr_i32 s23, s22, 31
	v_mad_u32_u24 v23, 0x108, v13, v14
	s_lshl_b64 s[22:23], s[22:23], 3
	s_mov_b32 s11, 0
	v_add_co_u32 v5, vcc_lo, v3, s22
	v_add_co_ci_u32_e64 v6, null, s23, v4, vcc_lo
	s_lshl_b64 s[22:23], s[12:13], 6
	v_add_co_u32 v7, vcc_lo, v5, s22
	v_add_co_ci_u32_e64 v8, null, s23, v6, vcc_lo
	v_add_co_u32 v9, vcc_lo, v7, s22
	v_add_co_ci_u32_e64 v10, null, s23, v8, vcc_lo
	s_clause 0x3
	global_load_dwordx2 v[28:29], v[3:4], off offset:256
	global_load_dwordx2 v[5:6], v[5:6], off offset:256
	;; [unrolled: 1-line block ×4, first 2 shown]
	s_waitcnt vmcnt(3)
	ds_write_b64 v23, v[28:29]
	s_waitcnt vmcnt(2)
	ds_write_b64 v23, v[5:6] offset:2112
	s_waitcnt vmcnt(1)
	ds_write_b64 v23, v[7:8] offset:4224
	;; [unrolled: 2-line block ×3, first 2 shown]
.LBB112_33:
	s_andn2_b32 vcc_lo, exec_lo, s11
	s_cbranch_vccnz .LBB112_43
; %bb.34:
	v_sub_co_u32 v3, vcc_lo, v3, v14
	s_ashr_i32 s17, s16, 31
	v_subrev_co_ci_u32_e64 v4, null, 0, v4, vcc_lo
	s_lshl_b64 s[22:23], s[16:17], 3
	v_or_b32_e32 v5, 32, v1
	v_add_co_u32 v3, vcc_lo, v3, s22
	v_add_co_ci_u32_e64 v4, null, s23, v4, vcc_lo
	v_mov_b32_e32 v7, 0
	v_add_co_u32 v3, vcc_lo, v3, -8
	v_add_co_ci_u32_e64 v4, null, -1, v4, vcc_lo
	v_cmp_gt_i32_e32 vcc_lo, s16, v5
	v_mov_b32_e32 v5, 0
	v_mov_b32_e32 v8, 0
	;; [unrolled: 1-line block ×3, first 2 shown]
	s_sub_i32 s13, s16, 32
	v_cndmask_b32_e32 v4, v4, v24, vcc_lo
	v_cndmask_b32_e32 v3, v3, v18, vcc_lo
	s_mov_b32 s17, exec_lo
	v_cmpx_gt_i32_e64 s13, v13
	s_cbranch_execz .LBB112_36
; %bb.35:
	global_load_dwordx2 v[5:6], v[3:4], off
.LBB112_36:
	s_or_b32 exec_lo, exec_lo, s17
	v_add_nc_u32_e32 v10, 8, v13
	v_mul_u32_u24_e32 v9, 0x108, v13
	v_mad_u32_u24 v23, 0x108, v13, v14
	s_mov_b32 s17, exec_lo
	s_waitcnt vmcnt(0)
	ds_write_b64 v23, v[5:6]
	v_cmpx_gt_i32_e64 s13, v10
	s_cbranch_execz .LBB112_38
; %bb.37:
	s_lshl_b32 s28, s12, 3
	s_ashr_i32 s29, s28, 31
	s_lshl_b64 s[28:29], s[28:29], 3
	v_add_co_u32 v5, s11, v3, s28
	v_add_co_ci_u32_e64 v6, null, s29, v4, s11
	global_load_dwordx2 v[7:8], v[5:6], off
.LBB112_38:
	s_or_b32 exec_lo, exec_lo, s17
	v_add_nc_u32_e32 v23, v9, v14
	v_mov_b32_e32 v5, 0
	v_mov_b32_e32 v9, 0
	v_add_nc_u32_e32 v28, 16, v13
	v_mov_b32_e32 v6, 0
	v_mov_b32_e32 v10, 0
	s_mov_b32 s17, exec_lo
	s_waitcnt vmcnt(0)
	ds_write_b64 v23, v[7:8] offset:2112
	v_cmpx_gt_i32_e64 s13, v28
	s_cbranch_execz .LBB112_40
; %bb.39:
	s_lshl_b32 s28, s12, 4
	s_ashr_i32 s29, s28, 31
	s_lshl_b64 s[28:29], s[28:29], 3
	v_add_co_u32 v7, s11, v3, s28
	v_add_co_ci_u32_e64 v8, null, s29, v4, s11
	global_load_dwordx2 v[9:10], v[7:8], off
.LBB112_40:
	s_or_b32 exec_lo, exec_lo, s17
	v_add_nc_u32_e32 v7, 24, v13
	s_waitcnt vmcnt(0)
	ds_write_b64 v23, v[9:10] offset:4224
	v_cmp_gt_i32_e64 s11, s13, v7
	s_and_saveexec_b32 s13, s11
	s_cbranch_execz .LBB112_42
; %bb.41:
	s_mul_i32 s28, s12, 24
	s_ashr_i32 s29, s28, 31
	s_lshl_b64 s[28:29], s[28:29], 3
	v_add_co_u32 v5, s11, v3, s28
	v_add_co_ci_u32_e64 v6, null, s29, v4, s11
	global_load_dwordx2 v[5:6], v[5:6], off
.LBB112_42:
	s_or_b32 exec_lo, exec_lo, s13
	v_add_co_u32 v3, s11, v3, v14
	v_add_co_ci_u32_e64 v4, null, 0, v4, s11
	s_waitcnt vmcnt(0)
	ds_write_b64 v23, v[5:6] offset:6336
	v_sub_co_u32 v3, s11, v3, s22
	v_subrev_co_ci_u32_e64 v4, null, s23, v4, s11
	v_add_co_u32 v3, s11, 0x108, v3
	v_add_co_ci_u32_e64 v4, null, 0, v4, s11
	v_cndmask_b32_e32 v18, v3, v18, vcc_lo
	v_cndmask_b32_e32 v24, v4, v24, vcc_lo
.LBB112_43:
	v_mul_u32_u24_e32 v4, 0x420, v13
	v_add_nc_u32_e32 v15, 0x2380, v15
	v_mul_u32_u24_e32 v3, 0x108, v12
	s_waitcnt lgkmcnt(0)
	s_barrier
	v_add_nc_u32_e32 v4, v14, v4
	buffer_gl0_inv
	s_and_saveexec_b32 s11, s3
	s_cbranch_execnz .LBB112_52
; %bb.44:
	s_or_b32 exec_lo, exec_lo, s11
	v_add_nc_u32_e32 v3, v14, v3
	s_and_saveexec_b32 s3, s8
	s_cbranch_execnz .LBB112_53
.LBB112_45:
	s_or_b32 exec_lo, exec_lo, s3
	s_and_saveexec_b32 s3, s9
	s_cbranch_execnz .LBB112_54
.LBB112_46:
	s_or_b32 exec_lo, exec_lo, s3
	s_and_saveexec_b32 s3, s10
	s_cbranch_execz .LBB112_48
.LBB112_47:
	ds_read_b64 v[5:6], v16
	v_lshl_add_u32 v7, v11, 3, v26
	s_waitcnt lgkmcnt(0)
	ds_write_b64 v7, v[5:6] offset:24
.LBB112_48:
	s_or_b32 exec_lo, exec_lo, s3
	s_waitcnt lgkmcnt(0)
	s_barrier
	buffer_gl0_inv
	ds_read_b64 v[8:9], v4
	ds_read_b128 v[4:7], v15 offset:256
	ds_read_b128 v[28:31], v15 offset:272
	ds_read_b64 v[32:33], v16
	ds_read2_b64 v[38:41], v3 offset1:33
	v_cmp_eq_u32_e64 s3, 1, v13
	s_waitcnt lgkmcnt(0)
	s_barrier
	buffer_gl0_inv
	v_fma_f64 v[4:5], v[8:9], v[4:5], 0
	v_fma_f64 v[3:4], v[38:39], v[6:7], v[4:5]
	;; [unrolled: 1-line block ×4, first 2 shown]
	ds_write_b64 v27, v[3:4]
	s_waitcnt lgkmcnt(0)
	s_barrier
	buffer_gl0_inv
	s_and_saveexec_b32 s8, s3
	s_cbranch_execz .LBB112_50
; %bb.49:
	ds_read2_b64 v[3:6], v26 offset1:1
	ds_read2_b64 v[7:10], v26 offset0:2 offset1:3
	s_waitcnt lgkmcnt(1)
	v_add_f64 v[3:4], v[3:4], v[5:6]
	s_waitcnt lgkmcnt(0)
	v_add_f64 v[3:4], v[3:4], v[7:8]
	v_add_f64 v[28:29], v[3:4], v[9:10]
	ds_read2_b64 v[3:6], v26 offset0:4 offset1:5
	ds_read2_b64 v[7:10], v26 offset0:6 offset1:7
	s_waitcnt lgkmcnt(1)
	v_add_f64 v[3:4], v[28:29], v[3:4]
	v_add_f64 v[3:4], v[3:4], v[5:6]
	s_waitcnt lgkmcnt(0)
	v_add_f64 v[3:4], v[3:4], v[7:8]
	v_add_f64 v[36:37], v[3:4], v[9:10]
.LBB112_50:
	s_or_b32 exec_lo, exec_lo, s8
	v_cmp_ne_u32_e32 vcc_lo, 1, v17
	v_sub_co_u32 v23, s8, v18, s20
	v_subrev_co_ci_u32_e64 v24, null, s21, v24, s8
	s_barrier
	buffer_gl0_inv
	s_cbranch_vccnz .LBB112_55
; %bb.51:
	s_lshl_b32 s8, s12, 3
	s_ashr_i32 s13, s12, 31
	s_ashr_i32 s9, s8, 31
	global_load_dwordx2 v[3:4], v[23:24], off
	s_lshl_b64 s[8:9], s[8:9], 3
	v_mul_u32_u24_e32 v12, 0x108, v13
	v_add_co_u32 v5, vcc_lo, v23, s8
	v_add_co_ci_u32_e64 v6, null, s9, v24, vcc_lo
	s_lshl_b64 s[8:9], s[12:13], 6
	v_add_nc_u32_e32 v16, 8, v13
	v_add_co_u32 v7, vcc_lo, v5, s8
	v_add_co_ci_u32_e64 v8, null, s9, v6, vcc_lo
	v_add_nc_u32_e32 v17, 16, v13
	v_add_co_u32 v9, vcc_lo, v7, s8
	v_add_co_ci_u32_e64 v10, null, s9, v8, vcc_lo
	s_clause 0x2
	global_load_dwordx2 v[5:6], v[5:6], off
	global_load_dwordx2 v[28:29], v[7:8], off
	;; [unrolled: 1-line block ×3, first 2 shown]
	v_mad_u32_u24 v8, 0x108, v13, v14
	s_movk_i32 s8, 0x840
	s_movk_i32 s9, 0x1080
	v_mad_u32_u24 v18, 0x108, v13, s8
	s_movk_i32 s8, 0x18c0
	v_mad_u32_u24 v7, 0x108, v13, s9
	v_add_nc_u32_e32 v30, v14, v7
	s_waitcnt vmcnt(3)
	ds_write_b64 v8, v[3:4]
	v_mad_u32_u24 v3, 0x108, v13, s8
	v_add_nc_u32_e32 v4, v14, v18
	v_add_nc_u32_e32 v8, 24, v13
	s_waitcnt vmcnt(2)
	ds_write_b64 v4, v[5:6]
	s_waitcnt vmcnt(1)
	ds_write_b64 v30, v[28:29]
	v_add_nc_u32_e32 v31, v14, v3
	s_waitcnt vmcnt(0)
	ds_write_b64 v31, v[9:10]
	s_cbranch_execz .LBB112_56
	s_branch .LBB112_65
.LBB112_52:
	ds_read_b64 v[5:6], v4
	v_lshl_add_u32 v7, v11, 3, v26
	s_waitcnt lgkmcnt(0)
	ds_write_b64 v7, v[5:6]
	s_or_b32 exec_lo, exec_lo, s11
	v_add_nc_u32_e32 v3, v14, v3
	s_and_saveexec_b32 s3, s8
	s_cbranch_execz .LBB112_45
.LBB112_53:
	ds_read_b64 v[5:6], v3
	v_lshl_add_u32 v7, v11, 3, v26
	s_waitcnt lgkmcnt(0)
	ds_write_b64 v7, v[5:6] offset:8
	s_or_b32 exec_lo, exec_lo, s3
	s_and_saveexec_b32 s3, s9
	s_cbranch_execz .LBB112_46
.LBB112_54:
	ds_read_b64 v[5:6], v3 offset:264
	v_lshl_add_u32 v7, v11, 3, v26
	s_waitcnt lgkmcnt(0)
	ds_write_b64 v7, v[5:6] offset:16
	s_or_b32 exec_lo, exec_lo, s3
	s_and_saveexec_b32 s3, s10
	s_cbranch_execnz .LBB112_47
	s_branch .LBB112_48
.LBB112_55:
                                        ; implicit-def: $vgpr12
                                        ; implicit-def: $vgpr16
                                        ; implicit-def: $vgpr18
                                        ; implicit-def: $vgpr17
                                        ; implicit-def: $vgpr7
                                        ; implicit-def: $vgpr8
                                        ; implicit-def: $vgpr3
.LBB112_56:
	v_sub_co_u32 v3, vcc_lo, v23, v14
	s_ashr_i32 s17, s16, 31
	v_subrev_co_ci_u32_e64 v4, null, 0, v24, vcc_lo
	s_lshl_b64 s[10:11], s[16:17], 3
	v_or_b32_e32 v1, 32, v1
	v_add_co_u32 v3, vcc_lo, v3, s10
	v_add_co_ci_u32_e64 v4, null, s11, v4, vcc_lo
	v_mov_b32_e32 v7, 0
	v_add_co_u32 v3, vcc_lo, 0xfffffef8, v3
	v_add_co_ci_u32_e64 v4, null, -1, v4, vcc_lo
	v_cmp_gt_i32_e32 vcc_lo, s16, v1
	v_mov_b32_e32 v5, 0
	v_mov_b32_e32 v8, 0
	;; [unrolled: 1-line block ×3, first 2 shown]
	s_mov_b32 s9, exec_lo
	v_cndmask_b32_e32 v4, v4, v24, vcc_lo
	v_cndmask_b32_e32 v3, v3, v23, vcc_lo
	v_cmpx_gt_i32_e64 s16, v13
	s_cbranch_execz .LBB112_58
; %bb.57:
	global_load_dwordx2 v[5:6], v[3:4], off
.LBB112_58:
	s_or_b32 exec_lo, exec_lo, s9
	v_add_nc_u32_e32 v16, 8, v13
	v_mul_u32_u24_e32 v12, 0x108, v13
	v_mad_u32_u24 v1, 0x108, v13, v14
	s_mov_b32 s9, exec_lo
	s_waitcnt vmcnt(0)
	ds_write_b64 v1, v[5:6]
	v_cmpx_gt_i32_e64 s16, v16
	s_cbranch_execz .LBB112_60
; %bb.59:
	s_lshl_b32 s20, s12, 3
	s_ashr_i32 s21, s20, 31
	s_lshl_b64 s[20:21], s[20:21], 3
	v_add_co_u32 v5, s8, v3, s20
	v_add_co_ci_u32_e64 v6, null, s21, v4, s8
	global_load_dwordx2 v[7:8], v[5:6], off
.LBB112_60:
	s_or_b32 exec_lo, exec_lo, s9
	v_add_nc_u32_e32 v18, 0x840, v12
	v_mov_b32_e32 v5, 0
	v_mov_b32_e32 v9, 0
	v_add_nc_u32_e32 v17, 16, v13
	v_mov_b32_e32 v6, 0
	v_add_nc_u32_e32 v1, v14, v18
	v_mov_b32_e32 v10, 0
	s_mov_b32 s9, exec_lo
	s_waitcnt vmcnt(0)
	ds_write_b64 v1, v[7:8]
	v_cmpx_gt_i32_e64 s16, v17
	s_cbranch_execz .LBB112_62
; %bb.61:
	s_lshl_b32 s20, s12, 4
	s_ashr_i32 s21, s20, 31
	s_lshl_b64 s[20:21], s[20:21], 3
	v_add_co_u32 v7, s8, v3, s20
	v_add_co_ci_u32_e64 v8, null, s21, v4, s8
	global_load_dwordx2 v[9:10], v[7:8], off
.LBB112_62:
	s_or_b32 exec_lo, exec_lo, s9
	v_add_nc_u32_e32 v7, 0x840, v18
	v_add_nc_u32_e32 v8, 24, v13
	s_mov_b32 s9, exec_lo
	v_add_nc_u32_e32 v1, v14, v7
	s_waitcnt vmcnt(0)
	ds_write_b64 v1, v[9:10]
	v_cmpx_gt_i32_e64 s16, v8
	s_cbranch_execz .LBB112_64
; %bb.63:
	s_mul_i32 s20, s12, 24
	s_ashr_i32 s21, s20, 31
	s_lshl_b64 s[20:21], s[20:21], 3
	v_add_co_u32 v5, s8, v3, s20
	v_add_co_ci_u32_e64 v6, null, s21, v4, s8
	global_load_dwordx2 v[5:6], v[5:6], off
.LBB112_64:
	s_or_b32 exec_lo, exec_lo, s9
	v_add_co_u32 v1, s8, v3, v14
	v_add_co_ci_u32_e64 v3, null, 0, v4, s8
	v_sub_co_u32 v1, s8, v1, s10
	v_subrev_co_ci_u32_e64 v4, null, s11, v3, s8
	v_add_nc_u32_e32 v3, 0x840, v7
	v_add_co_u32 v1, s8, 0x108, v1
	v_add_co_ci_u32_e64 v4, null, 0, v4, s8
	v_add_nc_u32_e32 v9, v14, v3
	v_cndmask_b32_e32 v23, v1, v23, vcc_lo
	v_cndmask_b32_e32 v24, v4, v24, vcc_lo
	s_waitcnt vmcnt(0)
	ds_write_b64 v9, v[5:6]
.LBB112_65:
	v_add_nc_u32_e32 v1, v14, v12
	v_lshlrev_b32_e32 v6, 3, v13
	s_waitcnt lgkmcnt(0)
	s_barrier
	buffer_gl0_inv
	ds_read_b64 v[4:5], v1
	ds_read_b64 v[9:10], v6 offset:9088
	v_add_nc_u32_e32 v1, v14, v18
	v_lshlrev_b32_e32 v6, 3, v16
	ds_read_b64 v[12:13], v1
	ds_read_b64 v[28:29], v6 offset:9088
	v_add_nc_u32_e32 v1, v14, v7
	s_waitcnt lgkmcnt(2)
	v_fma_f64 v[4:5], v[4:5], v[9:10], 0
	v_lshlrev_b32_e32 v9, 3, v17
	ds_read_b64 v[6:7], v1
	ds_read_b64 v[9:10], v9 offset:9088
	v_add_nc_u32_e32 v1, v14, v3
	v_lshlrev_b32_e32 v3, 3, v8
	s_waitcnt lgkmcnt(2)
	v_fma_f64 v[4:5], v[12:13], v[28:29], v[4:5]
	ds_read_b64 v[12:13], v1
	ds_read_b64 v[16:17], v3 offset:9088
	v_lshl_add_u32 v1, v11, 3, v26
	s_waitcnt lgkmcnt(2)
	v_fma_f64 v[3:4], v[6:7], v[9:10], v[4:5]
	s_waitcnt lgkmcnt(0)
	v_fma_f64 v[28:29], v[12:13], v[16:17], v[3:4]
	ds_read_b128 v[11:14], v15 offset:256
	ds_read_b128 v[3:6], v15 offset:272
	ds_read2_b64 v[15:18], v1 offset1:1
	ds_read2_b64 v[7:10], v1 offset0:2 offset1:3
	s_waitcnt lgkmcnt(0)
	s_barrier
	buffer_gl0_inv
	ds_write_b64 v27, v[28:29]
	s_waitcnt lgkmcnt(0)
	s_barrier
	buffer_gl0_inv
	s_and_saveexec_b32 s8, s3
	s_cbranch_execz .LBB112_67
; %bb.66:
	ds_read2_b64 v[28:31], v26 offset1:1
	ds_read2_b64 v[38:41], v26 offset0:2 offset1:3
	s_waitcnt lgkmcnt(1)
	v_add_f64 v[28:29], v[36:37], v[28:29]
	v_add_f64 v[28:29], v[28:29], v[30:31]
	s_waitcnt lgkmcnt(0)
	v_add_f64 v[28:29], v[28:29], v[38:39]
	v_add_f64 v[32:33], v[28:29], v[40:41]
	ds_read2_b64 v[28:31], v26 offset0:4 offset1:5
	ds_read2_b64 v[36:39], v26 offset0:6 offset1:7
	s_waitcnt lgkmcnt(1)
	v_add_f64 v[28:29], v[32:33], v[28:29]
	v_add_f64 v[28:29], v[28:29], v[30:31]
	s_waitcnt lgkmcnt(0)
	v_add_f64 v[28:29], v[28:29], v[36:37]
	v_add_f64 v[36:37], v[28:29], v[38:39]
.LBB112_67:
	s_or_b32 exec_lo, exec_lo, s8
	v_fma_f64 v[11:12], v[15:16], v[11:12], 0
	s_barrier
	buffer_gl0_inv
	v_fma_f64 v[11:12], v[17:18], v[13:14], v[11:12]
	v_fma_f64 v[3:4], v[7:8], v[3:4], v[11:12]
	;; [unrolled: 1-line block ×3, first 2 shown]
	ds_write_b64 v27, v[3:4]
	s_waitcnt lgkmcnt(0)
	s_barrier
	buffer_gl0_inv
	s_and_saveexec_b32 s3, s2
	s_cbranch_execz .LBB112_69
; %bb.68:
	ds_read2_b64 v[3:6], v26 offset1:1
	ds_read2_b64 v[7:10], v26 offset0:2 offset1:3
	s_waitcnt lgkmcnt(1)
	v_add_f64 v[3:4], v[36:37], v[3:4]
	v_add_f64 v[3:4], v[3:4], v[5:6]
	s_waitcnt lgkmcnt(0)
	v_add_f64 v[3:4], v[3:4], v[7:8]
	v_add_f64 v[11:12], v[3:4], v[9:10]
	ds_read2_b64 v[3:6], v26 offset0:4 offset1:5
	ds_read2_b64 v[7:10], v26 offset0:6 offset1:7
	s_waitcnt lgkmcnt(1)
	v_add_f64 v[3:4], v[11:12], v[3:4]
	v_add_f64 v[3:4], v[3:4], v[5:6]
	s_waitcnt lgkmcnt(0)
	v_add_f64 v[3:4], v[3:4], v[7:8]
	v_add_f64 v[36:37], v[3:4], v[9:10]
.LBB112_69:
	s_or_b32 exec_lo, exec_lo, s3
	s_load_dwordx2 s[2:3], s[4:5], 0x68
	s_mul_hi_u32 s4, s25, s7
	s_mul_i32 s27, s27, s7
	s_mul_i32 s5, s25, s7
	s_add_i32 s4, s4, s27
	s_mul_hi_u32 s7, s5, s26
	s_mul_i32 s8, s4, s26
	s_mul_i32 s4, s5, s26
	s_add_i32 s5, s7, s8
	s_mul_i32 s8, s25, s6
	s_lshl_b64 s[4:5], s[4:5], 3
	v_cmp_le_i32_e32 vcc_lo, s16, v0
	v_lshlrev_b32_e32 v72, 3, v0
	s_waitcnt lgkmcnt(0)
	s_barrier
	buffer_gl0_inv
	s_add_u32 s4, s2, s4
	s_addc_u32 s5, s3, s5
	s_ashr_i32 s9, s8, 31
	s_lshl_b64 s[2:3], s[8:9], 3
	s_add_u32 s7, s4, s2
	s_addc_u32 s20, s5, s3
	s_and_b32 vcc_lo, s15, vcc_lo
	s_cmp_lt_i32 s6, 1
	s_cbranch_scc1 .LBB112_76
; %bb.70:
	v_mul_lo_u32 v1, v2, s12
	v_sub_co_u32 v7, s2, v23, s18
	v_subrev_co_ci_u32_e64 v8, null, s19, v24, s2
	s_ashr_i32 s17, s16, 31
	v_sub_co_u32 v7, s2, v7, v21
	v_lshl_add_u32 v3, v1, 2, v0
	v_sub_co_ci_u32_e64 v8, null, v8, v22, s2
	s_lshl_b64 s[8:9], s[16:17], 3
	v_lshrrev_b32_e32 v5, 4, v25
	v_ashrrev_i32_e32 v4, 31, v3
	v_and_b32_e32 v6, 15, v0
	s_mul_i32 s4, s24, s14
	v_mov_b32_e32 v1, 0
	s_ashr_i32 s5, s4, 31
	v_lshlrev_b64 v[3:4], 3, v[3:4]
	s_lshl_b64 s[4:5], s[4:5], 3
	v_add_nc_u32_e32 v75, 0x2180, v72
	v_lshl_add_u32 v76, v2, 5, 0x2180
	v_add_nc_u32_e32 v77, 0x2380, v72
	v_mad_u32_u24 v78, 0x860, v2, v72
	v_add_co_u32 v3, s2, v7, v3
	v_add_co_ci_u32_e64 v4, null, v8, v4, s2
	s_ashr_i32 s13, s12, 31
	v_sub_co_u32 v7, s2, v3, v72
	v_subrev_co_ci_u32_e64 v8, null, 0, v4, s2
	s_lshl_b32 s18, s24, 6
	v_add_co_u32 v7, s2, v7, s8
	v_add_co_ci_u32_e64 v8, null, s9, v8, s2
	v_add_co_u32 v3, s2, 0xffffff00, v3
	v_add_co_ci_u32_e64 v4, null, -1, v4, s2
	v_add_co_u32 v7, s2, 0xfffffef8, v7
	v_add_co_ci_u32_e64 v8, null, -1, v8, s2
	v_sub_co_u32 v73, s2, v19, s4
	v_cndmask_b32_e32 v38, v3, v7, vcc_lo
	v_cndmask_b32_e32 v39, v4, v8, vcc_lo
	v_and_b32_e32 v3, 48, v0
	v_lshlrev_b32_e32 v4, 5, v5
	v_mul_i32_i24_e32 v5, 0xffffffe8, v5
	v_subrev_co_ci_u32_e64 v74, null, s5, v20, s2
	v_lshlrev_b32_e32 v3, 3, v3
	v_mad_u32_u24 v79, 0x218, v6, v4
	v_or_b32_e32 v4, 0x78, v72
	v_cmp_gt_u32_e64 s2, 64, v25
	s_lshl_b64 s[4:5], s[12:13], 3
	v_mad_u32_u24 v80, 0x218, v6, v3
	v_add_nc_u32_e32 v82, v79, v5
	v_mad_u32_u24 v81, 0x218, v6, v4
	s_lshl_b64 s[8:9], s[12:13], 9
	s_lshl_b64 s[10:11], s[12:13], 4
	s_mul_hi_i32 s19, s12, 24
	s_mul_i32 s21, s12, 24
	s_mul_hi_i32 s22, s12, 0x90
	s_mul_i32 s23, s12, 0x90
	;; [unrolled: 2-line block ×10, first 2 shown]
	s_lshl_b64 s[14:15], s[12:13], 8
	s_mul_hi_i32 s41, s12, 0x88
	s_mul_i32 s42, s12, 0x88
	s_lshl_b64 s[12:13], s[12:13], 7
	s_mov_b32 s16, 0
	s_branch .LBB112_72
.LBB112_71:                             ;   in Loop: Header=BB112_72 Depth=1
	s_or_b32 exec_lo, exec_lo, s17
	v_fma_f64 v[7:8], v[40:41], v[7:8], v[36:37]
	v_add_co_u32 v38, s3, v38, s8
	v_add_co_ci_u32_e64 v39, null, s9, v39, s3
	v_add_nc_u32_e32 v0, 64, v0
	s_add_i32 s6, s6, -1
	s_add_i32 s16, s16, s18
	s_cmp_eq_u32 s6, 0
	s_waitcnt_vscnt null, 0x0
	s_barrier
	buffer_gl0_inv
	v_fma_f64 v[7:8], v[42:43], v[9:10], v[7:8]
	v_fma_f64 v[3:4], v[44:45], v[3:4], v[7:8]
	;; [unrolled: 1-line block ×15, first 2 shown]
	s_cbranch_scc1 .LBB112_76
.LBB112_72:                             ; =>This Inner Loop Header: Depth=1
	s_and_saveexec_b32 s43, s1
	s_cbranch_execz .LBB112_74
; %bb.73:                               ;   in Loop: Header=BB112_72 Depth=1
	s_ashr_i32 s17, s16, 31
	s_lshl_b64 s[44:45], s[16:17], 3
	v_add_co_u32 v3, s3, v73, s44
	v_add_co_ci_u32_e64 v4, null, s45, v74, s3
	global_load_dwordx2 v[3:4], v[3:4], off
	s_waitcnt vmcnt(0)
	ds_write_b64 v75, v[3:4]
.LBB112_74:                             ;   in Loop: Header=BB112_72 Depth=1
	s_or_b32 exec_lo, exec_lo, s43
	v_add_co_u32 v3, s3, v38, s4
	v_add_co_ci_u32_e64 v4, null, s5, v39, s3
	v_add_co_u32 v5, s3, v38, s10
	v_add_co_ci_u32_e64 v6, null, s11, v39, s3
	;; [unrolled: 2-line block ×3, first 2 shown]
	s_waitcnt lgkmcnt(0)
	s_barrier
	buffer_gl0_inv
	s_clause 0x3
	global_load_dwordx2 v[40:41], v[38:39], off
	global_load_dwordx2 v[42:43], v[3:4], off
	;; [unrolled: 1-line block ×4, first 2 shown]
	ds_read_b64 v[3:4], v77
	v_add_co_u32 v19, s3, v38, s12
	v_add_co_ci_u32_e64 v20, null, s13, v39, s3
	v_add_co_u32 v21, s3, v38, s42
	v_add_co_ci_u32_e64 v22, null, s41, v39, s3
	;; [unrolled: 2-line block ×12, first 2 shown]
	s_waitcnt vmcnt(3) lgkmcnt(0)
	v_mul_f64 v[11:12], v[40:41], v[3:4]
	s_waitcnt vmcnt(2)
	v_mul_f64 v[13:14], v[42:43], v[3:4]
	s_waitcnt vmcnt(1)
	;; [unrolled: 2-line block ×3, first 2 shown]
	v_mul_f64 v[17:18], v[46:47], v[3:4]
	ds_read_b128 v[7:10], v76
	ds_read_b128 v[3:6], v76 offset:16
	ds_write2_b64 v78, v[11:12], v[13:14] offset1:67
	ds_write2_b64 v78, v[15:16], v[17:18] offset0:134 offset1:201
	s_waitcnt lgkmcnt(0)
	s_barrier
	buffer_gl0_inv
	ds_read2_b64 v[83:86], v79 offset1:1
	ds_read2_b64 v[87:90], v79 offset0:2 offset1:3
	s_waitcnt lgkmcnt(0)
	s_barrier
	buffer_gl0_inv
	s_clause 0x3
	global_load_dwordx2 v[48:49], v[19:20], off
	global_load_dwordx2 v[50:51], v[21:22], off
	;; [unrolled: 1-line block ×4, first 2 shown]
	ds_read_b64 v[11:12], v77
	v_add_f64 v[83:84], v[83:84], 0
	s_waitcnt vmcnt(3) lgkmcnt(0)
	v_mul_f64 v[19:20], v[48:49], v[11:12]
	s_waitcnt vmcnt(2)
	v_mul_f64 v[21:22], v[50:51], v[11:12]
	s_waitcnt vmcnt(1)
	;; [unrolled: 2-line block ×3, first 2 shown]
	v_mul_f64 v[25:26], v[54:55], v[11:12]
	ds_read_b128 v[15:18], v76 offset:128
	ds_read_b128 v[11:14], v76 offset:144
	ds_write2_b64 v78, v[19:20], v[21:22] offset1:67
	ds_write2_b64 v78, v[23:24], v[25:26] offset0:134 offset1:201
	s_waitcnt lgkmcnt(0)
	s_barrier
	buffer_gl0_inv
	ds_read2_b64 v[91:94], v79 offset1:1
	ds_read2_b64 v[95:98], v79 offset0:2 offset1:3
	s_waitcnt lgkmcnt(0)
	s_barrier
	buffer_gl0_inv
	s_clause 0x3
	global_load_dwordx2 v[56:57], v[27:28], off
	global_load_dwordx2 v[58:59], v[29:30], off
	;; [unrolled: 1-line block ×4, first 2 shown]
	ds_read_b64 v[19:20], v77
	v_add_f64 v[91:92], v[91:92], 0
	v_add_f64 v[91:92], v[91:92], v[93:94]
	;; [unrolled: 1-line block ×3, first 2 shown]
	s_waitcnt vmcnt(3) lgkmcnt(0)
	v_mul_f64 v[27:28], v[56:57], v[19:20]
	s_waitcnt vmcnt(2)
	v_mul_f64 v[29:30], v[58:59], v[19:20]
	s_waitcnt vmcnt(1)
	;; [unrolled: 2-line block ×3, first 2 shown]
	v_mul_f64 v[33:34], v[62:63], v[19:20]
	ds_read_b128 v[19:22], v76 offset:256
	ds_read_b128 v[23:26], v76 offset:272
	ds_write2_b64 v78, v[27:28], v[29:30] offset1:67
	ds_write2_b64 v78, v[31:32], v[33:34] offset0:134 offset1:201
	s_waitcnt lgkmcnt(0)
	s_barrier
	buffer_gl0_inv
	ds_read2_b64 v[99:102], v79 offset1:1
	ds_read2_b64 v[103:106], v79 offset0:2 offset1:3
	s_waitcnt lgkmcnt(0)
	s_barrier
	buffer_gl0_inv
	s_clause 0x3
	global_load_dwordx2 v[64:65], v[64:65], off
	global_load_dwordx2 v[66:67], v[66:67], off
	;; [unrolled: 1-line block ×4, first 2 shown]
	ds_read_b64 v[27:28], v77
	v_add_f64 v[99:100], v[99:100], 0
	v_add_f64 v[93:94], v[99:100], v[101:102]
	;; [unrolled: 1-line block ×3, first 2 shown]
	s_waitcnt vmcnt(3) lgkmcnt(0)
	v_mul_f64 v[107:108], v[64:65], v[27:28]
	s_waitcnt vmcnt(2)
	v_mul_f64 v[109:110], v[66:67], v[27:28]
	s_waitcnt vmcnt(1)
	;; [unrolled: 2-line block ×3, first 2 shown]
	v_mul_f64 v[113:114], v[70:71], v[27:28]
	ds_read_b128 v[27:30], v76 offset:384
	ds_read_b128 v[31:34], v76 offset:400
	ds_write2_b64 v78, v[107:108], v[109:110] offset1:67
	ds_write2_b64 v78, v[111:112], v[113:114] offset0:134 offset1:201
	s_waitcnt lgkmcnt(0)
	s_barrier
	buffer_gl0_inv
	ds_read2_b64 v[107:110], v79 offset1:1
	v_add_f64 v[111:112], v[83:84], v[85:86]
	ds_read2_b64 v[83:86], v79 offset0:2 offset1:3
	s_waitcnt lgkmcnt(0)
	s_barrier
	buffer_gl0_inv
	v_add_f64 v[107:108], v[107:108], 0
	v_add_f64 v[87:88], v[111:112], v[87:88]
	;; [unrolled: 1-line block ×8, first 2 shown]
	ds_write2_b64 v82, v[87:88], v[89:90] offset1:16
	ds_write2_b64 v82, v[91:92], v[83:84] offset0:32 offset1:48
	s_waitcnt lgkmcnt(0)
	s_barrier
	buffer_gl0_inv
	s_and_saveexec_b32 s17, s2
	s_cbranch_execz .LBB112_71
; %bb.75:                               ;   in Loop: Header=BB112_72 Depth=1
	ds_read2_b64 v[83:86], v80 offset1:1
	ds_read2_b64 v[87:90], v80 offset0:2 offset1:3
	s_waitcnt lgkmcnt(1)
	v_add_f64 v[83:84], v[83:84], v[85:86]
	s_waitcnt lgkmcnt(0)
	v_add_f64 v[83:84], v[83:84], v[87:88]
	v_add_f64 v[91:92], v[83:84], v[89:90]
	ds_read2_b64 v[83:86], v80 offset0:4 offset1:5
	ds_read2_b64 v[87:90], v80 offset0:6 offset1:7
	s_waitcnt lgkmcnt(1)
	v_add_f64 v[83:84], v[91:92], v[83:84]
	v_add_f64 v[83:84], v[83:84], v[85:86]
	s_waitcnt lgkmcnt(0)
	v_add_f64 v[83:84], v[83:84], v[87:88]
	v_add_f64 v[91:92], v[83:84], v[89:90]
	ds_read2_b64 v[83:86], v80 offset0:8 offset1:9
	ds_read2_b64 v[87:90], v80 offset0:10 offset1:11
	s_waitcnt lgkmcnt(1)
	v_add_f64 v[83:84], v[91:92], v[83:84]
	v_add_f64 v[83:84], v[83:84], v[85:86]
	s_waitcnt lgkmcnt(0)
	v_add_f64 v[83:84], v[83:84], v[87:88]
	v_add_f64 v[87:88], v[83:84], v[89:90]
	ds_read2_b64 v[83:86], v80 offset0:12 offset1:13
	ds_read_b64 v[89:90], v80 offset:112
	s_waitcnt lgkmcnt(1)
	v_add_f64 v[83:84], v[87:88], v[83:84]
	v_add_f64 v[83:84], v[83:84], v[85:86]
	ds_read_b64 v[85:86], v81
	s_waitcnt lgkmcnt(1)
	v_add_f64 v[83:84], v[83:84], v[89:90]
	s_waitcnt lgkmcnt(0)
	v_add_f64 v[83:84], v[83:84], v[85:86]
	v_lshlrev_b64 v[85:86], 3, v[0:1]
	v_add_co_u32 v85, s3, s7, v85
	v_add_co_ci_u32_e64 v86, null, s20, v86, s3
	global_store_dwordx2 v[85:86], v[83:84], off
	s_branch .LBB112_71
.LBB112_76:
	v_mad_u32_u24 v0, 0x218, v2, v72
	s_nor_b32 s0, s0, vcc_lo
	ds_write_b64 v0, v[36:37]
	s_waitcnt lgkmcnt(0)
	s_barrier
	buffer_gl0_inv
	s_and_saveexec_b32 s1, s0
	s_cbranch_execz .LBB112_78
; %bb.77:
	ds_read2_b64 v[0:3], v72 offset1:67
	v_ashrrev_i32_e32 v36, 31, v35
	s_waitcnt lgkmcnt(0)
	v_add_f64 v[4:5], v[0:1], v[2:3]
	ds_read2_b64 v[0:3], v72 offset0:134 offset1:201
	s_waitcnt lgkmcnt(0)
	v_add_f64 v[0:1], v[4:5], v[0:1]
	v_add_f64 v[0:1], v[0:1], v[2:3]
	v_lshlrev_b64 v[2:3], 3, v[35:36]
	v_add_co_u32 v2, vcc_lo, s7, v2
	v_add_co_ci_u32_e64 v3, null, s20, v3, vcc_lo
	global_store_dwordx2 v[2:3], v[0:1], off
.LBB112_78:
	s_endpgm
	.section	.rodata,"a",@progbits
	.p2align	6, 0x0
	.amdhsa_kernel _ZL26rocblas_hemvn_kernel_lowerILb0ELi64ELi4ELi33ELi32ELi16EidPKdPdEviT6_lT7_lT5_lS4_lS5_lS3_lT8_i
		.amdhsa_group_segment_fixed_size 9600
		.amdhsa_private_segment_fixed_size 0
		.amdhsa_kernarg_size 376
		.amdhsa_user_sgpr_count 6
		.amdhsa_user_sgpr_private_segment_buffer 1
		.amdhsa_user_sgpr_dispatch_ptr 0
		.amdhsa_user_sgpr_queue_ptr 0
		.amdhsa_user_sgpr_kernarg_segment_ptr 1
		.amdhsa_user_sgpr_dispatch_id 0
		.amdhsa_user_sgpr_flat_scratch_init 0
		.amdhsa_user_sgpr_private_segment_size 0
		.amdhsa_wavefront_size32 1
		.amdhsa_uses_dynamic_stack 0
		.amdhsa_system_sgpr_private_segment_wavefront_offset 0
		.amdhsa_system_sgpr_workgroup_id_x 1
		.amdhsa_system_sgpr_workgroup_id_y 0
		.amdhsa_system_sgpr_workgroup_id_z 1
		.amdhsa_system_sgpr_workgroup_info 0
		.amdhsa_system_vgpr_workitem_id 1
		.amdhsa_next_free_vgpr 115
		.amdhsa_next_free_sgpr 46
		.amdhsa_reserve_vcc 1
		.amdhsa_reserve_flat_scratch 0
		.amdhsa_float_round_mode_32 0
		.amdhsa_float_round_mode_16_64 0
		.amdhsa_float_denorm_mode_32 3
		.amdhsa_float_denorm_mode_16_64 3
		.amdhsa_dx10_clamp 1
		.amdhsa_ieee_mode 1
		.amdhsa_fp16_overflow 0
		.amdhsa_workgroup_processor_mode 1
		.amdhsa_memory_ordered 1
		.amdhsa_forward_progress 1
		.amdhsa_shared_vgpr_count 0
		.amdhsa_exception_fp_ieee_invalid_op 0
		.amdhsa_exception_fp_denorm_src 0
		.amdhsa_exception_fp_ieee_div_zero 0
		.amdhsa_exception_fp_ieee_overflow 0
		.amdhsa_exception_fp_ieee_underflow 0
		.amdhsa_exception_fp_ieee_inexact 0
		.amdhsa_exception_int_div_zero 0
	.end_amdhsa_kernel
	.section	.text._ZL26rocblas_hemvn_kernel_lowerILb0ELi64ELi4ELi33ELi32ELi16EidPKdPdEviT6_lT7_lT5_lS4_lS5_lS3_lT8_i,"axG",@progbits,_ZL26rocblas_hemvn_kernel_lowerILb0ELi64ELi4ELi33ELi32ELi16EidPKdPdEviT6_lT7_lT5_lS4_lS5_lS3_lT8_i,comdat
.Lfunc_end112:
	.size	_ZL26rocblas_hemvn_kernel_lowerILb0ELi64ELi4ELi33ELi32ELi16EidPKdPdEviT6_lT7_lT5_lS4_lS5_lS3_lT8_i, .Lfunc_end112-_ZL26rocblas_hemvn_kernel_lowerILb0ELi64ELi4ELi33ELi32ELi16EidPKdPdEviT6_lT7_lT5_lS4_lS5_lS3_lT8_i
                                        ; -- End function
	.set _ZL26rocblas_hemvn_kernel_lowerILb0ELi64ELi4ELi33ELi32ELi16EidPKdPdEviT6_lT7_lT5_lS4_lS5_lS3_lT8_i.num_vgpr, 115
	.set _ZL26rocblas_hemvn_kernel_lowerILb0ELi64ELi4ELi33ELi32ELi16EidPKdPdEviT6_lT7_lT5_lS4_lS5_lS3_lT8_i.num_agpr, 0
	.set _ZL26rocblas_hemvn_kernel_lowerILb0ELi64ELi4ELi33ELi32ELi16EidPKdPdEviT6_lT7_lT5_lS4_lS5_lS3_lT8_i.numbered_sgpr, 46
	.set _ZL26rocblas_hemvn_kernel_lowerILb0ELi64ELi4ELi33ELi32ELi16EidPKdPdEviT6_lT7_lT5_lS4_lS5_lS3_lT8_i.num_named_barrier, 0
	.set _ZL26rocblas_hemvn_kernel_lowerILb0ELi64ELi4ELi33ELi32ELi16EidPKdPdEviT6_lT7_lT5_lS4_lS5_lS3_lT8_i.private_seg_size, 0
	.set _ZL26rocblas_hemvn_kernel_lowerILb0ELi64ELi4ELi33ELi32ELi16EidPKdPdEviT6_lT7_lT5_lS4_lS5_lS3_lT8_i.uses_vcc, 1
	.set _ZL26rocblas_hemvn_kernel_lowerILb0ELi64ELi4ELi33ELi32ELi16EidPKdPdEviT6_lT7_lT5_lS4_lS5_lS3_lT8_i.uses_flat_scratch, 0
	.set _ZL26rocblas_hemvn_kernel_lowerILb0ELi64ELi4ELi33ELi32ELi16EidPKdPdEviT6_lT7_lT5_lS4_lS5_lS3_lT8_i.has_dyn_sized_stack, 0
	.set _ZL26rocblas_hemvn_kernel_lowerILb0ELi64ELi4ELi33ELi32ELi16EidPKdPdEviT6_lT7_lT5_lS4_lS5_lS3_lT8_i.has_recursion, 0
	.set _ZL26rocblas_hemvn_kernel_lowerILb0ELi64ELi4ELi33ELi32ELi16EidPKdPdEviT6_lT7_lT5_lS4_lS5_lS3_lT8_i.has_indirect_call, 0
	.section	.AMDGPU.csdata,"",@progbits
; Kernel info:
; codeLenInByte = 6696
; TotalNumSgprs: 48
; NumVgprs: 115
; ScratchSize: 0
; MemoryBound: 0
; FloatMode: 240
; IeeeMode: 1
; LDSByteSize: 9600 bytes/workgroup (compile time only)
; SGPRBlocks: 0
; VGPRBlocks: 14
; NumSGPRsForWavesPerEU: 48
; NumVGPRsForWavesPerEU: 115
; Occupancy: 8
; WaveLimiterHint : 1
; COMPUTE_PGM_RSRC2:SCRATCH_EN: 0
; COMPUTE_PGM_RSRC2:USER_SGPR: 6
; COMPUTE_PGM_RSRC2:TRAP_HANDLER: 0
; COMPUTE_PGM_RSRC2:TGID_X_EN: 1
; COMPUTE_PGM_RSRC2:TGID_Y_EN: 0
; COMPUTE_PGM_RSRC2:TGID_Z_EN: 1
; COMPUTE_PGM_RSRC2:TIDIG_COMP_CNT: 1
	.section	.text._ZL36rocblas_hemvn_kernel_lower_block_sumILi64EidPddEviT1_lS1_lT2_lT0_lPT3_i,"axG",@progbits,_ZL36rocblas_hemvn_kernel_lower_block_sumILi64EidPddEviT1_lS1_lT2_lT0_lPT3_i,comdat
	.globl	_ZL36rocblas_hemvn_kernel_lower_block_sumILi64EidPddEviT1_lS1_lT2_lT0_lPT3_i ; -- Begin function _ZL36rocblas_hemvn_kernel_lower_block_sumILi64EidPddEviT1_lS1_lT2_lT0_lPT3_i
	.p2align	8
	.type	_ZL36rocblas_hemvn_kernel_lower_block_sumILi64EidPddEviT1_lS1_lT2_lT0_lPT3_i,@function
_ZL36rocblas_hemvn_kernel_lower_block_sumILi64EidPddEviT1_lS1_lT2_lT0_lPT3_i: ; @_ZL36rocblas_hemvn_kernel_lower_block_sumILi64EidPddEviT1_lS1_lT2_lT0_lPT3_i
; %bb.0:
	s_clause 0x1
	s_load_dwordx2 s[2:3], s[4:5], 0x8
	s_load_dwordx2 s[8:9], s[4:5], 0x18
	s_waitcnt lgkmcnt(0)
	v_cmp_eq_f64_e64 s0, s[2:3], 0
	v_cmp_eq_f64_e64 s1, s[8:9], 1.0
	s_and_b32 s0, s0, s1
	s_and_b32 vcc_lo, exec_lo, s0
	s_cbranch_vccnz .LBB113_19
; %bb.1:
	s_clause 0x3
	s_load_dwordx2 s[0:1], s[4:5], 0x40
	s_load_dwordx4 s[16:19], s[4:5], 0x28
	s_load_dword s15, s[4:5], 0x38
	s_load_dword s10, s[4:5], 0x0
	v_cmp_neq_f64_e64 s11, s[2:3], 0
	v_lshl_or_b32 v0, s6, 6, v0
	s_mov_b32 s14, 0
	s_waitcnt lgkmcnt(0)
	s_mul_i32 s1, s1, s7
	s_mul_hi_u32 s12, s0, s7
	s_mul_i32 s0, s0, s7
	s_add_i32 s1, s12, s1
	s_lshl_b64 s[0:1], s[0:1], 3
	s_add_u32 s12, s16, s0
	s_addc_u32 s13, s17, s1
	s_lshl_b64 s[0:1], s[18:19], 3
	s_add_u32 s12, s12, s0
	v_cmp_gt_i32_e64 s0, s10, v0
	s_addc_u32 s13, s13, s1
	s_and_b32 vcc_lo, exec_lo, s11
	s_cbranch_vccnz .LBB113_6
; %bb.2:
	s_mov_b32 s1, 0
                                        ; implicit-def: $vgpr3_vgpr4
                                        ; implicit-def: $vgpr1_vgpr2
	s_and_saveexec_b32 s11, s0
	s_cbranch_execz .LBB113_7
; %bb.3:
	v_cmp_eq_f64_e64 s0, s[8:9], 0
	v_mul_lo_u32 v1, s15, v0
	v_mov_b32_e32 v3, 0
	v_mov_b32_e32 v4, 0
	v_ashrrev_i32_e32 v2, 31, v1
	s_and_b32 vcc_lo, exec_lo, s0
	s_cbranch_vccnz .LBB113_5
; %bb.4:
	v_lshlrev_b64 v[3:4], 3, v[1:2]
	v_add_co_u32 v3, vcc_lo, s12, v3
	v_add_co_ci_u32_e64 v4, null, s13, v4, vcc_lo
	global_load_dwordx2 v[3:4], v[3:4], off
	s_waitcnt vmcnt(0)
	v_mul_f64 v[3:4], s[8:9], v[3:4]
.LBB113_5:
	s_mov_b32 s14, exec_lo
	s_or_b32 exec_lo, exec_lo, s11
	s_and_b32 vcc_lo, exec_lo, s1
	s_cbranch_vccnz .LBB113_8
	s_branch .LBB113_17
.LBB113_6:
                                        ; implicit-def: $vgpr3_vgpr4
                                        ; implicit-def: $vgpr1_vgpr2
	s_cbranch_execnz .LBB113_8
	s_branch .LBB113_17
.LBB113_7:
	s_or_b32 exec_lo, exec_lo, s11
	s_and_b32 vcc_lo, exec_lo, s1
	s_cbranch_vccz .LBB113_17
.LBB113_8:
	s_mov_b32 s16, exec_lo
                                        ; implicit-def: $vgpr3_vgpr4
                                        ; implicit-def: $vgpr1_vgpr2
	v_cmpx_gt_i32_e64 s10, v0
	s_cbranch_execz .LBB113_16
; %bb.9:
	s_load_dword s17, s[4:5], 0x58
	v_mov_b32_e32 v5, 0
	v_mov_b32_e32 v6, 0
	s_waitcnt lgkmcnt(0)
	s_cmp_ge_i32 s6, s17
	s_cbranch_scc1 .LBB113_12
; %bb.10:
	s_load_dwordx2 s[0:1], s[4:5], 0x48
	v_mad_u64_u32 v[1:2], null, s10, s6, v[0:1]
	s_ashr_i32 s11, s10, 31
	s_mul_hi_u32 s4, s10, s7
	s_mul_i32 s5, s11, s7
	s_mul_i32 s7, s10, s7
	s_add_i32 s4, s4, s5
	s_mul_hi_u32 s5, s7, s17
	v_ashrrev_i32_e32 v2, 31, v1
	s_mul_i32 s18, s4, s17
	s_mul_i32 s4, s7, s17
	s_add_i32 s5, s5, s18
	v_mov_b32_e32 v5, 0
	v_lshlrev_b64 v[1:2], 3, v[1:2]
	s_lshl_b64 s[4:5], s[4:5], 3
	v_mov_b32_e32 v6, 0
	s_waitcnt lgkmcnt(0)
	s_add_u32 s0, s0, s4
	s_addc_u32 s1, s1, s5
	v_add_co_u32 v1, vcc_lo, s0, v1
	v_add_co_ci_u32_e64 v2, null, s1, v2, vcc_lo
	s_lshl_b64 s[0:1], s[10:11], 3
.LBB113_11:                             ; =>This Inner Loop Header: Depth=1
	global_load_dwordx2 v[3:4], v[1:2], off
	v_add_co_u32 v1, vcc_lo, v1, s0
	v_add_co_ci_u32_e64 v2, null, s1, v2, vcc_lo
	s_add_i32 s6, s6, 1
	s_cmp_ge_i32 s6, s17
	s_waitcnt vmcnt(0)
	v_add_f64 v[5:6], v[5:6], v[3:4]
	s_cbranch_scc0 .LBB113_11
.LBB113_12:
	v_cmp_eq_f64_e64 s0, s[8:9], 0
	v_mul_lo_u32 v1, s15, v0
	v_ashrrev_i32_e32 v2, 31, v1
	s_and_b32 vcc_lo, exec_lo, s0
	s_cbranch_vccz .LBB113_20
; %bb.13:
	v_mul_f64 v[3:4], s[2:3], v[5:6]
	s_cbranch_execnz .LBB113_15
.LBB113_14:
	v_lshlrev_b64 v[3:4], 3, v[1:2]
	v_add_co_u32 v3, vcc_lo, s12, v3
	v_add_co_ci_u32_e64 v4, null, s13, v4, vcc_lo
	global_load_dwordx2 v[3:4], v[3:4], off
	s_waitcnt vmcnt(0)
	v_mul_f64 v[3:4], s[8:9], v[3:4]
	v_fma_f64 v[3:4], s[2:3], v[5:6], v[3:4]
.LBB113_15:
	s_or_b32 s14, s14, exec_lo
.LBB113_16:
	s_or_b32 exec_lo, exec_lo, s16
.LBB113_17:
	s_and_saveexec_b32 s0, s14
	s_cbranch_execz .LBB113_19
; %bb.18:
	v_lshlrev_b64 v[0:1], 3, v[1:2]
	v_add_co_u32 v0, vcc_lo, s12, v0
	v_add_co_ci_u32_e64 v1, null, s13, v1, vcc_lo
	global_store_dwordx2 v[0:1], v[3:4], off
.LBB113_19:
	s_endpgm
.LBB113_20:
                                        ; implicit-def: $vgpr3_vgpr4
	s_branch .LBB113_14
	.section	.rodata,"a",@progbits
	.p2align	6, 0x0
	.amdhsa_kernel _ZL36rocblas_hemvn_kernel_lower_block_sumILi64EidPddEviT1_lS1_lT2_lT0_lPT3_i
		.amdhsa_group_segment_fixed_size 0
		.amdhsa_private_segment_fixed_size 0
		.amdhsa_kernarg_size 344
		.amdhsa_user_sgpr_count 6
		.amdhsa_user_sgpr_private_segment_buffer 1
		.amdhsa_user_sgpr_dispatch_ptr 0
		.amdhsa_user_sgpr_queue_ptr 0
		.amdhsa_user_sgpr_kernarg_segment_ptr 1
		.amdhsa_user_sgpr_dispatch_id 0
		.amdhsa_user_sgpr_flat_scratch_init 0
		.amdhsa_user_sgpr_private_segment_size 0
		.amdhsa_wavefront_size32 1
		.amdhsa_uses_dynamic_stack 0
		.amdhsa_system_sgpr_private_segment_wavefront_offset 0
		.amdhsa_system_sgpr_workgroup_id_x 1
		.amdhsa_system_sgpr_workgroup_id_y 0
		.amdhsa_system_sgpr_workgroup_id_z 1
		.amdhsa_system_sgpr_workgroup_info 0
		.amdhsa_system_vgpr_workitem_id 0
		.amdhsa_next_free_vgpr 7
		.amdhsa_next_free_sgpr 20
		.amdhsa_reserve_vcc 1
		.amdhsa_reserve_flat_scratch 0
		.amdhsa_float_round_mode_32 0
		.amdhsa_float_round_mode_16_64 0
		.amdhsa_float_denorm_mode_32 3
		.amdhsa_float_denorm_mode_16_64 3
		.amdhsa_dx10_clamp 1
		.amdhsa_ieee_mode 1
		.amdhsa_fp16_overflow 0
		.amdhsa_workgroup_processor_mode 1
		.amdhsa_memory_ordered 1
		.amdhsa_forward_progress 1
		.amdhsa_shared_vgpr_count 0
		.amdhsa_exception_fp_ieee_invalid_op 0
		.amdhsa_exception_fp_denorm_src 0
		.amdhsa_exception_fp_ieee_div_zero 0
		.amdhsa_exception_fp_ieee_overflow 0
		.amdhsa_exception_fp_ieee_underflow 0
		.amdhsa_exception_fp_ieee_inexact 0
		.amdhsa_exception_int_div_zero 0
	.end_amdhsa_kernel
	.section	.text._ZL36rocblas_hemvn_kernel_lower_block_sumILi64EidPddEviT1_lS1_lT2_lT0_lPT3_i,"axG",@progbits,_ZL36rocblas_hemvn_kernel_lower_block_sumILi64EidPddEviT1_lS1_lT2_lT0_lPT3_i,comdat
.Lfunc_end113:
	.size	_ZL36rocblas_hemvn_kernel_lower_block_sumILi64EidPddEviT1_lS1_lT2_lT0_lPT3_i, .Lfunc_end113-_ZL36rocblas_hemvn_kernel_lower_block_sumILi64EidPddEviT1_lS1_lT2_lT0_lPT3_i
                                        ; -- End function
	.set _ZL36rocblas_hemvn_kernel_lower_block_sumILi64EidPddEviT1_lS1_lT2_lT0_lPT3_i.num_vgpr, 7
	.set _ZL36rocblas_hemvn_kernel_lower_block_sumILi64EidPddEviT1_lS1_lT2_lT0_lPT3_i.num_agpr, 0
	.set _ZL36rocblas_hemvn_kernel_lower_block_sumILi64EidPddEviT1_lS1_lT2_lT0_lPT3_i.numbered_sgpr, 20
	.set _ZL36rocblas_hemvn_kernel_lower_block_sumILi64EidPddEviT1_lS1_lT2_lT0_lPT3_i.num_named_barrier, 0
	.set _ZL36rocblas_hemvn_kernel_lower_block_sumILi64EidPddEviT1_lS1_lT2_lT0_lPT3_i.private_seg_size, 0
	.set _ZL36rocblas_hemvn_kernel_lower_block_sumILi64EidPddEviT1_lS1_lT2_lT0_lPT3_i.uses_vcc, 1
	.set _ZL36rocblas_hemvn_kernel_lower_block_sumILi64EidPddEviT1_lS1_lT2_lT0_lPT3_i.uses_flat_scratch, 0
	.set _ZL36rocblas_hemvn_kernel_lower_block_sumILi64EidPddEviT1_lS1_lT2_lT0_lPT3_i.has_dyn_sized_stack, 0
	.set _ZL36rocblas_hemvn_kernel_lower_block_sumILi64EidPddEviT1_lS1_lT2_lT0_lPT3_i.has_recursion, 0
	.set _ZL36rocblas_hemvn_kernel_lower_block_sumILi64EidPddEviT1_lS1_lT2_lT0_lPT3_i.has_indirect_call, 0
	.section	.AMDGPU.csdata,"",@progbits
; Kernel info:
; codeLenInByte = 648
; TotalNumSgprs: 22
; NumVgprs: 7
; ScratchSize: 0
; MemoryBound: 0
; FloatMode: 240
; IeeeMode: 1
; LDSByteSize: 0 bytes/workgroup (compile time only)
; SGPRBlocks: 0
; VGPRBlocks: 0
; NumSGPRsForWavesPerEU: 22
; NumVGPRsForWavesPerEU: 7
; Occupancy: 16
; WaveLimiterHint : 0
; COMPUTE_PGM_RSRC2:SCRATCH_EN: 0
; COMPUTE_PGM_RSRC2:USER_SGPR: 6
; COMPUTE_PGM_RSRC2:TRAP_HANDLER: 0
; COMPUTE_PGM_RSRC2:TGID_X_EN: 1
; COMPUTE_PGM_RSRC2:TGID_Y_EN: 0
; COMPUTE_PGM_RSRC2:TGID_Z_EN: 1
; COMPUTE_PGM_RSRC2:TIDIG_COMP_CNT: 0
	.section	.text._ZL26rocblas_hemvn_kernel_upperILb0ELi64ELi4ELi33ELi32ELi16ElPK19rocblas_complex_numIfES3_PS1_EviT6_lT7_lT5_lS6_lS7_lS5_lT8_i,"axG",@progbits,_ZL26rocblas_hemvn_kernel_upperILb0ELi64ELi4ELi33ELi32ELi16ElPK19rocblas_complex_numIfES3_PS1_EviT6_lT7_lT5_lS6_lS7_lS5_lT8_i,comdat
	.globl	_ZL26rocblas_hemvn_kernel_upperILb0ELi64ELi4ELi33ELi32ELi16ElPK19rocblas_complex_numIfES3_PS1_EviT6_lT7_lT5_lS6_lS7_lS5_lT8_i ; -- Begin function _ZL26rocblas_hemvn_kernel_upperILb0ELi64ELi4ELi33ELi32ELi16ElPK19rocblas_complex_numIfES3_PS1_EviT6_lT7_lT5_lS6_lS7_lS5_lT8_i
	.p2align	8
	.type	_ZL26rocblas_hemvn_kernel_upperILb0ELi64ELi4ELi33ELi32ELi16ElPK19rocblas_complex_numIfES3_PS1_EviT6_lT7_lT5_lS6_lS7_lS5_lT8_i,@function
_ZL26rocblas_hemvn_kernel_upperILb0ELi64ELi4ELi33ELi32ELi16ElPK19rocblas_complex_numIfES3_PS1_EviT6_lT7_lT5_lS6_lS7_lS5_lT8_i: ; @_ZL26rocblas_hemvn_kernel_upperILb0ELi64ELi4ELi33ELi32ELi16ElPK19rocblas_complex_numIfES3_PS1_EviT6_lT7_lT5_lS6_lS7_lS5_lT8_i
; %bb.0:
	s_load_dwordx2 s[2:3], s[4:5], 0x84
	s_add_u32 s0, s4, 0x78
	s_addc_u32 s1, s5, 0
	s_waitcnt lgkmcnt(0)
	s_lshr_b32 s8, s2, 16
	s_and_b32 s2, s2, 0xffff
	s_and_b32 s3, s3, 0xffff
	s_mul_i32 s2, s8, s2
	s_mul_i32 s2, s2, s3
	s_cmpk_lg_i32 s2, 0x100
	s_cbranch_scc1 .LBB114_156
; %bb.1:
	s_load_dwordx16 s[8:23], s[4:5], 0x8
	s_waitcnt lgkmcnt(0)
	s_mul_i32 s2, s11, s7
	s_mul_hi_u32 s3, s10, s7
	s_add_i32 s3, s3, s2
	s_mul_i32 s2, s10, s7
	s_lshl_b64 s[2:3], s[2:3], 3
	s_add_u32 s2, s8, s2
	s_addc_u32 s3, s9, s3
	s_load_dwordx2 s[2:3], s[2:3], 0x0
	s_clause 0x1
	s_load_dwordx2 s[34:35], s[4:5], 0x68
	s_load_dwordx8 s[24:31], s[4:5], 0x48
	s_waitcnt lgkmcnt(0)
	s_or_b32 s2, s2, s3
	s_mov_b32 s3, -1
	s_bitset0_b32 s2, 31
	s_cmp_lg_u32 s2, 0
	s_cselect_b32 s2, -1, 0
	s_and_b32 vcc_lo, exec_lo, s2
	s_cbranch_vccnz .LBB114_3
; %bb.2:
	s_mul_i32 s3, s31, s7
	s_mul_hi_u32 s9, s30, s7
	s_mul_i32 s8, s30, s7
	s_add_i32 s9, s9, s3
	s_lshl_b64 s[8:9], s[8:9], 3
	s_add_u32 s8, s28, s8
	s_addc_u32 s9, s29, s9
	s_load_dwordx2 s[8:9], s[8:9], 0x0
	s_waitcnt lgkmcnt(0)
	v_cmp_neq_f32_e64 s3, s8, 1.0
	v_cmp_neq_f32_e64 s8, s9, 0
	s_or_b32 s3, s3, s8
.LBB114_3:
	s_andn2_b32 vcc_lo, exec_lo, s3
	s_cbranch_vccnz .LBB114_156
; %bb.4:
	s_andn2_b32 vcc_lo, exec_lo, s2
	s_cbranch_vccnz .LBB114_156
; %bb.5:
	s_mul_i32 s3, s27, s7
	s_mul_hi_u32 s8, s26, s7
	s_mul_i32 s2, s26, s7
	s_add_i32 s3, s8, s3
	s_lshl_b64 s[2:3], s[2:3], 3
	s_add_u32 s8, s20, s2
	s_addc_u32 s9, s21, s3
	s_lshl_b64 s[2:3], s[22:23], 3
	s_load_dword s23, s[4:5], 0x0
	s_add_u32 s2, s8, s2
	s_addc_u32 s3, s9, s3
	s_lshl_b32 s20, s6, 6
	s_load_dword s9, s[0:1], 0x0
	v_add_nc_u32_e32 v58, s20, v0
	v_ashrrev_i32_e32 v59, 31, v58
	v_mul_lo_u32 v4, s25, v58
	v_mad_u64_u32 v[2:3], null, s24, v58, 0
	v_mul_lo_u32 v5, s24, v59
	s_waitcnt lgkmcnt(0)
	s_ashr_i32 s26, s23, 31
	s_lshr_b32 s0, s26, 26
	v_add3_u32 v3, v3, v5, v4
	s_add_i32 s0, s23, s0
	s_add_i32 s1, s9, -1
	s_andn2_b32 s0, s0, 63
	v_lshlrev_b64 v[2:3], 3, v[2:3]
	s_sub_i32 s22, s23, s0
	v_cmp_eq_u32_e64 s0, 0, v1
	s_cmp_eq_u32 s6, s1
	s_cselect_b32 s10, s22, 0
	v_add_co_u32 v16, vcc_lo, s2, v2
	v_add_co_ci_u32_e64 v17, null, s3, v3, vcc_lo
	s_mov_b32 s3, -1
	s_and_saveexec_b32 s1, s0
	s_cbranch_execz .LBB114_10
; %bb.6:
	v_cmp_le_i32_e32 vcc_lo, s10, v0
	s_cmp_lg_u32 s10, 0
	v_lshl_add_u32 v2, v0, 3, 0x2380
	s_cselect_b32 s2, -1, 0
	s_and_b32 s2, s2, vcc_lo
	s_and_saveexec_b32 s4, s2
	s_xor_b32 s2, exec_lo, s4
; %bb.7:
	v_mov_b32_e32 v3, 0
	v_mov_b32_e32 v4, v3
	ds_write_b64 v2, v[3:4]
                                        ; implicit-def: $vgpr2
; %bb.8:
	s_andn2_saveexec_b32 s2, s2
	s_cbranch_execz .LBB114_10
; %bb.9:
	global_load_dwordx2 v[3:4], v[16:17], off
	s_waitcnt vmcnt(0)
	ds_write_b64 v2, v[3:4]
.LBB114_10:
	s_or_b32 exec_lo, exec_lo, s1
	v_lshl_add_u32 v24, v1, 6, v0
	v_and_b32_e32 v2, 31, v0
	v_mov_b32_e32 v3, 0
	s_mul_i32 s1, s19, s7
	s_mul_hi_u32 s2, s18, s7
	v_lshrrev_b32_e32 v9, 5, v24
	s_mul_i32 s4, s18, s7
	s_add_i32 s5, s2, s1
	s_mul_hi_u32 s2, s16, s20
	s_lshl_b64 s[4:5], s[4:5], 3
	v_mad_u64_u32 v[3:4], null, s16, v9, v[2:3]
	s_add_u32 s1, s12, s4
	s_addc_u32 s11, s13, s5
	s_lshl_b64 s[4:5], s[14:15], 3
	s_mul_i32 s8, s17, s20
	s_add_u32 s13, s1, s4
	s_addc_u32 s11, s11, s5
	v_mad_u64_u32 v[4:5], null, s17, v9, v[4:5]
	s_ashr_i32 s21, s20, 31
	s_mul_i32 s12, s16, s20
	s_lshl_b64 s[4:5], s[20:21], 3
	s_mul_i32 s14, s16, s21
	s_add_u32 s18, s13, s4
	s_addc_u32 s11, s11, s5
	v_lshlrev_b64 v[14:15], 3, v[3:4]
	s_add_i32 s2, s2, s14
	v_cmp_gt_i32_e64 s1, s10, v2
	s_add_i32 s13, s2, s8
	v_lshlrev_b32_e32 v10, 3, v2
	s_lshl_b64 s[4:5], s[12:13], 3
	v_add_co_u32 v3, vcc_lo, s18, v14
	v_add_co_ci_u32_e64 v4, null, s11, v15, vcc_lo
	s_cmp_eq_u32 s10, 0
	v_add_co_u32 v5, s2, v3, s4
	s_cselect_b32 s14, -1, 0
	s_cmp_lg_u32 s10, 0
	v_lshlrev_b32_e32 v11, 3, v2
	v_add_co_ci_u32_e64 v6, null, s5, v4, s2
	v_mul_u32_u24_e32 v12, 0x108, v9
	s_cselect_b32 s15, -1, 0
                                        ; implicit-def: $vgpr3_vgpr4
	s_and_b32 vcc_lo, exec_lo, s15
	s_cbranch_vccz .LBB114_28
; %bb.11:
	v_sub_co_u32 v3, vcc_lo, v5, v10
	s_ashr_i32 s11, s10, 31
	v_subrev_co_ci_u32_e64 v4, null, 0, v6, vcc_lo
	s_lshl_b64 s[2:3], s[10:11], 3
	v_add_nc_u32_e32 v7, v11, v12
	v_add_co_u32 v3, vcc_lo, v3, s2
	v_add_co_ci_u32_e64 v4, null, s3, v4, vcc_lo
	s_mov_b32 s4, exec_lo
	v_add_co_u32 v3, vcc_lo, v3, -8
	v_add_co_ci_u32_e64 v4, null, -1, v4, vcc_lo
	v_cndmask_b32_e64 v3, v3, v5, s1
	v_cndmask_b32_e64 v4, v4, v6, s1
	v_cmpx_le_i32_e64 s10, v9
	s_xor_b32 s4, exec_lo, s4
; %bb.12:
	v_mov_b32_e32 v18, 0
	v_mov_b32_e32 v19, v18
	ds_write_b64 v7, v[18:19]
; %bb.13:
	s_andn2_saveexec_b32 s4, s4
	s_cbranch_execz .LBB114_15
; %bb.14:
	global_load_dwordx2 v[18:19], v[3:4], off
	s_waitcnt vmcnt(0)
	ds_write_b64 v7, v[18:19]
.LBB114_15:
	s_or_b32 exec_lo, exec_lo, s4
	v_add_nc_u32_e32 v8, 8, v9
	s_mov_b32 s4, exec_lo
	v_cmpx_le_i32_e64 s10, v8
	s_xor_b32 s4, exec_lo, s4
; %bb.16:
	v_mov_b32_e32 v18, 0
	v_mov_b32_e32 v19, v18
	ds_write_b64 v7, v[18:19] offset:2112
; %bb.17:
	s_andn2_saveexec_b32 s4, s4
	s_cbranch_execz .LBB114_19
; %bb.18:
	s_lshl_b64 s[12:13], s[16:17], 6
	v_add_co_u32 v18, vcc_lo, v3, s12
	v_add_co_ci_u32_e64 v19, null, s13, v4, vcc_lo
	global_load_dwordx2 v[18:19], v[18:19], off
	s_waitcnt vmcnt(0)
	ds_write_b64 v7, v[18:19] offset:2112
.LBB114_19:
	s_or_b32 exec_lo, exec_lo, s4
	v_add_nc_u32_e32 v8, 16, v9
	s_mov_b32 s4, exec_lo
	v_cmpx_le_i32_e64 s10, v8
	s_xor_b32 s4, exec_lo, s4
; %bb.20:
	v_mov_b32_e32 v18, 0
	v_mov_b32_e32 v19, v18
	ds_write_b64 v7, v[18:19] offset:4224
; %bb.21:
	s_andn2_saveexec_b32 s4, s4
	s_cbranch_execz .LBB114_23
; %bb.22:
	s_lshl_b64 s[12:13], s[16:17], 7
	v_add_co_u32 v18, vcc_lo, v3, s12
	v_add_co_ci_u32_e64 v19, null, s13, v4, vcc_lo
	global_load_dwordx2 v[18:19], v[18:19], off
	s_waitcnt vmcnt(0)
	ds_write_b64 v7, v[18:19] offset:4224
.LBB114_23:
	s_or_b32 exec_lo, exec_lo, s4
	v_add_nc_u32_e32 v8, 24, v9
	s_mov_b32 s4, exec_lo
	v_cmpx_le_i32_e64 s10, v8
	s_xor_b32 s4, exec_lo, s4
; %bb.24:
	v_mov_b32_e32 v18, 0
	v_mov_b32_e32 v19, v18
	ds_write_b64 v7, v[18:19] offset:6336
                                        ; implicit-def: $vgpr7
; %bb.25:
	s_andn2_saveexec_b32 s4, s4
	s_cbranch_execz .LBB114_27
; %bb.26:
	v_mad_u64_u32 v[18:19], null, 0xc0, s16, v[3:4]
	v_mov_b32_e32 v8, v19
	v_mad_u64_u32 v[19:20], null, 0xc0, s17, v[8:9]
	global_load_dwordx2 v[18:19], v[18:19], off
	s_waitcnt vmcnt(0)
	ds_write_b64 v7, v[18:19] offset:6336
.LBB114_27:
	s_or_b32 exec_lo, exec_lo, s4
	v_add_co_u32 v3, vcc_lo, v3, v10
	v_add_co_ci_u32_e64 v4, null, 0, v4, vcc_lo
	v_sub_co_u32 v3, vcc_lo, v3, s2
	v_subrev_co_ci_u32_e64 v4, null, s3, v4, vcc_lo
	s_mov_b32 s3, 0
	v_add_co_u32 v3, vcc_lo, v3, 8
	v_add_co_ci_u32_e64 v4, null, 0, v4, vcc_lo
	v_cndmask_b32_e64 v3, v3, v5, s1
	v_cndmask_b32_e64 v4, v4, v6, s1
.LBB114_28:
	s_and_b32 vcc_lo, exec_lo, s3
	s_cbranch_vccz .LBB114_30
; %bb.29:
	s_lshl_b64 s[2:3], s[16:17], 6
	v_lshl_add_u32 v13, v2, 3, v12
	v_add_co_u32 v3, vcc_lo, v5, s2
	v_add_co_ci_u32_e64 v4, null, s3, v6, vcc_lo
	v_add_co_u32 v7, vcc_lo, v3, s2
	v_add_co_ci_u32_e64 v8, null, s3, v4, vcc_lo
	;; [unrolled: 2-line block ×3, first 2 shown]
	s_clause 0x3
	global_load_dwordx2 v[20:21], v[5:6], off
	global_load_dwordx2 v[22:23], v[3:4], off
	;; [unrolled: 1-line block ×4, first 2 shown]
	v_mov_b32_e32 v3, v5
	v_mov_b32_e32 v4, v6
	s_waitcnt vmcnt(3)
	ds_write_b64 v13, v[20:21]
	s_waitcnt vmcnt(2)
	ds_write_b64 v13, v[22:23] offset:2112
	s_waitcnt vmcnt(1)
	ds_write_b64 v13, v[7:8] offset:4224
	;; [unrolled: 2-line block ×3, first 2 shown]
.LBB114_30:
	v_lshlrev_b32_e32 v13, 2, v9
	v_lshl_or_b32 v5, v2, 8, v11
	s_waitcnt lgkmcnt(0)
	s_barrier
	buffer_gl0_inv
	v_cmp_gt_u32_e64 s2, v13, v2
	v_lshl_add_u32 v7, v13, 3, v5
	v_mad_u32_u24 v5, 0x420, v9, v11
	s_and_saveexec_b32 s1, s2
	s_cbranch_execz .LBB114_32
; %bb.31:
	ds_read_b64 v[18:19], v5
	s_waitcnt lgkmcnt(0)
	ds_write_b64 v7, v[18:19]
.LBB114_32:
	s_or_b32 exec_lo, exec_lo, s1
	v_or_b32_e32 v18, 1, v13
	v_cmp_ge_u32_e64 s3, v13, v2
	v_mad_u32_u24 v6, 0x108, v18, v11
	s_and_saveexec_b32 s1, s3
	s_cbranch_execz .LBB114_34
; %bb.33:
	ds_read_b64 v[19:20], v6
	s_waitcnt lgkmcnt(0)
	ds_write_b64 v7, v[19:20] offset:8
.LBB114_34:
	s_or_b32 exec_lo, exec_lo, s1
	v_or_b32_e32 v8, 2, v13
	v_cmp_gt_u32_e64 s4, v8, v2
	s_and_saveexec_b32 s1, s4
	s_cbranch_execz .LBB114_36
; %bb.35:
	v_mad_u32_u24 v8, 0x108, v8, v11
	ds_read_b64 v[19:20], v8
	s_waitcnt lgkmcnt(0)
	ds_write_b64 v7, v[19:20] offset:16
.LBB114_36:
	s_or_b32 exec_lo, exec_lo, s1
	v_or_b32_e32 v19, 3, v13
	s_mov_b32 s1, exec_lo
	v_cmp_gt_u32_e64 s5, v19, v2
	v_mul_u32_u24_e32 v8, 0x108, v19
	v_cmpx_le_u32_e64 v19, v2
	s_xor_b32 s1, exec_lo, s1
; %bb.37:
	v_mul_u32_u24_e32 v8, 0x108, v19
                                        ; implicit-def: $vgpr19
                                        ; implicit-def: $vgpr7
; %bb.38:
	s_andn2_saveexec_b32 s1, s1
	s_cbranch_execz .LBB114_40
; %bb.39:
	v_mad_u32_u24 v19, 0x108, v19, v11
	ds_read_b64 v[19:20], v19
	s_waitcnt lgkmcnt(0)
	ds_write_b64 v7, v[19:20] offset:24
.LBB114_40:
	s_or_b32 exec_lo, exec_lo, s1
	v_lshlrev_b32_e32 v19, 3, v13
	s_waitcnt lgkmcnt(0)
	s_barrier
	buffer_gl0_inv
	ds_read_b64 v[21:22], v5
	ds_read_b128 v[25:28], v19 offset:9088
	ds_read2_b64 v[29:32], v6 offset1:33
	v_add_nc_u32_e32 v20, v11, v8
	ds_read_b128 v[5:8], v19 offset:9104
	ds_read_b64 v[33:34], v20
	v_mul_u32_u24_e32 v23, 33, v2
	v_mov_b32_e32 v60, 0
	v_cmp_gt_u32_e64 s1, 32, v24
	v_mov_b32_e32 v61, 0
	s_waitcnt lgkmcnt(0)
	s_barrier
	buffer_gl0_inv
	v_mul_f32_e32 v35, v26, v22
	v_mul_f32_e32 v22, v25, v22
	;; [unrolled: 1-line block ×5, first 2 shown]
	v_fma_f32 v25, v25, v21, -v35
	v_fmac_f32_e32 v22, v26, v21
	v_mul_f32_e32 v32, v5, v32
	v_fma_f32 v26, v27, v29, -v36
	v_fmac_f32_e32 v30, v28, v29
	v_add_f32_e32 v25, 0, v25
	v_add_f32_e32 v22, 0, v22
	v_mul_f32_e32 v21, v8, v34
	v_mul_f32_e32 v27, v7, v34
	v_fma_f32 v5, v5, v31, -v37
	v_fmac_f32_e32 v32, v6, v31
	v_add_f32_e32 v6, v25, v26
	v_add_f32_e32 v22, v22, v30
	v_lshlrev_b32_e32 v25, 3, v23
	v_fma_f32 v7, v7, v33, -v21
	v_fmac_f32_e32 v27, v8, v33
	v_add_f32_e32 v5, v6, v5
	v_add_f32_e32 v6, v22, v32
	v_lshl_add_u32 v26, v9, 3, v25
	v_add_f32_e32 v5, v5, v7
	v_add_f32_e32 v6, v6, v27
	ds_write_b64 v26, v[5:6]
	s_waitcnt lgkmcnt(0)
	s_barrier
	buffer_gl0_inv
	s_and_saveexec_b32 s8, s1
	s_cbranch_execz .LBB114_42
; %bb.41:
	ds_read2_b64 v[5:8], v25 offset1:7
	ds_read2_b64 v[27:30], v25 offset0:1 offset1:2
	ds_read2_b64 v[31:34], v25 offset0:3 offset1:4
	;; [unrolled: 1-line block ×3, first 2 shown]
	s_waitcnt lgkmcnt(2)
	v_add_f32_e32 v5, v27, v5
	v_add_f32_e32 v6, v28, v6
	v_add_f32_e32 v5, v29, v5
	v_add_f32_e32 v6, v30, v6
	s_waitcnt lgkmcnt(1)
	v_add_f32_e32 v5, v5, v31
	v_add_f32_e32 v6, v6, v32
	v_add_f32_e32 v5, v5, v33
	v_add_f32_e32 v6, v6, v34
	;; [unrolled: 5-line block ×3, first 2 shown]
	v_add_f32_e32 v60, v5, v7
	v_add_f32_e32 v61, v6, v8
.LBB114_42:
	s_or_b32 exec_lo, exec_lo, s8
	s_lshl_b64 s[12:13], s[16:17], 8
	v_add_co_u32 v7, vcc_lo, v3, s12
	v_add_co_ci_u32_e64 v8, null, s13, v4, vcc_lo
	s_barrier
	v_add_co_u32 v5, vcc_lo, 0x100, v7
	v_add_co_ci_u32_e64 v6, null, 0, v8, vcc_lo
	s_and_b32 vcc_lo, exec_lo, s15
	buffer_gl0_inv
	s_cbranch_vccz .LBB114_60
; %bb.43:
	v_sub_co_u32 v3, vcc_lo, v7, v10
	s_ashr_i32 s11, s10, 31
	v_subrev_co_ci_u32_e64 v4, null, 0, v8, vcc_lo
	s_lshl_b64 s[12:13], s[10:11], 3
	v_or_b32_e32 v21, 32, v2
	v_add_co_u32 v3, vcc_lo, v3, s12
	v_add_co_ci_u32_e64 v4, null, s13, v4, vcc_lo
	s_sub_i32 s11, s10, 32
	v_add_co_u32 v3, vcc_lo, v3, -8
	v_add_co_ci_u32_e64 v4, null, -1, v4, vcc_lo
	v_cmp_gt_i32_e32 vcc_lo, s10, v21
	v_cmp_le_i32_e64 s8, s11, v9
	v_add_nc_u32_e32 v21, v11, v12
	v_cndmask_b32_e32 v4, v4, v6, vcc_lo
	v_cndmask_b32_e32 v3, v3, v5, vcc_lo
	s_and_saveexec_b32 s18, s8
	s_xor_b32 s8, exec_lo, s18
; %bb.44:
	v_mov_b32_e32 v22, 0
	v_mov_b32_e32 v23, v22
	ds_write_b64 v21, v[22:23]
; %bb.45:
	s_andn2_saveexec_b32 s8, s8
	s_cbranch_execz .LBB114_47
; %bb.46:
	global_load_dwordx2 v[22:23], v[3:4], off
	s_waitcnt vmcnt(0)
	ds_write_b64 v21, v[22:23]
.LBB114_47:
	s_or_b32 exec_lo, exec_lo, s8
	v_add_nc_u32_e32 v22, 8, v9
	v_cmp_le_i32_e64 s8, s11, v22
	s_and_saveexec_b32 s18, s8
	s_xor_b32 s8, exec_lo, s18
; %bb.48:
	v_mov_b32_e32 v22, 0
	v_mov_b32_e32 v23, v22
	ds_write_b64 v21, v[22:23] offset:2112
; %bb.49:
	s_andn2_saveexec_b32 s18, s8
	s_cbranch_execz .LBB114_51
; %bb.50:
	s_lshl_b64 s[28:29], s[16:17], 6
	v_add_co_u32 v22, s8, v3, s28
	v_add_co_ci_u32_e64 v23, null, s29, v4, s8
	global_load_dwordx2 v[22:23], v[22:23], off
	s_waitcnt vmcnt(0)
	ds_write_b64 v21, v[22:23] offset:2112
.LBB114_51:
	s_or_b32 exec_lo, exec_lo, s18
	v_add_nc_u32_e32 v22, 16, v9
	v_cmp_le_i32_e64 s8, s11, v22
	s_and_saveexec_b32 s18, s8
	s_xor_b32 s8, exec_lo, s18
; %bb.52:
	v_mov_b32_e32 v22, 0
	v_mov_b32_e32 v23, v22
	ds_write_b64 v21, v[22:23] offset:4224
; %bb.53:
	s_andn2_saveexec_b32 s18, s8
	s_cbranch_execz .LBB114_55
; %bb.54:
	s_lshl_b64 s[28:29], s[16:17], 7
	v_add_co_u32 v22, s8, v3, s28
	v_add_co_ci_u32_e64 v23, null, s29, v4, s8
	global_load_dwordx2 v[22:23], v[22:23], off
	s_waitcnt vmcnt(0)
	ds_write_b64 v21, v[22:23] offset:4224
.LBB114_55:
	s_or_b32 exec_lo, exec_lo, s18
	v_add_nc_u32_e32 v22, 24, v9
	v_cmp_le_i32_e64 s8, s11, v22
	s_and_saveexec_b32 s11, s8
	s_xor_b32 s8, exec_lo, s11
; %bb.56:
	v_mov_b32_e32 v22, 0
	v_mov_b32_e32 v23, v22
	ds_write_b64 v21, v[22:23] offset:6336
                                        ; implicit-def: $vgpr21
; %bb.57:
	s_andn2_saveexec_b32 s8, s8
	s_cbranch_execz .LBB114_59
; %bb.58:
	v_mad_u64_u32 v[22:23], null, 0xc0, s16, v[3:4]
	v_mad_u64_u32 v[27:28], null, 0xc0, s17, v[23:24]
	v_mov_b32_e32 v23, v27
	global_load_dwordx2 v[22:23], v[22:23], off
	s_waitcnt vmcnt(0)
	ds_write_b64 v21, v[22:23] offset:6336
.LBB114_59:
	s_or_b32 exec_lo, exec_lo, s8
	v_add_co_u32 v3, s8, v3, v10
	v_add_co_ci_u32_e64 v4, null, 0, v4, s8
	v_sub_co_u32 v3, s8, v3, s12
	v_subrev_co_ci_u32_e64 v4, null, s13, v4, s8
	v_add_co_u32 v3, s8, 0x108, v3
	v_add_co_ci_u32_e64 v4, null, 0, v4, s8
	v_cndmask_b32_e32 v3, v3, v5, vcc_lo
	v_cndmask_b32_e32 v4, v4, v6, vcc_lo
	v_mul_u32_u24_e32 v21, 0x420, v9
	v_mad_u32_u24 v22, 0x108, v9, v11
	s_branch .LBB114_62
.LBB114_60:
                                        ; implicit-def: $vgpr3_vgpr4
	v_mul_u32_u24_e32 v21, 0x420, v9
	v_mad_u32_u24 v22, 0x108, v9, v11
	s_cbranch_execz .LBB114_62
; %bb.61:
	s_lshl_b64 s[12:13], s[16:17], 6
	v_add_co_u32 v3, vcc_lo, v7, s12
	v_add_co_ci_u32_e64 v4, null, s13, v8, vcc_lo
	v_add_co_u32 v27, vcc_lo, v3, s12
	v_add_co_ci_u32_e64 v28, null, s13, v4, vcc_lo
	;; [unrolled: 2-line block ×3, first 2 shown]
	s_clause 0x3
	global_load_dwordx2 v[7:8], v[7:8], off offset:256
	global_load_dwordx2 v[31:32], v[3:4], off offset:256
	;; [unrolled: 1-line block ×4, first 2 shown]
	v_mov_b32_e32 v3, v5
	v_mov_b32_e32 v4, v6
	s_waitcnt vmcnt(3)
	ds_write_b64 v22, v[7:8]
	s_waitcnt vmcnt(2)
	ds_write_b64 v22, v[31:32] offset:2112
	s_waitcnt vmcnt(1)
	ds_write_b64 v22, v[27:28] offset:4224
	;; [unrolled: 2-line block ×3, first 2 shown]
.LBB114_62:
	v_mul_u32_u24_e32 v6, 0x108, v18
	v_add_nc_u32_e32 v21, v11, v21
	v_lshl_add_u32 v5, v13, 3, v25
	s_waitcnt lgkmcnt(0)
	s_barrier
	buffer_gl0_inv
	s_and_saveexec_b32 s8, s2
	s_cbranch_execnz .LBB114_87
; %bb.63:
	s_or_b32 exec_lo, exec_lo, s8
	v_add_nc_u32_e32 v23, v11, v6
	s_and_saveexec_b32 s2, s3
	s_cbranch_execnz .LBB114_88
.LBB114_64:
	s_or_b32 exec_lo, exec_lo, s2
	s_and_saveexec_b32 s2, s4
	s_cbranch_execnz .LBB114_89
.LBB114_65:
	s_or_b32 exec_lo, exec_lo, s2
	v_add_nc_u32_e32 v27, 0x2380, v19
	s_and_saveexec_b32 s2, s5
	s_cbranch_execz .LBB114_67
.LBB114_66:
	ds_read_b64 v[6:7], v20
	s_waitcnt lgkmcnt(0)
	ds_write_b64 v5, v[6:7] offset:24
.LBB114_67:
	s_or_b32 exec_lo, exec_lo, s2
	s_waitcnt lgkmcnt(0)
	s_barrier
	buffer_gl0_inv
	ds_read_b64 v[18:19], v21
	ds_read_b128 v[5:8], v27 offset:256
	ds_read2_b64 v[28:31], v23 offset1:33
	ds_read_b128 v[32:35], v27 offset:272
	ds_read_b64 v[36:37], v20
	v_cmp_eq_u32_e64 s2, 1, v9
	s_waitcnt lgkmcnt(0)
	s_barrier
	buffer_gl0_inv
	v_mul_f32_e32 v13, v6, v19
	v_mul_f32_e32 v19, v5, v19
	;; [unrolled: 1-line block ×5, first 2 shown]
	v_fma_f32 v5, v5, v18, -v13
	v_fmac_f32_e32 v19, v6, v18
	v_mul_f32_e32 v31, v32, v31
	v_fma_f32 v7, v7, v28, -v38
	v_fmac_f32_e32 v29, v8, v28
	v_add_f32_e32 v5, 0, v5
	v_add_f32_e32 v8, 0, v19
	v_mul_f32_e32 v6, v35, v37
	v_mul_f32_e32 v13, v34, v37
	v_fma_f32 v18, v32, v30, -v39
	v_fmac_f32_e32 v31, v33, v30
	v_add_f32_e32 v5, v5, v7
	v_add_f32_e32 v7, v8, v29
	v_fma_f32 v6, v34, v36, -v6
	v_fmac_f32_e32 v13, v35, v36
	v_add_f32_e32 v5, v5, v18
	v_add_f32_e32 v7, v7, v31
	;; [unrolled: 1-line block ×4, first 2 shown]
	ds_write_b64 v26, v[5:6]
	s_waitcnt lgkmcnt(0)
	s_barrier
	buffer_gl0_inv
	s_and_saveexec_b32 s3, s2
	s_cbranch_execz .LBB114_69
; %bb.68:
	ds_read2_b64 v[5:8], v25 offset1:7
	ds_read2_b64 v[28:31], v25 offset0:1 offset1:2
	ds_read2_b64 v[32:35], v25 offset0:3 offset1:4
	;; [unrolled: 1-line block ×3, first 2 shown]
	s_waitcnt lgkmcnt(2)
	v_add_f32_e32 v5, v28, v5
	v_add_f32_e32 v6, v29, v6
	v_add_f32_e32 v5, v30, v5
	v_add_f32_e32 v6, v31, v6
	s_waitcnt lgkmcnt(1)
	v_add_f32_e32 v5, v5, v32
	v_add_f32_e32 v6, v6, v33
	v_add_f32_e32 v5, v5, v34
	v_add_f32_e32 v6, v6, v35
	;; [unrolled: 5-line block ×3, first 2 shown]
	v_add_f32_e32 v60, v5, v7
	v_add_f32_e32 v61, v6, v8
.LBB114_69:
	s_or_b32 exec_lo, exec_lo, s3
	v_add_co_u32 v5, vcc_lo, 0xffffff00, v3
	v_add_co_ci_u32_e64 v6, null, -1, v4, vcc_lo
	s_and_b32 vcc_lo, exec_lo, s15
	s_barrier
	buffer_gl0_inv
	s_cbranch_vccz .LBB114_90
; %bb.70:
	v_sub_co_u32 v7, vcc_lo, v3, v10
	s_ashr_i32 s11, s10, 31
	v_subrev_co_ci_u32_e64 v8, null, 0, v4, vcc_lo
	s_lshl_b64 s[4:5], s[10:11], 3
	s_sub_i32 s8, s10, 32
	v_add_co_u32 v7, vcc_lo, v7, s4
	v_add_co_ci_u32_e64 v8, null, s5, v8, vcc_lo
	v_cmp_le_i32_e64 s3, s8, v9
	v_add_co_u32 v7, vcc_lo, 0xfffffef8, v7
	v_add_co_ci_u32_e64 v8, null, -1, v8, vcc_lo
	v_cmp_gt_i32_e32 vcc_lo, s10, v2
	v_add_nc_u32_e32 v12, v11, v12
	v_cndmask_b32_e32 v8, v8, v6, vcc_lo
	v_cndmask_b32_e32 v7, v7, v5, vcc_lo
	s_and_saveexec_b32 s11, s3
	s_xor_b32 s3, exec_lo, s11
; %bb.71:
	v_mov_b32_e32 v18, 0
	v_mov_b32_e32 v19, v18
	ds_write_b64 v12, v[18:19]
; %bb.72:
	s_andn2_saveexec_b32 s3, s3
	s_cbranch_execz .LBB114_74
; %bb.73:
	global_load_dwordx2 v[18:19], v[7:8], off
	s_waitcnt vmcnt(0)
	ds_write_b64 v12, v[18:19]
.LBB114_74:
	s_or_b32 exec_lo, exec_lo, s3
	v_add_nc_u32_e32 v2, 8, v9
	v_cmp_le_i32_e64 s3, s8, v2
	s_and_saveexec_b32 s11, s3
	s_xor_b32 s3, exec_lo, s11
; %bb.75:
	v_mov_b32_e32 v18, 0
	v_mov_b32_e32 v19, v18
	ds_write_b64 v12, v[18:19] offset:2112
; %bb.76:
	s_andn2_saveexec_b32 s11, s3
	s_cbranch_execz .LBB114_78
; %bb.77:
	s_lshl_b64 s[12:13], s[16:17], 6
	v_add_co_u32 v18, s3, v7, s12
	v_add_co_ci_u32_e64 v19, null, s13, v8, s3
	global_load_dwordx2 v[18:19], v[18:19], off
	s_waitcnt vmcnt(0)
	ds_write_b64 v12, v[18:19] offset:2112
.LBB114_78:
	s_or_b32 exec_lo, exec_lo, s11
	v_add_nc_u32_e32 v11, 16, v9
	v_cmp_le_i32_e64 s3, s8, v11
	s_and_saveexec_b32 s11, s3
	s_xor_b32 s3, exec_lo, s11
; %bb.79:
	v_mov_b32_e32 v18, 0
	v_mov_b32_e32 v19, v18
	ds_write_b64 v12, v[18:19] offset:4224
; %bb.80:
	s_andn2_saveexec_b32 s11, s3
	s_cbranch_execz .LBB114_82
; %bb.81:
	s_lshl_b64 s[12:13], s[16:17], 7
	v_add_co_u32 v18, s3, v7, s12
	v_add_co_ci_u32_e64 v19, null, s13, v8, s3
	global_load_dwordx2 v[18:19], v[18:19], off
	s_waitcnt vmcnt(0)
	ds_write_b64 v12, v[18:19] offset:4224
.LBB114_82:
	s_or_b32 exec_lo, exec_lo, s11
	v_add_nc_u32_e32 v13, 24, v9
	v_cmp_le_i32_e64 s3, s8, v13
	s_and_saveexec_b32 s8, s3
	s_xor_b32 s3, exec_lo, s8
; %bb.83:
	v_mov_b32_e32 v18, 0
	v_mov_b32_e32 v19, v18
	ds_write_b64 v12, v[18:19] offset:6336
                                        ; implicit-def: $vgpr12
; %bb.84:
	s_andn2_saveexec_b32 s3, s3
	s_cbranch_execz .LBB114_86
; %bb.85:
	v_mad_u64_u32 v[18:19], null, 0xc0, s16, v[7:8]
	v_mad_u64_u32 v[28:29], null, 0xc0, s17, v[19:20]
	v_mov_b32_e32 v19, v28
	global_load_dwordx2 v[18:19], v[18:19], off
	s_waitcnt vmcnt(0)
	ds_write_b64 v12, v[18:19] offset:6336
.LBB114_86:
	s_or_b32 exec_lo, exec_lo, s3
	v_add_co_u32 v7, s3, v7, v10
	v_add_co_ci_u32_e64 v8, null, 0, v8, s3
	v_sub_co_u32 v7, s3, v7, s4
	v_subrev_co_ci_u32_e64 v8, null, s5, v8, s3
	v_add_co_u32 v7, s3, v7, 8
	v_add_co_ci_u32_e64 v8, null, 0, v8, s3
	v_cndmask_b32_e32 v18, v7, v5, vcc_lo
	v_cndmask_b32_e32 v19, v8, v6, vcc_lo
	s_branch .LBB114_92
.LBB114_87:
	ds_read_b64 v[7:8], v21
	s_waitcnt lgkmcnt(0)
	ds_write_b64 v5, v[7:8]
	s_or_b32 exec_lo, exec_lo, s8
	v_add_nc_u32_e32 v23, v11, v6
	s_and_saveexec_b32 s2, s3
	s_cbranch_execz .LBB114_64
.LBB114_88:
	ds_read_b64 v[6:7], v23
	s_waitcnt lgkmcnt(0)
	ds_write_b64 v5, v[6:7] offset:8
	s_or_b32 exec_lo, exec_lo, s2
	s_and_saveexec_b32 s2, s4
	s_cbranch_execz .LBB114_65
.LBB114_89:
	ds_read_b64 v[6:7], v23 offset:264
	s_waitcnt lgkmcnt(0)
	ds_write_b64 v5, v[6:7] offset:16
	s_or_b32 exec_lo, exec_lo, s2
	v_add_nc_u32_e32 v27, 0x2380, v19
	s_and_saveexec_b32 s2, s5
	s_cbranch_execnz .LBB114_66
	s_branch .LBB114_67
.LBB114_90:
                                        ; implicit-def: $vgpr18_vgpr19
                                        ; implicit-def: $vgpr2
                                        ; implicit-def: $vgpr11
                                        ; implicit-def: $vgpr13
	s_cbranch_execz .LBB114_92
; %bb.91:
	s_lshl_b64 s[4:5], s[16:17], 6
	v_mov_b32_e32 v19, v6
	v_add_co_u32 v7, vcc_lo, v3, s4
	v_add_co_ci_u32_e64 v8, null, s5, v4, vcc_lo
	v_add_nc_u32_e32 v2, 8, v9
	v_add_co_u32 v10, vcc_lo, v7, s4
	v_add_co_ci_u32_e64 v11, null, s5, v8, vcc_lo
	v_mov_b32_e32 v18, v5
	v_add_co_u32 v12, vcc_lo, v10, s4
	v_add_co_ci_u32_e64 v13, null, s5, v11, vcc_lo
	s_clause 0x3
	global_load_dwordx2 v[3:4], v[3:4], off offset:-256
	global_load_dwordx2 v[7:8], v[7:8], off offset:-256
	;; [unrolled: 1-line block ×4, first 2 shown]
	v_add_nc_u32_e32 v11, 16, v9
	v_add_nc_u32_e32 v13, 24, v9
	s_waitcnt vmcnt(3)
	ds_write_b64 v22, v[3:4]
	s_waitcnt vmcnt(2)
	ds_write_b64 v22, v[7:8] offset:2112
	s_waitcnt vmcnt(1)
	ds_write_b64 v22, v[28:29] offset:4224
	;; [unrolled: 2-line block ×3, first 2 shown]
.LBB114_92:
	v_lshlrev_b32_e32 v3, 3, v9
	v_lshlrev_b32_e32 v2, 3, v2
	s_waitcnt lgkmcnt(0)
	s_barrier
	buffer_gl0_inv
	v_add_nc_u32_e32 v5, v25, v3
	v_lshlrev_b32_e32 v4, 3, v11
	v_lshlrev_b32_e32 v6, 3, v13
	v_add_nc_u32_e32 v7, v25, v2
	ds_read_b64 v[28:29], v5
	ds_read_b64 v[30:31], v2 offset:9088
	ds_read_b64 v[32:33], v3 offset:9088
	v_add_nc_u32_e32 v8, v25, v4
	v_add_nc_u32_e32 v2, v25, v6
	ds_read_b64 v[34:35], v7
	ds_read_b64 v[36:37], v8
	ds_read_b64 v[38:39], v6 offset:9088
	ds_read_b64 v[40:41], v4 offset:9088
	ds_read_b64 v[42:43], v2
	ds_read_b128 v[10:13], v27 offset:256
	ds_read_b128 v[2:5], v27 offset:272
	ds_read2_b64 v[6:9], v23 offset1:33
	ds_read_b64 v[22:23], v21
	ds_read_b64 v[20:21], v20
	s_waitcnt lgkmcnt(0)
	s_barrier
	buffer_gl0_inv
	v_mul_f32_e32 v45, v41, v37
	v_mul_f32_e32 v27, v33, v29
	;; [unrolled: 1-line block ×6, first 2 shown]
	v_fma_f32 v27, v32, v28, -v27
	v_fmac_f32_e32 v29, v33, v28
	v_mul_f32_e32 v28, v40, v37
	v_fma_f32 v30, v30, v34, -v44
	v_fmac_f32_e32 v35, v31, v34
	v_add_f32_e32 v27, 0, v27
	v_add_f32_e32 v29, 0, v29
	v_mul_f32_e32 v31, v38, v43
	v_fma_f32 v32, v40, v36, -v45
	v_fmac_f32_e32 v28, v41, v36
	v_add_f32_e32 v27, v27, v30
	v_add_f32_e32 v29, v29, v35
	v_fma_f32 v30, v38, v42, -v46
	v_fmac_f32_e32 v31, v39, v42
	v_add_f32_e32 v27, v27, v32
	v_add_f32_e32 v28, v29, v28
	;; [unrolled: 1-line block ×4, first 2 shown]
	ds_write_b64 v26, v[27:28]
	s_waitcnt lgkmcnt(0)
	s_barrier
	buffer_gl0_inv
	s_and_saveexec_b32 s3, s2
	s_cbranch_execz .LBB114_94
; %bb.93:
	ds_read2_b64 v[27:30], v25 offset1:1
	ds_read2_b64 v[31:34], v25 offset0:2 offset1:3
	ds_read2_b64 v[35:38], v25 offset0:4 offset1:5
	s_waitcnt lgkmcnt(2)
	v_add_f32_e32 v27, v60, v27
	v_add_f32_e32 v28, v61, v28
	;; [unrolled: 1-line block ×4, first 2 shown]
	ds_read2_b64 v[27:30], v25 offset0:6 offset1:7
	s_waitcnt lgkmcnt(2)
	v_add_f32_e32 v31, v39, v31
	v_add_f32_e32 v32, v40, v32
	v_add_f32_e32 v31, v31, v33
	v_add_f32_e32 v32, v32, v34
	s_waitcnt lgkmcnt(1)
	v_add_f32_e32 v31, v31, v35
	v_add_f32_e32 v32, v32, v36
	v_add_f32_e32 v31, v31, v37
	v_add_f32_e32 v32, v32, v38
	;; [unrolled: 5-line block ×3, first 2 shown]
.LBB114_94:
	s_or_b32 exec_lo, exec_lo, s3
	v_mul_f32_e32 v27, v11, v23
	v_mul_f32_e32 v23, v10, v23
	;; [unrolled: 1-line block ×5, first 2 shown]
	v_fma_f32 v10, v10, v22, -v27
	v_fmac_f32_e32 v23, v11, v22
	v_mul_f32_e32 v9, v2, v9
	v_fma_f32 v12, v12, v6, -v28
	v_fmac_f32_e32 v7, v13, v6
	v_add_f32_e32 v10, 0, v10
	v_add_f32_e32 v6, 0, v23
	v_mul_f32_e32 v11, v5, v21
	v_mul_f32_e32 v13, v4, v21
	v_fma_f32 v2, v2, v8, -v29
	v_add_f32_e32 v10, v10, v12
	v_fmac_f32_e32 v9, v3, v8
	v_add_f32_e32 v3, v6, v7
	v_fma_f32 v4, v4, v20, -v11
	v_fmac_f32_e32 v13, v5, v20
	v_add_f32_e32 v2, v10, v2
	v_add_f32_e32 v3, v3, v9
	s_barrier
	buffer_gl0_inv
	v_add_f32_e32 v2, v2, v4
	v_add_f32_e32 v3, v3, v13
	ds_write_b64 v26, v[2:3]
	s_waitcnt lgkmcnt(0)
	s_barrier
	buffer_gl0_inv
	s_and_saveexec_b32 s2, s1
	s_cbranch_execz .LBB114_96
; %bb.95:
	ds_read2_b64 v[2:5], v25 offset1:1
	ds_read2_b64 v[6:9], v25 offset0:2 offset1:3
	ds_read2_b64 v[10:13], v25 offset0:4 offset1:5
	s_waitcnt lgkmcnt(2)
	v_add_f32_e32 v2, v60, v2
	v_add_f32_e32 v3, v61, v3
	;; [unrolled: 1-line block ×4, first 2 shown]
	ds_read2_b64 v[2:5], v25 offset0:6 offset1:7
	s_waitcnt lgkmcnt(2)
	v_add_f32_e32 v6, v20, v6
	v_add_f32_e32 v7, v21, v7
	v_add_f32_e32 v6, v6, v8
	v_add_f32_e32 v7, v7, v9
	s_waitcnt lgkmcnt(1)
	v_add_f32_e32 v6, v6, v10
	v_add_f32_e32 v7, v7, v11
	v_add_f32_e32 v6, v6, v12
	v_add_f32_e32 v7, v7, v13
	;; [unrolled: 5-line block ×3, first 2 shown]
.LBB114_96:
	s_or_b32 exec_lo, exec_lo, s2
	s_mul_hi_u32 s1, s23, s7
	s_mul_i32 s26, s26, s7
	s_mul_i32 s2, s23, s7
	s_add_i32 s1, s1, s26
	s_mul_hi_u32 s3, s2, s9
	s_mul_i32 s1, s1, s9
	s_mul_i32 s2, s2, s9
	s_add_i32 s3, s3, s1
	s_mul_hi_i32 s5, s23, s6
	s_lshl_b64 s[2:3], s[2:3], 3
	s_mul_i32 s4, s23, s6
	s_add_u32 s1, s34, s2
	s_addc_u32 s2, s35, s3
	s_lshl_b64 s[4:5], s[4:5], 3
	v_lshlrev_b32_e32 v95, 3, v0
	s_add_u32 s3, s1, s4
	s_addc_u32 s7, s2, s5
	s_add_i32 s1, s6, 1
	s_cmp_ge_u32 s1, s9
	s_barrier
	buffer_gl0_inv
	s_cbranch_scc1 .LBB114_154
; %bb.97:
	v_lshrrev_b32_e32 v2, 4, v24
	v_lshlrev_b32_e32 v12, 5, v1
	v_and_b32_e32 v4, 48, v0
	v_and_b32_e32 v6, 15, v0
	s_mul_i32 s1, s24, s21
	v_lshlrev_b32_e32 v3, 5, v2
	v_add_nc_u32_e32 v7, 0x100, v12
	v_lshlrev_b32_e32 v4, 3, v4
	v_add_nc_u32_e32 v9, 0x110, v12
	s_mul_hi_u32 s2, s24, s20
	v_mad_u32_u24 v103, 0x218, v6, v3
	v_mul_i32_i24_e32 v13, 0xffffffe8, v2
	v_mad_u64_u32 v[2:3], null, s16, v7, 0
	v_mad_u32_u24 v104, 0x218, v6, v4
	v_mad_u64_u32 v[4:5], null, s16, v9, 0
	s_mul_i32 s4, s25, s20
	s_add_i32 s1, s2, s1
	v_or_b32_e32 v8, 0x78, v95
	s_add_i32 s5, s1, s4
	s_mul_i32 s4, s24, s20
	v_cmp_gt_u32_e64 s1, 64, v24
	s_lshl_b64 s[4:5], s[4:5], 3
	v_mad_u32_u24 v105, 0x218, v6, v8
	v_sub_co_u32 v97, vcc_lo, v16, s4
	v_mad_u64_u32 v[6:7], null, s17, v7, v[3:4]
	v_mov_b32_e32 v3, v5
	v_subrev_co_ci_u32_e64 v98, null, s5, v17, vcc_lo
	v_add_nc_u32_e32 v16, 0x108, v12
	v_add_nc_u32_e32 v17, 0x118, v12
	v_mad_u64_u32 v[9:10], null, s17, v9, v[3:4]
	v_sub_co_u32 v20, vcc_lo, v2, v14
	v_mad_u64_u32 v[7:8], null, s16, v16, 0
	v_mad_u64_u32 v[10:11], null, s16, v17, 0
	v_sub_co_ci_u32_e64 v21, null, v6, v15, vcc_lo
	v_sub_co_u32 v22, vcc_lo, v4, v14
	v_mov_b32_e32 v2, v8
	v_add_nc_u32_e32 v8, 0x180, v12
	v_mov_b32_e32 v3, v11
	v_sub_co_ci_u32_e64 v23, null, v9, v15, vcc_lo
	v_add_nc_u32_e32 v9, 0x188, v12
	v_sub_co_u32 v11, vcc_lo, v7, v14
	v_mad_u64_u32 v[4:5], null, s17, v16, v[2:3]
	v_mad_u64_u32 v[5:6], null, s16, v8, 0
	v_add_nc_u32_e32 v25, 0x190, v12
	v_add_nc_u32_e32 v26, 0x198, v12
	;; [unrolled: 1-line block ×4, first 2 shown]
	v_mad_u64_u32 v[2:3], null, s17, v17, v[3:4]
	v_mov_b32_e32 v3, v6
	v_mad_u64_u32 v[6:7], null, s16, v9, 0
	v_sub_co_ci_u32_e64 v16, null, v4, v15, vcc_lo
	v_sub_co_u32 v17, vcc_lo, v10, v14
	v_sub_co_ci_u32_e64 v24, null, v2, v15, vcc_lo
	v_mad_u64_u32 v[2:3], null, s17, v8, v[3:4]
	v_mov_b32_e32 v3, v7
	v_mad_u64_u32 v[7:8], null, s16, v25, 0
	v_sub_co_u32 v27, vcc_lo, v5, v14
	v_mad_u64_u32 v[3:4], null, s17, v9, v[3:4]
	v_mad_u64_u32 v[9:10], null, s16, v26, 0
	v_sub_co_ci_u32_e64 v28, null, v2, v15, vcc_lo
	v_sub_co_u32 v29, vcc_lo, v6, v14
	v_mov_b32_e32 v2, v8
	v_sub_co_ci_u32_e64 v30, null, v3, v15, vcc_lo
	v_mov_b32_e32 v3, v10
	v_add_nc_u32_e32 v8, 0x200, v12
	v_add_nc_u32_e32 v10, 0x208, v12
	;; [unrolled: 1-line block ×4, first 2 shown]
	v_mad_u64_u32 v[4:5], null, s17, v25, v[2:3]
	v_mad_u64_u32 v[5:6], null, s16, v8, 0
	v_sub_co_u32 v25, vcc_lo, v7, v14
	v_lshlrev_b32_e32 v96, 2, v1
	v_add_nc_u32_e32 v99, 0x2180, v95
	v_mad_u64_u32 v[2:3], null, s17, v26, v[3:4]
	v_mov_b32_e32 v3, v6
	v_mad_u64_u32 v[6:7], null, s16, v10, 0
	v_sub_co_ci_u32_e64 v26, null, v4, v15, vcc_lo
	v_sub_co_u32 v31, vcc_lo, v9, v14
	v_sub_co_ci_u32_e64 v32, null, v2, v15, vcc_lo
	v_mad_u64_u32 v[2:3], null, s17, v8, v[3:4]
	v_mov_b32_e32 v3, v7
	v_mad_u64_u32 v[7:8], null, s16, v33, 0
	v_sub_co_u32 v35, vcc_lo, v5, v14
	v_mad_u64_u32 v[3:4], null, s17, v10, v[3:4]
	v_mad_u64_u32 v[9:10], null, s16, v34, 0
	v_sub_co_ci_u32_e64 v36, null, v2, v15, vcc_lo
	v_sub_co_u32 v37, vcc_lo, v6, v14
	v_mov_b32_e32 v2, v8
	v_sub_co_ci_u32_e64 v38, null, v3, v15, vcc_lo
	v_mov_b32_e32 v3, v10
	v_add_nc_u32_e32 v8, 0x280, v12
	v_add_nc_u32_e32 v10, 0x288, v12
	;; [unrolled: 1-line block ×4, first 2 shown]
	v_mad_u64_u32 v[4:5], null, s17, v33, v[2:3]
	v_mad_u64_u32 v[5:6], null, s16, v8, 0
	v_sub_co_u32 v33, vcc_lo, v7, v14
	v_mad_u32_u24 v102, 0x860, v1, v95
	v_or_b32_e32 v106, 3, v96
	v_mad_u64_u32 v[2:3], null, s17, v34, v[3:4]
	v_mov_b32_e32 v3, v6
	v_mad_u64_u32 v[6:7], null, s16, v10, 0
	v_sub_co_ci_u32_e64 v34, null, v4, v15, vcc_lo
	v_sub_co_u32 v39, vcc_lo, v9, v14
	v_sub_co_ci_u32_e64 v40, null, v2, v15, vcc_lo
	v_mad_u64_u32 v[2:3], null, s17, v8, v[3:4]
	v_mov_b32_e32 v3, v7
	v_mad_u64_u32 v[7:8], null, s16, v41, 0
	v_sub_co_u32 v42, vcc_lo, v5, v14
	v_mad_u64_u32 v[3:4], null, s17, v10, v[3:4]
	v_mad_u64_u32 v[9:10], null, s16, v12, 0
	v_sub_co_ci_u32_e64 v43, null, v2, v15, vcc_lo
	v_sub_co_u32 v6, vcc_lo, v6, v14
	v_mov_b32_e32 v2, v8
	v_sub_co_ci_u32_e64 v8, null, v3, v15, vcc_lo
	v_mov_b32_e32 v3, v10
	v_add_nc_u32_e32 v107, 16, v96
	v_add_nc_u32_e32 v108, 17, v96
	;; [unrolled: 1-line block ×4, first 2 shown]
	v_mad_u64_u32 v[4:5], null, s17, v41, v[2:3]
	v_add_nc_u32_e32 v111, 32, v96
	v_add_nc_u32_e32 v112, 33, v96
	;; [unrolled: 1-line block ×6, first 2 shown]
	v_mad_u64_u32 v[2:3], null, s17, v12, v[3:4]
	v_sub_co_u32 v3, vcc_lo, v7, v14
	v_sub_co_ci_u32_e64 v4, null, v4, v15, vcc_lo
	v_sub_co_u32 v5, vcc_lo, v9, v14
	v_sub_co_ci_u32_e64 v2, null, v2, v15, vcc_lo
	v_add_co_u32 v116, vcc_lo, v18, v20
	v_add_co_ci_u32_e64 v117, null, v19, v21, vcc_lo
	v_add_co_u32 v118, vcc_lo, v18, v22
	v_add_co_ci_u32_e64 v119, null, v19, v23, vcc_lo
	;; [unrolled: 2-line block ×16, first 2 shown]
	v_add_nc_u32_e32 v149, 50, v96
	v_add_nc_u32_e32 v150, v103, v13
	;; [unrolled: 1-line block ×3, first 2 shown]
	v_mov_b32_e32 v62, 0
	s_add_i32 s8, s9, -2
	s_add_i32 s11, s20, 64
	s_lshl_b64 s[4:5], s[16:17], 9
	s_cmp_eq_u32 s8, s6
	s_cselect_b32 s12, s22, 0
	s_and_saveexec_b32 s2, s0
	s_cbranch_execz .LBB114_102
.LBB114_98:
	v_cmp_le_i32_e32 vcc_lo, s12, v0
	s_cmp_lg_u32 s12, 0
	s_cselect_b32 s13, -1, 0
	s_and_b32 s13, s13, vcc_lo
	s_and_saveexec_b32 s15, s13
	s_xor_b32 s13, exec_lo, s15
; %bb.99:
	v_mov_b32_e32 v63, v62
	ds_write_b64 v99, v[62:63]
; %bb.100:
	s_andn2_saveexec_b32 s13, s13
	s_cbranch_execz .LBB114_102
; %bb.101:
	s_ashr_i32 s13, s11, 31
	s_mul_hi_u32 s15, s24, s11
	s_mul_i32 s13, s24, s13
	s_mul_i32 s17, s25, s11
	s_add_i32 s13, s15, s13
	s_mul_i32 s16, s24, s11
	s_add_i32 s17, s13, s17
	s_lshl_b64 s[16:17], s[16:17], 3
	v_add_co_u32 v2, vcc_lo, v97, s16
	v_add_co_ci_u32_e64 v3, null, s17, v98, vcc_lo
	global_load_dwordx2 v[2:3], v[2:3], off
	s_waitcnt vmcnt(0)
	ds_write_b64 v99, v[2:3]
.LBB114_102:                            ; =>This Inner Loop Header: Depth=1
	s_or_b32 exec_lo, exec_lo, s2
	s_cmp_eq_u32 s12, 0
	v_add_co_u32 v2, vcc_lo, v116, v95
	s_cselect_b32 s13, -1, 0
	s_cmp_lg_u32 s12, 0
	v_add_co_ci_u32_e64 v3, null, 0, v117, vcc_lo
	s_cselect_b32 s2, -1, 0
	s_waitcnt lgkmcnt(0)
	s_and_b32 vcc_lo, exec_lo, s2
	s_barrier
	buffer_gl0_inv
	s_cbranch_vccz .LBB114_110
; %bb.103:                              ;   in Loop: Header=BB114_102 Depth=1
	v_mov_b32_e32 v63, 0
	v_mov_b32_e32 v65, 0
	;; [unrolled: 1-line block ×4, first 2 shown]
	s_mov_b32 s15, exec_lo
	v_cmpx_gt_i32_e64 s12, v96
	s_cbranch_execz .LBB114_105
; %bb.104:                              ;   in Loop: Header=BB114_102 Depth=1
	global_load_dwordx2 v[65:66], v[2:3], off
.LBB114_105:                            ;   in Loop: Header=BB114_102 Depth=1
	s_or_b32 exec_lo, exec_lo, s15
	v_or_b32_e32 v4, 1, v96
	s_mov_b32 s15, exec_lo
	v_cmpx_gt_i32_e64 s12, v4
	s_cbranch_execz .LBB114_107
; %bb.106:                              ;   in Loop: Header=BB114_102 Depth=1
	v_add_co_u32 v4, vcc_lo, v120, v95
	v_add_co_ci_u32_e64 v5, null, 0, v121, vcc_lo
	global_load_dwordx2 v[63:64], v[4:5], off
.LBB114_107:                            ;   in Loop: Header=BB114_102 Depth=1
	s_or_b32 exec_lo, exec_lo, s15
	v_mov_b32_e32 v67, 0
	v_or_b32_e32 v4, 2, v96
	v_mov_b32_e32 v68, 0
	s_mov_b32 s15, exec_lo
	v_cmpx_gt_i32_e64 s12, v4
	s_cbranch_execz .LBB114_109
; %bb.108:                              ;   in Loop: Header=BB114_102 Depth=1
	v_add_co_u32 v4, vcc_lo, v118, v95
	v_add_co_ci_u32_e64 v5, null, 0, v119, vcc_lo
	global_load_dwordx2 v[67:68], v[4:5], off
.LBB114_109:                            ;   in Loop: Header=BB114_102 Depth=1
	s_or_b32 exec_lo, exec_lo, s15
	v_cmp_gt_i32_e64 s15, s12, v106
	s_branch .LBB114_112
.LBB114_110:                            ;   in Loop: Header=BB114_102 Depth=1
	s_mov_b32 s15, 0
                                        ; implicit-def: $vgpr67_vgpr68
                                        ; implicit-def: $vgpr63_vgpr64
                                        ; implicit-def: $vgpr65_vgpr66
	s_cbranch_execz .LBB114_112
; %bb.111:                              ;   in Loop: Header=BB114_102 Depth=1
	v_add_co_u32 v4, vcc_lo, v120, v95
	v_add_co_ci_u32_e64 v5, null, 0, v121, vcc_lo
	v_add_co_u32 v6, vcc_lo, v118, v95
	v_add_co_ci_u32_e64 v7, null, 0, v119, vcc_lo
	global_load_dwordx2 v[65:66], v[2:3], off
	global_load_dwordx2 v[63:64], v[4:5], off
	;; [unrolled: 1-line block ×3, first 2 shown]
	s_or_b32 s15, s15, exec_lo
.LBB114_112:                            ;   in Loop: Header=BB114_102 Depth=1
	v_mov_b32_e32 v69, 0
	v_mov_b32_e32 v70, 0
	s_and_saveexec_b32 s16, s15
	s_cbranch_execz .LBB114_114
; %bb.113:                              ;   in Loop: Header=BB114_102 Depth=1
	v_add_co_u32 v2, vcc_lo, v122, v95
	v_add_co_ci_u32_e64 v3, null, 0, v123, vcc_lo
	global_load_dwordx2 v[69:70], v[2:3], off
.LBB114_114:                            ;   in Loop: Header=BB114_102 Depth=1
	s_or_b32 exec_lo, exec_lo, s16
	ds_read_b64 v[2:3], v101
	v_cndmask_b32_e64 v42, 0, 1, s2
	s_waitcnt vmcnt(0) lgkmcnt(0)
	v_mul_f32_e32 v4, v3, v66
	v_mul_f32_e32 v11, v3, v65
	;; [unrolled: 1-line block ×8, first 2 shown]
	v_fma_f32 v10, v2, v65, -v4
	v_fmac_f32_e32 v11, v2, v66
	v_fma_f32 v12, v2, v63, -v5
	v_fmac_f32_e32 v13, v2, v64
	;; [unrolled: 2-line block ×4, first 2 shown]
	ds_read_b128 v[6:9], v100
	ds_read_b128 v[2:5], v100 offset:16
	ds_write2_b64 v102, v[10:11], v[12:13] offset1:67
	ds_write2_b64 v102, v[14:15], v[16:17] offset0:134 offset1:201
	s_waitcnt lgkmcnt(0)
	s_barrier
	buffer_gl0_inv
	ds_read2_b64 v[22:25], v103 offset1:1
	ds_read2_b64 v[14:17], v103 offset0:2 offset1:3
	v_add_co_u32 v10, vcc_lo, v124, v95
	v_add_co_ci_u32_e64 v11, null, 0, v125, vcc_lo
	s_andn2_b32 vcc_lo, exec_lo, s2
	s_waitcnt lgkmcnt(0)
	s_barrier
	buffer_gl0_inv
	s_cbranch_vccnz .LBB114_122
; %bb.115:                              ;   in Loop: Header=BB114_102 Depth=1
	v_mov_b32_e32 v71, 0
	v_mov_b32_e32 v73, 0
	;; [unrolled: 1-line block ×4, first 2 shown]
	s_mov_b32 s2, exec_lo
	v_cmpx_gt_i32_e64 s12, v107
	s_cbranch_execz .LBB114_117
; %bb.116:                              ;   in Loop: Header=BB114_102 Depth=1
	global_load_dwordx2 v[73:74], v[10:11], off
.LBB114_117:                            ;   in Loop: Header=BB114_102 Depth=1
	s_or_b32 exec_lo, exec_lo, s2
	s_mov_b32 s2, exec_lo
	v_cmpx_gt_i32_e64 s12, v108
	s_cbranch_execz .LBB114_119
; %bb.118:                              ;   in Loop: Header=BB114_102 Depth=1
	v_add_co_u32 v12, vcc_lo, v126, v95
	v_add_co_ci_u32_e64 v13, null, 0, v127, vcc_lo
	global_load_dwordx2 v[71:72], v[12:13], off
.LBB114_119:                            ;   in Loop: Header=BB114_102 Depth=1
	s_or_b32 exec_lo, exec_lo, s2
	v_mov_b32_e32 v75, 0
	v_mov_b32_e32 v76, 0
	s_mov_b32 s2, exec_lo
	v_cmpx_gt_i32_e64 s12, v109
	s_cbranch_execz .LBB114_121
; %bb.120:                              ;   in Loop: Header=BB114_102 Depth=1
	v_add_co_u32 v12, vcc_lo, v128, v95
	v_add_co_ci_u32_e64 v13, null, 0, v129, vcc_lo
	global_load_dwordx2 v[75:76], v[12:13], off
.LBB114_121:                            ;   in Loop: Header=BB114_102 Depth=1
	s_or_b32 exec_lo, exec_lo, s2
	v_cmp_gt_i32_e64 s2, s12, v110
	s_branch .LBB114_124
.LBB114_122:                            ;   in Loop: Header=BB114_102 Depth=1
	s_mov_b32 s2, 0
                                        ; implicit-def: $vgpr75_vgpr76
                                        ; implicit-def: $vgpr71_vgpr72
                                        ; implicit-def: $vgpr73_vgpr74
	s_cbranch_execz .LBB114_124
; %bb.123:                              ;   in Loop: Header=BB114_102 Depth=1
	v_add_co_u32 v12, vcc_lo, v126, v95
	v_add_co_ci_u32_e64 v13, null, 0, v127, vcc_lo
	v_add_co_u32 v18, vcc_lo, v128, v95
	v_add_co_ci_u32_e64 v19, null, 0, v129, vcc_lo
	global_load_dwordx2 v[73:74], v[10:11], off
	global_load_dwordx2 v[71:72], v[12:13], off
	;; [unrolled: 1-line block ×3, first 2 shown]
	s_or_b32 s2, s2, exec_lo
.LBB114_124:                            ;   in Loop: Header=BB114_102 Depth=1
	v_mov_b32_e32 v77, 0
	v_mov_b32_e32 v78, 0
	s_and_saveexec_b32 s15, s2
	s_cbranch_execz .LBB114_126
; %bb.125:                              ;   in Loop: Header=BB114_102 Depth=1
	v_add_co_u32 v10, vcc_lo, v130, v95
	v_add_co_ci_u32_e64 v11, null, 0, v131, vcc_lo
	global_load_dwordx2 v[77:78], v[10:11], off
.LBB114_126:                            ;   in Loop: Header=BB114_102 Depth=1
	s_or_b32 exec_lo, exec_lo, s15
	ds_read_b64 v[10:11], v101
	v_cmp_ne_u32_e32 vcc_lo, 1, v42
	s_and_b32 vcc_lo, exec_lo, vcc_lo
	s_waitcnt vmcnt(0) lgkmcnt(0)
	v_mul_f32_e32 v12, v11, v74
	v_mul_f32_e32 v27, v11, v73
	;; [unrolled: 1-line block ×8, first 2 shown]
	v_fma_f32 v26, v10, v73, -v12
	v_fmac_f32_e32 v27, v10, v74
	v_fma_f32 v28, v10, v71, -v13
	v_fmac_f32_e32 v29, v10, v72
	;; [unrolled: 2-line block ×4, first 2 shown]
	ds_read_b128 v[18:21], v100 offset:128
	ds_read_b128 v[10:13], v100 offset:144
	ds_write2_b64 v102, v[26:27], v[28:29] offset1:67
	ds_write2_b64 v102, v[30:31], v[32:33] offset0:134 offset1:201
	s_waitcnt lgkmcnt(0)
	s_barrier
	buffer_gl0_inv
	ds_read2_b64 v[38:41], v103 offset1:1
	ds_read2_b64 v[34:37], v103 offset0:2 offset1:3
	v_add_co_u32 v26, s2, v132, v95
	v_add_co_ci_u32_e64 v27, null, 0, v133, s2
	s_waitcnt lgkmcnt(0)
	s_barrier
	buffer_gl0_inv
	s_cbranch_vccnz .LBB114_134
; %bb.127:                              ;   in Loop: Header=BB114_102 Depth=1
	v_mov_b32_e32 v79, 0
	v_mov_b32_e32 v81, 0
	;; [unrolled: 1-line block ×4, first 2 shown]
	s_mov_b32 s2, exec_lo
	v_cmpx_gt_i32_e64 s12, v111
	s_cbranch_execz .LBB114_129
; %bb.128:                              ;   in Loop: Header=BB114_102 Depth=1
	global_load_dwordx2 v[81:82], v[26:27], off
.LBB114_129:                            ;   in Loop: Header=BB114_102 Depth=1
	s_or_b32 exec_lo, exec_lo, s2
	s_mov_b32 s2, exec_lo
	v_cmpx_gt_i32_e64 s12, v112
	s_cbranch_execz .LBB114_131
; %bb.130:                              ;   in Loop: Header=BB114_102 Depth=1
	v_add_co_u32 v28, vcc_lo, v134, v95
	v_add_co_ci_u32_e64 v29, null, 0, v135, vcc_lo
	global_load_dwordx2 v[79:80], v[28:29], off
.LBB114_131:                            ;   in Loop: Header=BB114_102 Depth=1
	s_or_b32 exec_lo, exec_lo, s2
	v_mov_b32_e32 v83, 0
	v_mov_b32_e32 v84, 0
	s_mov_b32 s2, exec_lo
	v_cmpx_gt_i32_e64 s12, v113
	s_cbranch_execz .LBB114_133
; %bb.132:                              ;   in Loop: Header=BB114_102 Depth=1
	v_add_co_u32 v28, vcc_lo, v136, v95
	v_add_co_ci_u32_e64 v29, null, 0, v137, vcc_lo
	global_load_dwordx2 v[83:84], v[28:29], off
.LBB114_133:                            ;   in Loop: Header=BB114_102 Depth=1
	s_or_b32 exec_lo, exec_lo, s2
	v_cmp_gt_i32_e64 s2, s12, v114
	s_branch .LBB114_136
.LBB114_134:                            ;   in Loop: Header=BB114_102 Depth=1
	s_mov_b32 s2, 0
                                        ; implicit-def: $vgpr83_vgpr84
                                        ; implicit-def: $vgpr79_vgpr80
                                        ; implicit-def: $vgpr81_vgpr82
	s_cbranch_execz .LBB114_136
; %bb.135:                              ;   in Loop: Header=BB114_102 Depth=1
	v_add_co_u32 v28, vcc_lo, v134, v95
	v_add_co_ci_u32_e64 v29, null, 0, v135, vcc_lo
	v_add_co_u32 v30, vcc_lo, v136, v95
	v_add_co_ci_u32_e64 v31, null, 0, v137, vcc_lo
	global_load_dwordx2 v[81:82], v[26:27], off
	global_load_dwordx2 v[79:80], v[28:29], off
	;; [unrolled: 1-line block ×3, first 2 shown]
	s_or_b32 s2, s2, exec_lo
.LBB114_136:                            ;   in Loop: Header=BB114_102 Depth=1
	v_mov_b32_e32 v85, 0
	v_mov_b32_e32 v86, 0
	s_and_saveexec_b32 s15, s2
	s_cbranch_execz .LBB114_138
; %bb.137:                              ;   in Loop: Header=BB114_102 Depth=1
	v_add_co_u32 v26, vcc_lo, v138, v95
	v_add_co_ci_u32_e64 v27, null, 0, v139, vcc_lo
	global_load_dwordx2 v[85:86], v[26:27], off
.LBB114_138:                            ;   in Loop: Header=BB114_102 Depth=1
	s_or_b32 exec_lo, exec_lo, s15
	ds_read_b64 v[26:27], v101
	v_cmp_ne_u32_e32 vcc_lo, 1, v42
	v_add_co_u32 v42, s2, v140, v95
	s_and_b32 vcc_lo, exec_lo, vcc_lo
	s_waitcnt vmcnt(0) lgkmcnt(0)
	v_mul_f32_e32 v28, v27, v82
	v_mul_f32_e32 v44, v27, v81
	;; [unrolled: 1-line block ×8, first 2 shown]
	v_fma_f32 v43, v26, v81, -v28
	v_fmac_f32_e32 v44, v26, v82
	v_fma_f32 v45, v26, v79, -v29
	v_fmac_f32_e32 v46, v26, v80
	;; [unrolled: 2-line block ×4, first 2 shown]
	ds_read_b128 v[30:33], v100 offset:256
	ds_read_b128 v[26:29], v100 offset:272
	ds_write2_b64 v102, v[43:44], v[45:46] offset1:67
	ds_write2_b64 v102, v[47:48], v[49:50] offset0:134 offset1:201
	s_waitcnt lgkmcnt(0)
	s_barrier
	buffer_gl0_inv
	ds_read2_b64 v[54:57], v103 offset1:1
	ds_read2_b64 v[50:53], v103 offset0:2 offset1:3
	v_add_co_ci_u32_e64 v43, null, 0, v141, s2
	s_waitcnt lgkmcnt(0)
	s_barrier
	buffer_gl0_inv
	s_cbranch_vccnz .LBB114_146
; %bb.139:                              ;   in Loop: Header=BB114_102 Depth=1
	v_mov_b32_e32 v87, 0
	v_mov_b32_e32 v89, 0
	;; [unrolled: 1-line block ×4, first 2 shown]
	s_mov_b32 s2, exec_lo
	v_cmpx_gt_i32_e64 s12, v115
	s_cbranch_execz .LBB114_141
; %bb.140:                              ;   in Loop: Header=BB114_102 Depth=1
	global_load_dwordx2 v[89:90], v[42:43], off
.LBB114_141:                            ;   in Loop: Header=BB114_102 Depth=1
	s_or_b32 exec_lo, exec_lo, s2
	s_mov_b32 s2, exec_lo
	v_cmpx_gt_i32_e64 s12, v148
	s_cbranch_execz .LBB114_143
; %bb.142:                              ;   in Loop: Header=BB114_102 Depth=1
	v_add_co_u32 v44, vcc_lo, v142, v95
	v_add_co_ci_u32_e64 v45, null, 0, v143, vcc_lo
	global_load_dwordx2 v[87:88], v[44:45], off
.LBB114_143:                            ;   in Loop: Header=BB114_102 Depth=1
	s_or_b32 exec_lo, exec_lo, s2
	v_mov_b32_e32 v91, 0
	v_mov_b32_e32 v92, 0
	s_mov_b32 s2, exec_lo
	v_cmpx_gt_i32_e64 s12, v149
	s_cbranch_execz .LBB114_145
; %bb.144:                              ;   in Loop: Header=BB114_102 Depth=1
	v_add_co_u32 v44, vcc_lo, v144, v95
	v_add_co_ci_u32_e64 v45, null, 0, v145, vcc_lo
	global_load_dwordx2 v[91:92], v[44:45], off
.LBB114_145:                            ;   in Loop: Header=BB114_102 Depth=1
	s_or_b32 exec_lo, exec_lo, s2
	v_cmp_gt_i32_e64 s2, s12, v151
	s_branch .LBB114_148
.LBB114_146:                            ;   in Loop: Header=BB114_102 Depth=1
	s_mov_b32 s2, 0
                                        ; implicit-def: $vgpr91_vgpr92
                                        ; implicit-def: $vgpr87_vgpr88
                                        ; implicit-def: $vgpr89_vgpr90
	s_cbranch_execz .LBB114_148
; %bb.147:                              ;   in Loop: Header=BB114_102 Depth=1
	v_add_co_u32 v44, vcc_lo, v142, v95
	v_add_co_ci_u32_e64 v45, null, 0, v143, vcc_lo
	v_add_co_u32 v46, vcc_lo, v144, v95
	v_add_co_ci_u32_e64 v47, null, 0, v145, vcc_lo
	global_load_dwordx2 v[89:90], v[42:43], off
	global_load_dwordx2 v[87:88], v[44:45], off
	;; [unrolled: 1-line block ×3, first 2 shown]
	s_or_b32 s2, s2, exec_lo
.LBB114_148:                            ;   in Loop: Header=BB114_102 Depth=1
	v_mov_b32_e32 v93, 0
	v_mov_b32_e32 v94, 0
	s_and_saveexec_b32 s15, s2
	s_cbranch_execz .LBB114_150
; %bb.149:                              ;   in Loop: Header=BB114_102 Depth=1
	v_add_co_u32 v42, vcc_lo, v146, v95
	v_add_co_ci_u32_e64 v43, null, 0, v147, vcc_lo
	global_load_dwordx2 v[93:94], v[42:43], off
.LBB114_150:                            ;   in Loop: Header=BB114_102 Depth=1
	s_or_b32 exec_lo, exec_lo, s15
	ds_read_b64 v[42:43], v101
	v_add_f32_e32 v54, 0, v54
	v_add_f32_e32 v55, 0, v55
	;; [unrolled: 1-line block ×6, first 2 shown]
	v_cmp_gt_i32_e32 vcc_lo, s12, v0
	v_add_f32_e32 v38, v38, v40
	v_add_f32_e32 v23, v23, v25
	;; [unrolled: 1-line block ×4, first 2 shown]
	s_or_b32 s2, s13, vcc_lo
	v_add_f32_e32 v34, v38, v34
	v_add_f32_e32 v41, v23, v15
	;; [unrolled: 1-line block ×4, first 2 shown]
	s_and_b32 s12, s1, s2
	v_add_f32_e32 v22, v34, v36
	v_add_f32_e32 v17, v41, v17
	s_waitcnt vmcnt(0) lgkmcnt(0)
	v_mul_f32_e32 v44, v43, v90
	v_mul_f32_e32 v153, v43, v89
	;; [unrolled: 1-line block ×8, first 2 shown]
	v_fma_f32 v152, v42, v89, -v44
	v_fmac_f32_e32 v153, v42, v90
	v_fma_f32 v154, v42, v87, -v45
	v_fmac_f32_e32 v155, v42, v88
	;; [unrolled: 2-line block ×4, first 2 shown]
	ds_read_b128 v[46:49], v100 offset:384
	ds_read_b128 v[42:45], v100 offset:400
	ds_write2_b64 v102, v[152:153], v[154:155] offset1:67
	ds_write2_b64 v102, v[156:157], v[158:159] offset0:134 offset1:201
	s_waitcnt lgkmcnt(0)
	s_barrier
	buffer_gl0_inv
	ds_read2_b64 v[152:155], v103 offset1:1
	v_add_f32_e32 v156, v54, v56
	v_add_f32_e32 v157, v55, v57
	ds_read2_b64 v[54:57], v103 offset0:2 offset1:3
	v_add_f32_e32 v16, v39, v16
	s_waitcnt lgkmcnt(0)
	v_add_f32_e32 v24, v156, v50
	v_add_f32_e32 v25, v157, v51
	s_barrier
	buffer_gl0_inv
	v_add_f32_e32 v14, v24, v52
	v_add_f32_e32 v15, v25, v53
	;; [unrolled: 1-line block ×11, first 2 shown]
	ds_write2_b64 v150, v[16:17], v[22:23] offset1:16
	ds_write2_b64 v150, v[14:15], v[24:25] offset0:32 offset1:48
	s_waitcnt lgkmcnt(0)
	s_barrier
	buffer_gl0_inv
	s_and_saveexec_b32 s2, s12
	s_cbranch_execz .LBB114_152
; %bb.151:                              ;   in Loop: Header=BB114_102 Depth=1
	ds_read_b64 v[38:39], v104
	ds_read2_b64 v[14:17], v104 offset0:1 offset1:2
	ds_read2_b64 v[22:25], v104 offset0:3 offset1:4
	;; [unrolled: 1-line block ×3, first 2 shown]
	s_waitcnt lgkmcnt(2)
	v_add_f32_e32 v14, v14, v38
	v_add_f32_e32 v15, v15, v39
	v_add_f32_e32 v38, v16, v14
	v_add_f32_e32 v39, v17, v15
	ds_read2_b64 v[14:17], v104 offset0:7 offset1:8
	s_waitcnt lgkmcnt(2)
	v_add_f32_e32 v22, v38, v22
	v_add_f32_e32 v23, v39, v23
	v_add_f32_e32 v38, v22, v24
	v_add_f32_e32 v39, v23, v25
	ds_read2_b64 v[22:25], v104 offset0:9 offset1:10
	;; [unrolled: 6-line block ×4, first 2 shown]
	s_waitcnt lgkmcnt(2)
	v_add_f32_e32 v22, v38, v22
	v_add_f32_e32 v23, v39, v23
	;; [unrolled: 1-line block ×4, first 2 shown]
	ds_read_b64 v[22:23], v105
	s_waitcnt lgkmcnt(2)
	v_add_f32_e32 v24, v24, v34
	v_add_f32_e32 v25, v25, v35
	;; [unrolled: 1-line block ×4, first 2 shown]
	v_add_nc_u32_e32 v24, s11, v0
	s_waitcnt lgkmcnt(1)
	v_add_f32_e32 v14, v34, v14
	v_add_f32_e32 v15, v25, v15
	v_ashrrev_i32_e32 v25, 31, v24
	v_add_f32_e32 v16, v14, v16
	v_add_f32_e32 v17, v15, v17
	v_lshlrev_b64 v[14:15], 3, v[24:25]
	s_waitcnt lgkmcnt(0)
	v_add_f32_e32 v16, v16, v22
	v_add_f32_e32 v17, v17, v23
	v_add_co_u32 v14, vcc_lo, s3, v14
	v_add_co_ci_u32_e64 v15, null, s7, v15, vcc_lo
	global_store_dwordx2 v[14:15], v[16:17], off
.LBB114_152:                            ;   in Loop: Header=BB114_102 Depth=1
	s_or_b32 exec_lo, exec_lo, s2
	v_mul_f32_e32 v14, v7, v66
	v_mul_f32_e32 v7, v7, v65
	;; [unrolled: 1-line block ×5, first 2 shown]
	v_fma_f32 v14, v6, v65, -v14
	v_fmac_f32_e32 v7, v6, v66
	v_fma_f32 v15, v8, v63, -v15
	v_mul_f32_e32 v3, v3, v67
	v_mul_f32_e32 v17, v5, v70
	v_add_f32_e32 v14, v60, v14
	v_fma_f32 v6, v2, v67, -v16
	v_fmac_f32_e32 v9, v8, v64
	v_add_f32_e32 v7, v61, v7
	v_mul_f32_e32 v5, v5, v69
	v_add_f32_e32 v14, v14, v15
	v_mul_f32_e32 v22, v19, v74
	v_fma_f32 v8, v4, v69, -v17
	v_fmac_f32_e32 v3, v2, v68
	v_add_f32_e32 v2, v7, v9
	v_add_f32_e32 v6, v14, v6
	v_mul_f32_e32 v19, v19, v73
	v_mul_f32_e32 v15, v21, v72
	v_fma_f32 v7, v18, v73, -v22
	v_fmac_f32_e32 v5, v4, v70
	v_add_f32_e32 v6, v6, v8
	v_add_f32_e32 v2, v2, v3
	v_mul_f32_e32 v14, v21, v71
	v_mul_f32_e32 v8, v11, v76
	v_fma_f32 v3, v20, v71, -v15
	v_add_f32_e32 v4, v6, v7
	v_fmac_f32_e32 v19, v18, v74
	v_add_f32_e32 v2, v2, v5
	v_mul_f32_e32 v6, v13, v78
	v_fma_f32 v5, v10, v75, -v8
	v_add_f32_e32 v3, v4, v3
	v_mul_f32_e32 v4, v11, v75
	v_fmac_f32_e32 v14, v20, v72
	v_add_f32_e32 v2, v2, v19
	v_fma_f32 v6, v12, v77, -v6
	v_add_f32_e32 v3, v3, v5
	v_mul_f32_e32 v5, v31, v82
	v_fmac_f32_e32 v4, v10, v76
	v_add_f32_e32 v2, v2, v14
	v_mul_f32_e32 v7, v13, v77
	v_add_f32_e32 v3, v3, v6
	v_fma_f32 v5, v30, v81, -v5
	v_mul_f32_e32 v6, v33, v80
	v_add_f32_e32 v2, v2, v4
	v_fmac_f32_e32 v7, v12, v78
	v_mul_f32_e32 v4, v31, v81
	v_add_f32_e32 v3, v3, v5
	v_fma_f32 v5, v32, v79, -v6
	v_mul_f32_e32 v6, v27, v84
	v_add_f32_e32 v2, v2, v7
	v_fmac_f32_e32 v4, v30, v82
	;; [unrolled: 6-line block ×3, first 2 shown]
	v_mul_f32_e32 v4, v27, v83
	v_add_co_u32 v116, vcc_lo, v116, s4
	v_add_f32_e32 v3, v3, v5
	v_fma_f32 v5, v28, v85, -v6
	v_add_f32_e32 v2, v2, v7
	v_fmac_f32_e32 v4, v26, v84
	v_mul_f32_e32 v6, v47, v90
	v_mul_f32_e32 v7, v29, v85
	v_add_co_ci_u32_e64 v117, null, s5, v117, vcc_lo
	v_add_co_u32 v118, vcc_lo, v118, s4
	v_add_co_ci_u32_e64 v119, null, s5, v119, vcc_lo
	v_add_co_u32 v120, vcc_lo, v120, s4
	;; [unrolled: 2-line block ×3, first 2 shown]
	v_add_f32_e32 v3, v3, v5
	v_add_f32_e32 v2, v2, v4
	v_fma_f32 v4, v46, v89, -v6
	v_mul_f32_e32 v5, v49, v88
	v_fmac_f32_e32 v7, v28, v86
	v_mul_f32_e32 v6, v47, v89
	v_add_co_ci_u32_e64 v123, null, s5, v123, vcc_lo
	v_add_co_u32 v124, vcc_lo, v124, s4
	v_add_co_ci_u32_e64 v125, null, s5, v125, vcc_lo
	v_add_co_u32 v126, vcc_lo, v126, s4
	v_add_f32_e32 v3, v3, v4
	v_fma_f32 v4, v48, v87, -v5
	v_add_f32_e32 v2, v2, v7
	v_mul_f32_e32 v5, v49, v87
	v_fmac_f32_e32 v6, v46, v90
	v_add_co_ci_u32_e64 v127, null, s5, v127, vcc_lo
	v_add_co_u32 v128, vcc_lo, v128, s4
	v_add_co_ci_u32_e64 v129, null, s5, v129, vcc_lo
	v_add_co_u32 v130, vcc_lo, v130, s4
	;; [unrolled: 2-line block ×3, first 2 shown]
	v_mul_f32_e32 v7, v43, v92
	v_add_f32_e32 v3, v3, v4
	v_mul_f32_e32 v4, v43, v91
	v_fmac_f32_e32 v5, v48, v88
	v_add_f32_e32 v2, v2, v6
	v_add_co_ci_u32_e64 v133, null, s5, v133, vcc_lo
	v_add_co_u32 v134, vcc_lo, v134, s4
	v_add_co_ci_u32_e64 v135, null, s5, v135, vcc_lo
	v_add_co_u32 v136, vcc_lo, v136, s4
	v_fma_f32 v6, v42, v91, -v7
	v_mul_f32_e32 v7, v45, v94
	v_mul_f32_e32 v8, v45, v93
	v_fmac_f32_e32 v4, v42, v92
	v_add_f32_e32 v2, v2, v5
	v_add_co_ci_u32_e64 v137, null, s5, v137, vcc_lo
	v_add_co_u32 v138, vcc_lo, v138, s4
	v_add_co_ci_u32_e64 v139, null, s5, v139, vcc_lo
	v_add_co_u32 v140, vcc_lo, v140, s4
	;; [unrolled: 2-line block ×3, first 2 shown]
	v_add_f32_e32 v3, v3, v6
	v_fma_f32 v5, v44, v93, -v7
	v_fmac_f32_e32 v8, v44, v94
	v_add_f32_e32 v2, v2, v4
	v_add_co_ci_u32_e64 v143, null, s5, v143, vcc_lo
	v_add_co_u32 v144, vcc_lo, v144, s4
	v_add_co_ci_u32_e64 v145, null, s5, v145, vcc_lo
	v_add_co_u32 v146, vcc_lo, v146, s4
	v_add_f32_e32 v60, v3, v5
	v_add_f32_e32 v61, v2, v8
	v_add_co_ci_u32_e64 v147, null, s5, v147, vcc_lo
	s_add_i32 s2, s6, 1
	s_add_i32 s6, s6, 2
	;; [unrolled: 1-line block ×3, first 2 shown]
	s_cmp_ge_u32 s6, s9
	s_waitcnt_vscnt null, 0x0
	s_barrier
	buffer_gl0_inv
	s_cbranch_scc1 .LBB114_154
; %bb.153:                              ;   in Loop: Header=BB114_102 Depth=1
	s_mov_b32 s6, s2
	s_cmp_eq_u32 s8, s6
	s_cselect_b32 s12, s22, 0
	s_and_saveexec_b32 s2, s0
	s_cbranch_execnz .LBB114_98
	s_branch .LBB114_102
.LBB114_154:
	v_cmp_gt_i32_e32 vcc_lo, s10, v0
	v_mad_u32_u24 v1, 0x218, v1, v95
	s_or_b32 s1, s14, vcc_lo
	ds_write_b64 v1, v[60:61]
	s_and_b32 s0, s0, s1
	s_waitcnt lgkmcnt(0)
	s_barrier
	buffer_gl0_inv
	s_and_saveexec_b32 s1, s0
	s_cbranch_execz .LBB114_156
; %bb.155:
	ds_read2_b64 v[0:3], v95 offset1:67
	ds_read2_b64 v[4:7], v95 offset0:134 offset1:201
	s_waitcnt lgkmcnt(1)
	v_add_f32_e32 v0, v2, v0
	v_add_f32_e32 v1, v3, v1
	s_waitcnt lgkmcnt(0)
	v_add_f32_e32 v2, v4, v0
	v_add_f32_e32 v3, v5, v1
	v_lshlrev_b64 v[0:1], 3, v[58:59]
	v_add_f32_e32 v2, v2, v6
	v_add_f32_e32 v3, v3, v7
	v_add_co_u32 v0, vcc_lo, s3, v0
	v_add_co_ci_u32_e64 v1, null, s7, v1, vcc_lo
	global_store_dwordx2 v[0:1], v[2:3], off
.LBB114_156:
	s_endpgm
	.section	.rodata,"a",@progbits
	.p2align	6, 0x0
	.amdhsa_kernel _ZL26rocblas_hemvn_kernel_upperILb0ELi64ELi4ELi33ELi32ELi16ElPK19rocblas_complex_numIfES3_PS1_EviT6_lT7_lT5_lS6_lS7_lS5_lT8_i
		.amdhsa_group_segment_fixed_size 9600
		.amdhsa_private_segment_fixed_size 0
		.amdhsa_kernarg_size 376
		.amdhsa_user_sgpr_count 6
		.amdhsa_user_sgpr_private_segment_buffer 1
		.amdhsa_user_sgpr_dispatch_ptr 0
		.amdhsa_user_sgpr_queue_ptr 0
		.amdhsa_user_sgpr_kernarg_segment_ptr 1
		.amdhsa_user_sgpr_dispatch_id 0
		.amdhsa_user_sgpr_flat_scratch_init 0
		.amdhsa_user_sgpr_private_segment_size 0
		.amdhsa_wavefront_size32 1
		.amdhsa_uses_dynamic_stack 0
		.amdhsa_system_sgpr_private_segment_wavefront_offset 0
		.amdhsa_system_sgpr_workgroup_id_x 1
		.amdhsa_system_sgpr_workgroup_id_y 0
		.amdhsa_system_sgpr_workgroup_id_z 1
		.amdhsa_system_sgpr_workgroup_info 0
		.amdhsa_system_vgpr_workitem_id 1
		.amdhsa_next_free_vgpr 160
		.amdhsa_next_free_sgpr 36
		.amdhsa_reserve_vcc 1
		.amdhsa_reserve_flat_scratch 0
		.amdhsa_float_round_mode_32 0
		.amdhsa_float_round_mode_16_64 0
		.amdhsa_float_denorm_mode_32 3
		.amdhsa_float_denorm_mode_16_64 3
		.amdhsa_dx10_clamp 1
		.amdhsa_ieee_mode 1
		.amdhsa_fp16_overflow 0
		.amdhsa_workgroup_processor_mode 1
		.amdhsa_memory_ordered 1
		.amdhsa_forward_progress 1
		.amdhsa_shared_vgpr_count 0
		.amdhsa_exception_fp_ieee_invalid_op 0
		.amdhsa_exception_fp_denorm_src 0
		.amdhsa_exception_fp_ieee_div_zero 0
		.amdhsa_exception_fp_ieee_overflow 0
		.amdhsa_exception_fp_ieee_underflow 0
		.amdhsa_exception_fp_ieee_inexact 0
		.amdhsa_exception_int_div_zero 0
	.end_amdhsa_kernel
	.section	.text._ZL26rocblas_hemvn_kernel_upperILb0ELi64ELi4ELi33ELi32ELi16ElPK19rocblas_complex_numIfES3_PS1_EviT6_lT7_lT5_lS6_lS7_lS5_lT8_i,"axG",@progbits,_ZL26rocblas_hemvn_kernel_upperILb0ELi64ELi4ELi33ELi32ELi16ElPK19rocblas_complex_numIfES3_PS1_EviT6_lT7_lT5_lS6_lS7_lS5_lT8_i,comdat
.Lfunc_end114:
	.size	_ZL26rocblas_hemvn_kernel_upperILb0ELi64ELi4ELi33ELi32ELi16ElPK19rocblas_complex_numIfES3_PS1_EviT6_lT7_lT5_lS6_lS7_lS5_lT8_i, .Lfunc_end114-_ZL26rocblas_hemvn_kernel_upperILb0ELi64ELi4ELi33ELi32ELi16ElPK19rocblas_complex_numIfES3_PS1_EviT6_lT7_lT5_lS6_lS7_lS5_lT8_i
                                        ; -- End function
	.set _ZL26rocblas_hemvn_kernel_upperILb0ELi64ELi4ELi33ELi32ELi16ElPK19rocblas_complex_numIfES3_PS1_EviT6_lT7_lT5_lS6_lS7_lS5_lT8_i.num_vgpr, 160
	.set _ZL26rocblas_hemvn_kernel_upperILb0ELi64ELi4ELi33ELi32ELi16ElPK19rocblas_complex_numIfES3_PS1_EviT6_lT7_lT5_lS6_lS7_lS5_lT8_i.num_agpr, 0
	.set _ZL26rocblas_hemvn_kernel_upperILb0ELi64ELi4ELi33ELi32ELi16ElPK19rocblas_complex_numIfES3_PS1_EviT6_lT7_lT5_lS6_lS7_lS5_lT8_i.numbered_sgpr, 36
	.set _ZL26rocblas_hemvn_kernel_upperILb0ELi64ELi4ELi33ELi32ELi16ElPK19rocblas_complex_numIfES3_PS1_EviT6_lT7_lT5_lS6_lS7_lS5_lT8_i.num_named_barrier, 0
	.set _ZL26rocblas_hemvn_kernel_upperILb0ELi64ELi4ELi33ELi32ELi16ElPK19rocblas_complex_numIfES3_PS1_EviT6_lT7_lT5_lS6_lS7_lS5_lT8_i.private_seg_size, 0
	.set _ZL26rocblas_hemvn_kernel_upperILb0ELi64ELi4ELi33ELi32ELi16ElPK19rocblas_complex_numIfES3_PS1_EviT6_lT7_lT5_lS6_lS7_lS5_lT8_i.uses_vcc, 1
	.set _ZL26rocblas_hemvn_kernel_upperILb0ELi64ELi4ELi33ELi32ELi16ElPK19rocblas_complex_numIfES3_PS1_EviT6_lT7_lT5_lS6_lS7_lS5_lT8_i.uses_flat_scratch, 0
	.set _ZL26rocblas_hemvn_kernel_upperILb0ELi64ELi4ELi33ELi32ELi16ElPK19rocblas_complex_numIfES3_PS1_EviT6_lT7_lT5_lS6_lS7_lS5_lT8_i.has_dyn_sized_stack, 0
	.set _ZL26rocblas_hemvn_kernel_upperILb0ELi64ELi4ELi33ELi32ELi16ElPK19rocblas_complex_numIfES3_PS1_EviT6_lT7_lT5_lS6_lS7_lS5_lT8_i.has_recursion, 0
	.set _ZL26rocblas_hemvn_kernel_upperILb0ELi64ELi4ELi33ELi32ELi16ElPK19rocblas_complex_numIfES3_PS1_EviT6_lT7_lT5_lS6_lS7_lS5_lT8_i.has_indirect_call, 0
	.section	.AMDGPU.csdata,"",@progbits
; Kernel info:
; codeLenInByte = 9324
; TotalNumSgprs: 38
; NumVgprs: 160
; ScratchSize: 0
; MemoryBound: 1
; FloatMode: 240
; IeeeMode: 1
; LDSByteSize: 9600 bytes/workgroup (compile time only)
; SGPRBlocks: 0
; VGPRBlocks: 19
; NumSGPRsForWavesPerEU: 38
; NumVGPRsForWavesPerEU: 160
; Occupancy: 6
; WaveLimiterHint : 0
; COMPUTE_PGM_RSRC2:SCRATCH_EN: 0
; COMPUTE_PGM_RSRC2:USER_SGPR: 6
; COMPUTE_PGM_RSRC2:TRAP_HANDLER: 0
; COMPUTE_PGM_RSRC2:TGID_X_EN: 1
; COMPUTE_PGM_RSRC2:TGID_Y_EN: 0
; COMPUTE_PGM_RSRC2:TGID_Z_EN: 1
; COMPUTE_PGM_RSRC2:TIDIG_COMP_CNT: 1
	.section	.text._ZL26rocblas_hemvn_kernel_upperILb0ELi64ELi4ELi33ELi32ELi16EiPK19rocblas_complex_numIfES3_PS1_EviT6_lT7_lT5_lS6_lS7_lS5_lT8_i,"axG",@progbits,_ZL26rocblas_hemvn_kernel_upperILb0ELi64ELi4ELi33ELi32ELi16EiPK19rocblas_complex_numIfES3_PS1_EviT6_lT7_lT5_lS6_lS7_lS5_lT8_i,comdat
	.globl	_ZL26rocblas_hemvn_kernel_upperILb0ELi64ELi4ELi33ELi32ELi16EiPK19rocblas_complex_numIfES3_PS1_EviT6_lT7_lT5_lS6_lS7_lS5_lT8_i ; -- Begin function _ZL26rocblas_hemvn_kernel_upperILb0ELi64ELi4ELi33ELi32ELi16EiPK19rocblas_complex_numIfES3_PS1_EviT6_lT7_lT5_lS6_lS7_lS5_lT8_i
	.p2align	8
	.type	_ZL26rocblas_hemvn_kernel_upperILb0ELi64ELi4ELi33ELi32ELi16EiPK19rocblas_complex_numIfES3_PS1_EviT6_lT7_lT5_lS6_lS7_lS5_lT8_i,@function
_ZL26rocblas_hemvn_kernel_upperILb0ELi64ELi4ELi33ELi32ELi16EiPK19rocblas_complex_numIfES3_PS1_EviT6_lT7_lT5_lS6_lS7_lS5_lT8_i: ; @_ZL26rocblas_hemvn_kernel_upperILb0ELi64ELi4ELi33ELi32ELi16EiPK19rocblas_complex_numIfES3_PS1_EviT6_lT7_lT5_lS6_lS7_lS5_lT8_i
; %bb.0:
	s_load_dwordx2 s[2:3], s[4:5], 0x84
	s_add_u32 s0, s4, 0x78
	s_addc_u32 s1, s5, 0
	s_waitcnt lgkmcnt(0)
	s_lshr_b32 s8, s2, 16
	s_and_b32 s2, s2, 0xffff
	s_and_b32 s3, s3, 0xffff
	s_mul_i32 s2, s8, s2
	s_mul_i32 s2, s2, s3
	s_cmpk_lg_i32 s2, 0x100
	s_cbranch_scc1 .LBB115_156
; %bb.1:
	s_load_dwordx8 s[12:19], s[4:5], 0x8
	s_waitcnt lgkmcnt(0)
	s_mul_i32 s2, s15, s7
	s_mul_hi_u32 s3, s14, s7
	s_add_i32 s3, s3, s2
	s_mul_i32 s2, s14, s7
	s_lshl_b64 s[2:3], s[2:3], 3
	s_add_u32 s2, s12, s2
	s_addc_u32 s3, s13, s3
	s_load_dwordx2 s[2:3], s[2:3], 0x0
	s_load_dwordx8 s[8:15], s[4:5], 0x50
	s_waitcnt lgkmcnt(0)
	s_or_b32 s2, s2, s3
	s_mov_b32 s3, -1
	s_bitset0_b32 s2, 31
	s_cmp_lg_u32 s2, 0
	s_cselect_b32 s2, -1, 0
	s_and_b32 vcc_lo, exec_lo, s2
	s_cbranch_vccnz .LBB115_3
; %bb.2:
	s_mul_i32 s3, s13, s7
	s_mul_hi_u32 s13, s12, s7
	s_mul_i32 s12, s12, s7
	s_add_i32 s13, s13, s3
	s_lshl_b64 s[12:13], s[12:13], 3
	s_add_u32 s10, s10, s12
	s_addc_u32 s11, s11, s13
	s_load_dwordx2 s[10:11], s[10:11], 0x0
	s_waitcnt lgkmcnt(0)
	v_cmp_neq_f32_e64 s3, s10, 1.0
	v_cmp_neq_f32_e64 s10, s11, 0
	s_or_b32 s3, s3, s10
.LBB115_3:
	s_andn2_b32 vcc_lo, exec_lo, s3
	s_cbranch_vccnz .LBB115_156
; %bb.4:
	s_andn2_b32 vcc_lo, exec_lo, s2
	s_cbranch_vccnz .LBB115_156
; %bb.5:
	s_clause 0x2
	s_load_dwordx4 s[20:23], s[4:5], 0x30
	s_load_dwordx2 s[2:3], s[4:5], 0x40
	s_load_dword s24, s[4:5], 0x48
	s_mul_i32 s9, s9, s7
	s_mul_hi_u32 s10, s8, s7
	s_mul_i32 s8, s8, s7
	s_add_i32 s9, s10, s9
	s_load_dword s26, s[0:1], 0x0
	s_lshl_b64 s[10:11], s[8:9], 3
	s_load_dword s9, s[4:5], 0x0
	s_waitcnt lgkmcnt(0)
	s_add_u32 s8, s22, s10
	s_addc_u32 s10, s23, s11
	s_lshl_b64 s[2:3], s[2:3], 3
	s_add_u32 s2, s8, s2
	s_addc_u32 s3, s10, s3
	s_lshl_b32 s22, s6, 6
	s_add_i32 s1, s26, -1
	v_add_nc_u32_e32 v58, s22, v0
	s_ashr_i32 s25, s9, 31
	s_lshr_b32 s0, s25, 26
	v_mul_lo_u32 v2, s24, v58
	s_add_i32 s0, s9, s0
	s_andn2_b32 s0, s0, 63
	s_sub_i32 s27, s9, s0
	v_cmp_eq_u32_e64 s0, 0, v1
	s_cmp_eq_u32 s6, s1
	v_ashrrev_i32_e32 v3, 31, v2
	s_cselect_b32 s10, s27, 0
	v_lshlrev_b64 v[2:3], 3, v[2:3]
	v_add_co_u32 v16, vcc_lo, s2, v2
	v_add_co_ci_u32_e64 v17, null, s3, v3, vcc_lo
	s_mov_b32 s3, -1
	s_and_saveexec_b32 s1, s0
	s_cbranch_execz .LBB115_10
; %bb.6:
	v_cmp_le_i32_e32 vcc_lo, s10, v0
	s_cmp_lg_u32 s10, 0
	v_lshl_add_u32 v2, v0, 3, 0x2380
	s_cselect_b32 s2, -1, 0
	s_and_b32 s2, s2, vcc_lo
	s_and_saveexec_b32 s8, s2
	s_xor_b32 s2, exec_lo, s8
; %bb.7:
	v_mov_b32_e32 v3, 0
	v_mov_b32_e32 v4, v3
	ds_write_b64 v2, v[3:4]
                                        ; implicit-def: $vgpr2
; %bb.8:
	s_andn2_saveexec_b32 s2, s2
	s_cbranch_execz .LBB115_10
; %bb.9:
	global_load_dwordx2 v[3:4], v[16:17], off
	s_waitcnt vmcnt(0)
	ds_write_b64 v2, v[3:4]
.LBB115_10:
	s_or_b32 exec_lo, exec_lo, s1
	s_load_dword s12, s[4:5], 0x28
	v_lshl_add_u32 v24, v1, 6, v0
	v_and_b32_e32 v2, 31, v0
	s_mul_i32 s1, s21, s7
	s_mul_hi_u32 s2, s20, s7
	s_mul_i32 s4, s20, s7
	v_lshrrev_b32_e32 v9, 5, v24
	s_add_i32 s5, s2, s1
	v_lshlrev_b32_e32 v10, 3, v2
	s_lshl_b64 s[4:5], s[4:5], 3
	s_add_u32 s1, s16, s4
	s_addc_u32 s2, s17, s5
	s_lshl_b64 s[4:5], s[18:19], 3
	v_mul_u32_u24_e32 v11, 0x108, v9
	s_add_u32 s1, s1, s4
	s_addc_u32 s2, s2, s5
	s_ashr_i32 s23, s22, 31
	s_lshl_b64 s[4:5], s[22:23], 3
	s_waitcnt lgkmcnt(0)
	v_mad_u64_u32 v[3:4], null, s12, v9, v[2:3]
	s_add_u32 s8, s1, s4
	s_mul_i32 s4, s12, s22
	s_addc_u32 s2, s2, s5
	s_ashr_i32 s5, s4, 31
	v_cmp_gt_i32_e64 s1, s10, v2
	s_lshl_b64 s[4:5], s[4:5], 3
	v_ashrrev_i32_e32 v4, 31, v3
	s_cmp_eq_u32 s10, 0
	s_cselect_b32 s28, -1, 0
	s_cmp_lg_u32 s10, 0
	v_lshlrev_b64 v[14:15], 3, v[3:4]
	s_cselect_b32 s23, -1, 0
	v_add_co_u32 v3, vcc_lo, s8, v14
	v_add_co_ci_u32_e64 v4, null, s2, v15, vcc_lo
	s_and_b32 vcc_lo, exec_lo, s23
	v_add_co_u32 v5, s2, v3, s4
	v_add_co_ci_u32_e64 v6, null, s5, v4, s2
                                        ; implicit-def: $vgpr3_vgpr4
	s_cbranch_vccz .LBB115_28
; %bb.11:
	v_sub_co_u32 v3, vcc_lo, v5, v10
	s_ashr_i32 s11, s10, 31
	v_subrev_co_ci_u32_e64 v4, null, 0, v6, vcc_lo
	s_lshl_b64 s[2:3], s[10:11], 3
	v_add_nc_u32_e32 v7, v10, v11
	v_add_co_u32 v3, vcc_lo, v3, s2
	v_add_co_ci_u32_e64 v4, null, s3, v4, vcc_lo
	s_mov_b32 s4, exec_lo
	v_add_co_u32 v3, vcc_lo, v3, -8
	v_add_co_ci_u32_e64 v4, null, -1, v4, vcc_lo
	v_cndmask_b32_e64 v3, v3, v5, s1
	v_cndmask_b32_e64 v4, v4, v6, s1
	v_cmpx_le_i32_e64 s10, v9
	s_xor_b32 s4, exec_lo, s4
; %bb.12:
	v_mov_b32_e32 v12, 0
	v_mov_b32_e32 v13, v12
	ds_write_b64 v7, v[12:13]
; %bb.13:
	s_andn2_saveexec_b32 s4, s4
	s_cbranch_execz .LBB115_15
; %bb.14:
	global_load_dwordx2 v[12:13], v[3:4], off
	s_waitcnt vmcnt(0)
	ds_write_b64 v7, v[12:13]
.LBB115_15:
	s_or_b32 exec_lo, exec_lo, s4
	v_add_nc_u32_e32 v8, 8, v9
	s_mov_b32 s4, exec_lo
	v_cmpx_le_i32_e64 s10, v8
	s_xor_b32 s4, exec_lo, s4
; %bb.16:
	v_mov_b32_e32 v12, 0
	v_mov_b32_e32 v13, v12
	ds_write_b64 v7, v[12:13] offset:2112
; %bb.17:
	s_andn2_saveexec_b32 s4, s4
	s_cbranch_execz .LBB115_19
; %bb.18:
	s_lshl_b32 s16, s12, 3
	s_ashr_i32 s17, s16, 31
	s_lshl_b64 s[16:17], s[16:17], 3
	v_add_co_u32 v12, vcc_lo, v3, s16
	v_add_co_ci_u32_e64 v13, null, s17, v4, vcc_lo
	global_load_dwordx2 v[12:13], v[12:13], off
	s_waitcnt vmcnt(0)
	ds_write_b64 v7, v[12:13] offset:2112
.LBB115_19:
	s_or_b32 exec_lo, exec_lo, s4
	v_add_nc_u32_e32 v8, 16, v9
	s_mov_b32 s4, exec_lo
	v_cmpx_le_i32_e64 s10, v8
	s_xor_b32 s4, exec_lo, s4
; %bb.20:
	v_mov_b32_e32 v12, 0
	v_mov_b32_e32 v13, v12
	ds_write_b64 v7, v[12:13] offset:4224
; %bb.21:
	s_andn2_saveexec_b32 s4, s4
	s_cbranch_execz .LBB115_23
; %bb.22:
	s_lshl_b32 s16, s12, 4
	s_ashr_i32 s17, s16, 31
	s_lshl_b64 s[16:17], s[16:17], 3
	v_add_co_u32 v12, vcc_lo, v3, s16
	v_add_co_ci_u32_e64 v13, null, s17, v4, vcc_lo
	global_load_dwordx2 v[12:13], v[12:13], off
	s_waitcnt vmcnt(0)
	ds_write_b64 v7, v[12:13] offset:4224
.LBB115_23:
	s_or_b32 exec_lo, exec_lo, s4
	v_add_nc_u32_e32 v8, 24, v9
	s_mov_b32 s4, exec_lo
	v_cmpx_le_i32_e64 s10, v8
	s_xor_b32 s4, exec_lo, s4
; %bb.24:
	v_mov_b32_e32 v12, 0
	v_mov_b32_e32 v13, v12
	ds_write_b64 v7, v[12:13] offset:6336
                                        ; implicit-def: $vgpr7
; %bb.25:
	s_andn2_saveexec_b32 s4, s4
	s_cbranch_execz .LBB115_27
; %bb.26:
	s_mul_i32 s16, s12, 24
	s_ashr_i32 s17, s16, 31
	s_lshl_b64 s[16:17], s[16:17], 3
	v_add_co_u32 v12, vcc_lo, v3, s16
	v_add_co_ci_u32_e64 v13, null, s17, v4, vcc_lo
	global_load_dwordx2 v[12:13], v[12:13], off
	s_waitcnt vmcnt(0)
	ds_write_b64 v7, v[12:13] offset:6336
.LBB115_27:
	s_or_b32 exec_lo, exec_lo, s4
	v_add_co_u32 v3, vcc_lo, v3, v10
	v_add_co_ci_u32_e64 v4, null, 0, v4, vcc_lo
	v_sub_co_u32 v3, vcc_lo, v3, s2
	v_subrev_co_ci_u32_e64 v4, null, s3, v4, vcc_lo
	s_mov_b32 s3, 0
	v_add_co_u32 v3, vcc_lo, v3, 8
	v_add_co_ci_u32_e64 v4, null, 0, v4, vcc_lo
	v_cndmask_b32_e64 v3, v3, v5, s1
	v_cndmask_b32_e64 v4, v4, v6, s1
.LBB115_28:
	s_and_b32 vcc_lo, exec_lo, s3
	s_cbranch_vccz .LBB115_30
; %bb.29:
	s_lshl_b32 s2, s12, 3
	s_ashr_i32 s13, s12, 31
	s_ashr_i32 s3, s2, 31
	v_lshl_add_u32 v22, v2, 3, v11
	s_lshl_b64 s[2:3], s[2:3], 3
	v_add_co_u32 v3, vcc_lo, v5, s2
	v_add_co_ci_u32_e64 v4, null, s3, v6, vcc_lo
	s_lshl_b64 s[2:3], s[12:13], 6
	v_add_co_u32 v7, vcc_lo, v3, s2
	v_add_co_ci_u32_e64 v8, null, s3, v4, vcc_lo
	v_add_co_u32 v12, vcc_lo, v7, s2
	v_add_co_ci_u32_e64 v13, null, s3, v8, vcc_lo
	s_clause 0x3
	global_load_dwordx2 v[18:19], v[5:6], off
	global_load_dwordx2 v[20:21], v[3:4], off
	;; [unrolled: 1-line block ×4, first 2 shown]
	v_mov_b32_e32 v3, v5
	v_mov_b32_e32 v4, v6
	s_waitcnt vmcnt(3)
	ds_write_b64 v22, v[18:19]
	s_waitcnt vmcnt(2)
	ds_write_b64 v22, v[20:21] offset:2112
	s_waitcnt vmcnt(1)
	ds_write_b64 v22, v[7:8] offset:4224
	;; [unrolled: 2-line block ×3, first 2 shown]
.LBB115_30:
	v_lshlrev_b32_e32 v12, 2, v9
	v_lshl_or_b32 v5, v2, 8, v10
	s_waitcnt lgkmcnt(0)
	s_barrier
	buffer_gl0_inv
	v_cmp_gt_u32_e64 s2, v12, v2
	v_lshl_add_u32 v7, v12, 3, v5
	v_mad_u32_u24 v5, 0x420, v9, v10
	s_and_saveexec_b32 s1, s2
	s_cbranch_execz .LBB115_32
; %bb.31:
	ds_read_b64 v[18:19], v5
	s_waitcnt lgkmcnt(0)
	ds_write_b64 v7, v[18:19]
.LBB115_32:
	s_or_b32 exec_lo, exec_lo, s1
	v_or_b32_e32 v18, 1, v12
	v_cmp_ge_u32_e64 s3, v12, v2
	v_mad_u32_u24 v6, 0x108, v18, v10
	s_and_saveexec_b32 s1, s3
	s_cbranch_execz .LBB115_34
; %bb.33:
	ds_read_b64 v[19:20], v6
	s_waitcnt lgkmcnt(0)
	ds_write_b64 v7, v[19:20] offset:8
.LBB115_34:
	s_or_b32 exec_lo, exec_lo, s1
	v_or_b32_e32 v8, 2, v12
	v_cmp_gt_u32_e64 s4, v8, v2
	s_and_saveexec_b32 s1, s4
	s_cbranch_execz .LBB115_36
; %bb.35:
	v_mad_u32_u24 v8, 0x108, v8, v10
	ds_read_b64 v[19:20], v8
	s_waitcnt lgkmcnt(0)
	ds_write_b64 v7, v[19:20] offset:16
.LBB115_36:
	s_or_b32 exec_lo, exec_lo, s1
	v_or_b32_e32 v13, 3, v12
	s_mov_b32 s1, exec_lo
	v_cmp_gt_u32_e64 s5, v13, v2
	v_mul_u32_u24_e32 v8, 0x108, v13
	v_cmpx_le_u32_e64 v13, v2
	s_xor_b32 s1, exec_lo, s1
; %bb.37:
	v_mul_u32_u24_e32 v8, 0x108, v13
                                        ; implicit-def: $vgpr13
                                        ; implicit-def: $vgpr7
; %bb.38:
	s_andn2_saveexec_b32 s1, s1
	s_cbranch_execz .LBB115_40
; %bb.39:
	v_mad_u32_u24 v13, 0x108, v13, v10
	ds_read_b64 v[19:20], v13
	s_waitcnt lgkmcnt(0)
	ds_write_b64 v7, v[19:20] offset:24
.LBB115_40:
	s_or_b32 exec_lo, exec_lo, s1
	v_lshlrev_b32_e32 v19, 3, v12
	s_waitcnt lgkmcnt(0)
	s_barrier
	buffer_gl0_inv
	ds_read_b64 v[21:22], v5
	ds_read_b128 v[25:28], v19 offset:9088
	ds_read2_b64 v[29:32], v6 offset1:33
	v_add_nc_u32_e32 v20, v10, v8
	ds_read_b128 v[5:8], v19 offset:9104
	ds_read_b64 v[33:34], v20
	v_mul_u32_u24_e32 v13, 33, v2
	v_mov_b32_e32 v59, 0
	v_cmp_gt_u32_e64 s1, 32, v24
	v_mov_b32_e32 v60, 0
	s_waitcnt lgkmcnt(0)
	s_barrier
	buffer_gl0_inv
	v_mul_f32_e32 v23, v26, v22
	v_mul_f32_e32 v22, v25, v22
	;; [unrolled: 1-line block ×5, first 2 shown]
	v_fma_f32 v23, v25, v21, -v23
	v_fmac_f32_e32 v22, v26, v21
	v_mul_f32_e32 v32, v5, v32
	v_fma_f32 v25, v27, v29, -v35
	v_fmac_f32_e32 v30, v28, v29
	v_add_f32_e32 v23, 0, v23
	v_add_f32_e32 v22, 0, v22
	v_mul_f32_e32 v21, v8, v34
	v_mul_f32_e32 v27, v7, v34
	v_fma_f32 v5, v5, v31, -v36
	v_fmac_f32_e32 v32, v6, v31
	v_add_f32_e32 v6, v23, v25
	v_add_f32_e32 v22, v22, v30
	v_lshlrev_b32_e32 v25, 3, v13
	v_fma_f32 v7, v7, v33, -v21
	v_fmac_f32_e32 v27, v8, v33
	v_add_f32_e32 v5, v6, v5
	v_add_f32_e32 v6, v22, v32
	v_lshl_add_u32 v26, v9, 3, v25
	v_add_f32_e32 v5, v5, v7
	v_add_f32_e32 v6, v6, v27
	ds_write_b64 v26, v[5:6]
	s_waitcnt lgkmcnt(0)
	s_barrier
	buffer_gl0_inv
	s_and_saveexec_b32 s8, s1
	s_cbranch_execz .LBB115_42
; %bb.41:
	ds_read2_b64 v[5:8], v25 offset1:7
	ds_read2_b64 v[27:30], v25 offset0:1 offset1:2
	ds_read2_b64 v[31:34], v25 offset0:3 offset1:4
	;; [unrolled: 1-line block ×3, first 2 shown]
	s_waitcnt lgkmcnt(2)
	v_add_f32_e32 v5, v27, v5
	v_add_f32_e32 v6, v28, v6
	v_add_f32_e32 v5, v29, v5
	v_add_f32_e32 v6, v30, v6
	s_waitcnt lgkmcnt(1)
	v_add_f32_e32 v5, v5, v31
	v_add_f32_e32 v6, v6, v32
	v_add_f32_e32 v5, v5, v33
	v_add_f32_e32 v6, v6, v34
	;; [unrolled: 5-line block ×3, first 2 shown]
	v_add_f32_e32 v59, v5, v7
	v_add_f32_e32 v60, v6, v8
.LBB115_42:
	s_or_b32 exec_lo, exec_lo, s8
	s_lshl_b32 s16, s12, 5
	s_ashr_i32 s17, s16, 31
	s_barrier
	s_lshl_b64 s[18:19], s[16:17], 3
	buffer_gl0_inv
	v_add_co_u32 v7, vcc_lo, v3, s18
	v_add_co_ci_u32_e64 v8, null, s19, v4, vcc_lo
	v_add_co_u32 v5, vcc_lo, 0x100, v7
	v_add_co_ci_u32_e64 v6, null, 0, v8, vcc_lo
	s_and_b32 vcc_lo, exec_lo, s23
	s_cbranch_vccz .LBB115_60
; %bb.43:
	v_sub_co_u32 v3, vcc_lo, v7, v10
	s_ashr_i32 s11, s10, 31
	v_subrev_co_ci_u32_e64 v4, null, 0, v8, vcc_lo
	s_lshl_b64 s[20:21], s[10:11], 3
	v_or_b32_e32 v13, 32, v2
	v_add_co_u32 v3, vcc_lo, v3, s20
	v_add_co_ci_u32_e64 v4, null, s21, v4, vcc_lo
	s_sub_i32 s11, s10, 32
	v_add_co_u32 v3, vcc_lo, v3, -8
	v_add_co_ci_u32_e64 v4, null, -1, v4, vcc_lo
	v_cmp_gt_i32_e32 vcc_lo, s10, v13
	v_cmp_le_i32_e64 s8, s11, v9
	v_add_nc_u32_e32 v13, v10, v11
	v_cndmask_b32_e32 v4, v4, v6, vcc_lo
	v_cndmask_b32_e32 v3, v3, v5, vcc_lo
	s_and_saveexec_b32 s13, s8
	s_xor_b32 s8, exec_lo, s13
; %bb.44:
	v_mov_b32_e32 v21, 0
	v_mov_b32_e32 v22, v21
	ds_write_b64 v13, v[21:22]
; %bb.45:
	s_andn2_saveexec_b32 s8, s8
	s_cbranch_execz .LBB115_47
; %bb.46:
	global_load_dwordx2 v[21:22], v[3:4], off
	s_waitcnt vmcnt(0)
	ds_write_b64 v13, v[21:22]
.LBB115_47:
	s_or_b32 exec_lo, exec_lo, s8
	v_add_nc_u32_e32 v21, 8, v9
	v_cmp_le_i32_e64 s8, s11, v21
	s_and_saveexec_b32 s13, s8
	s_xor_b32 s8, exec_lo, s13
; %bb.48:
	v_mov_b32_e32 v21, 0
	v_mov_b32_e32 v22, v21
	ds_write_b64 v13, v[21:22] offset:2112
; %bb.49:
	s_andn2_saveexec_b32 s13, s8
	s_cbranch_execz .LBB115_51
; %bb.50:
	s_lshl_b32 s30, s12, 3
	s_ashr_i32 s31, s30, 31
	s_lshl_b64 s[30:31], s[30:31], 3
	v_add_co_u32 v21, s8, v3, s30
	v_add_co_ci_u32_e64 v22, null, s31, v4, s8
	global_load_dwordx2 v[21:22], v[21:22], off
	s_waitcnt vmcnt(0)
	ds_write_b64 v13, v[21:22] offset:2112
.LBB115_51:
	s_or_b32 exec_lo, exec_lo, s13
	v_add_nc_u32_e32 v21, 16, v9
	v_cmp_le_i32_e64 s8, s11, v21
	s_and_saveexec_b32 s13, s8
	s_xor_b32 s8, exec_lo, s13
; %bb.52:
	v_mov_b32_e32 v21, 0
	v_mov_b32_e32 v22, v21
	ds_write_b64 v13, v[21:22] offset:4224
; %bb.53:
	s_andn2_saveexec_b32 s13, s8
	s_cbranch_execz .LBB115_55
; %bb.54:
	s_lshl_b32 s30, s12, 4
	s_ashr_i32 s31, s30, 31
	s_lshl_b64 s[30:31], s[30:31], 3
	v_add_co_u32 v21, s8, v3, s30
	v_add_co_ci_u32_e64 v22, null, s31, v4, s8
	global_load_dwordx2 v[21:22], v[21:22], off
	s_waitcnt vmcnt(0)
	ds_write_b64 v13, v[21:22] offset:4224
.LBB115_55:
	s_or_b32 exec_lo, exec_lo, s13
	v_add_nc_u32_e32 v21, 24, v9
	v_cmp_le_i32_e64 s8, s11, v21
	s_and_saveexec_b32 s11, s8
	s_xor_b32 s8, exec_lo, s11
; %bb.56:
	v_mov_b32_e32 v21, 0
	v_mov_b32_e32 v22, v21
	ds_write_b64 v13, v[21:22] offset:6336
                                        ; implicit-def: $vgpr13
; %bb.57:
	s_andn2_saveexec_b32 s11, s8
	s_cbranch_execz .LBB115_59
; %bb.58:
	s_mul_i32 s30, s12, 24
	s_ashr_i32 s31, s30, 31
	s_lshl_b64 s[30:31], s[30:31], 3
	v_add_co_u32 v21, s8, v3, s30
	v_add_co_ci_u32_e64 v22, null, s31, v4, s8
	global_load_dwordx2 v[21:22], v[21:22], off
	s_waitcnt vmcnt(0)
	ds_write_b64 v13, v[21:22] offset:6336
.LBB115_59:
	s_or_b32 exec_lo, exec_lo, s11
	v_add_co_u32 v3, s8, v3, v10
	v_add_co_ci_u32_e64 v4, null, 0, v4, s8
	v_sub_co_u32 v3, s8, v3, s20
	v_subrev_co_ci_u32_e64 v4, null, s21, v4, s8
	v_add_co_u32 v3, s8, 0x108, v3
	v_add_co_ci_u32_e64 v4, null, 0, v4, s8
	v_cndmask_b32_e32 v3, v3, v5, vcc_lo
	v_cndmask_b32_e32 v4, v4, v6, vcc_lo
	v_mul_u32_u24_e32 v21, 0x420, v9
	v_mad_u32_u24 v13, 0x108, v9, v10
	s_branch .LBB115_62
.LBB115_60:
                                        ; implicit-def: $vgpr3_vgpr4
	v_mul_u32_u24_e32 v21, 0x420, v9
	v_mad_u32_u24 v13, 0x108, v9, v10
	s_cbranch_execz .LBB115_62
; %bb.61:
	s_lshl_b32 s20, s12, 3
	s_ashr_i32 s13, s12, 31
	s_ashr_i32 s21, s20, 31
	s_lshl_b64 s[20:21], s[20:21], 3
	v_add_co_u32 v3, vcc_lo, v7, s20
	v_add_co_ci_u32_e64 v4, null, s21, v8, vcc_lo
	s_lshl_b64 s[20:21], s[12:13], 6
	v_add_co_u32 v22, vcc_lo, v3, s20
	v_add_co_ci_u32_e64 v23, null, s21, v4, vcc_lo
	v_add_co_u32 v27, vcc_lo, v22, s20
	v_add_co_ci_u32_e64 v28, null, s21, v23, vcc_lo
	s_clause 0x3
	global_load_dwordx2 v[7:8], v[7:8], off offset:256
	global_load_dwordx2 v[29:30], v[3:4], off offset:256
	;; [unrolled: 1-line block ×4, first 2 shown]
	v_mov_b32_e32 v3, v5
	v_mov_b32_e32 v4, v6
	s_waitcnt vmcnt(3)
	ds_write_b64 v13, v[7:8]
	s_waitcnt vmcnt(2)
	ds_write_b64 v13, v[29:30] offset:2112
	s_waitcnt vmcnt(1)
	ds_write_b64 v13, v[22:23] offset:4224
	s_waitcnt vmcnt(0)
	ds_write_b64 v13, v[27:28] offset:6336
.LBB115_62:
	v_mul_u32_u24_e32 v6, 0x108, v18
	v_add_nc_u32_e32 v21, v10, v21
	v_lshl_add_u32 v5, v12, 3, v25
	s_waitcnt lgkmcnt(0)
	s_barrier
	buffer_gl0_inv
	s_and_saveexec_b32 s8, s2
	s_cbranch_execnz .LBB115_87
; %bb.63:
	s_or_b32 exec_lo, exec_lo, s8
	v_add_nc_u32_e32 v22, v10, v6
	s_and_saveexec_b32 s2, s3
	s_cbranch_execnz .LBB115_88
.LBB115_64:
	s_or_b32 exec_lo, exec_lo, s2
	s_and_saveexec_b32 s2, s4
	s_cbranch_execnz .LBB115_89
.LBB115_65:
	s_or_b32 exec_lo, exec_lo, s2
	v_add_nc_u32_e32 v23, 0x2380, v19
	s_and_saveexec_b32 s2, s5
	s_cbranch_execz .LBB115_67
.LBB115_66:
	ds_read_b64 v[6:7], v20
	s_waitcnt lgkmcnt(0)
	ds_write_b64 v5, v[6:7] offset:24
.LBB115_67:
	s_or_b32 exec_lo, exec_lo, s2
	s_waitcnt lgkmcnt(0)
	s_barrier
	buffer_gl0_inv
	ds_read_b64 v[18:19], v21
	ds_read_b128 v[5:8], v23 offset:256
	ds_read2_b64 v[27:30], v22 offset1:33
	ds_read_b128 v[31:34], v23 offset:272
	ds_read_b64 v[35:36], v20
	v_cmp_eq_u32_e64 s2, 1, v9
	s_waitcnt lgkmcnt(0)
	s_barrier
	buffer_gl0_inv
	v_mul_f32_e32 v12, v6, v19
	v_mul_f32_e32 v19, v5, v19
	;; [unrolled: 1-line block ×5, first 2 shown]
	v_fma_f32 v5, v5, v18, -v12
	v_fmac_f32_e32 v19, v6, v18
	v_mul_f32_e32 v30, v31, v30
	v_fma_f32 v7, v7, v27, -v37
	v_fmac_f32_e32 v28, v8, v27
	v_add_f32_e32 v5, 0, v5
	v_add_f32_e32 v8, 0, v19
	v_mul_f32_e32 v6, v34, v36
	v_mul_f32_e32 v12, v33, v36
	v_fma_f32 v18, v31, v29, -v38
	v_fmac_f32_e32 v30, v32, v29
	v_add_f32_e32 v5, v5, v7
	v_add_f32_e32 v7, v8, v28
	v_fma_f32 v6, v33, v35, -v6
	v_fmac_f32_e32 v12, v34, v35
	v_add_f32_e32 v5, v5, v18
	v_add_f32_e32 v7, v7, v30
	v_add_f32_e32 v5, v5, v6
	v_add_f32_e32 v6, v7, v12
	ds_write_b64 v26, v[5:6]
	s_waitcnt lgkmcnt(0)
	s_barrier
	buffer_gl0_inv
	s_and_saveexec_b32 s3, s2
	s_cbranch_execz .LBB115_69
; %bb.68:
	ds_read2_b64 v[5:8], v25 offset1:7
	ds_read2_b64 v[27:30], v25 offset0:1 offset1:2
	ds_read2_b64 v[31:34], v25 offset0:3 offset1:4
	;; [unrolled: 1-line block ×3, first 2 shown]
	s_waitcnt lgkmcnt(2)
	v_add_f32_e32 v5, v27, v5
	v_add_f32_e32 v6, v28, v6
	v_add_f32_e32 v5, v29, v5
	v_add_f32_e32 v6, v30, v6
	s_waitcnt lgkmcnt(1)
	v_add_f32_e32 v5, v5, v31
	v_add_f32_e32 v6, v6, v32
	v_add_f32_e32 v5, v5, v33
	v_add_f32_e32 v6, v6, v34
	s_waitcnt lgkmcnt(0)
	v_add_f32_e32 v5, v5, v35
	v_add_f32_e32 v6, v6, v36
	v_add_f32_e32 v5, v5, v37
	v_add_f32_e32 v6, v6, v38
	v_add_f32_e32 v59, v5, v7
	v_add_f32_e32 v60, v6, v8
.LBB115_69:
	s_or_b32 exec_lo, exec_lo, s3
	v_add_co_u32 v5, vcc_lo, 0xffffff00, v3
	v_add_co_ci_u32_e64 v6, null, -1, v4, vcc_lo
	s_and_b32 vcc_lo, exec_lo, s23
	s_barrier
	buffer_gl0_inv
	s_cbranch_vccz .LBB115_90
; %bb.70:
	v_sub_co_u32 v7, vcc_lo, v3, v10
	s_ashr_i32 s11, s10, 31
	v_subrev_co_ci_u32_e64 v8, null, 0, v4, vcc_lo
	s_lshl_b64 s[4:5], s[10:11], 3
	s_sub_i32 s8, s10, 32
	v_add_co_u32 v7, vcc_lo, v7, s4
	v_add_co_ci_u32_e64 v8, null, s5, v8, vcc_lo
	v_cmp_le_i32_e64 s3, s8, v9
	v_add_co_u32 v7, vcc_lo, 0xfffffef8, v7
	v_add_co_ci_u32_e64 v8, null, -1, v8, vcc_lo
	v_cmp_gt_i32_e32 vcc_lo, s10, v2
	v_add_nc_u32_e32 v12, v10, v11
	v_cndmask_b32_e32 v8, v8, v6, vcc_lo
	v_cndmask_b32_e32 v7, v7, v5, vcc_lo
	s_and_saveexec_b32 s11, s3
	s_xor_b32 s3, exec_lo, s11
; %bb.71:
	v_mov_b32_e32 v18, 0
	v_mov_b32_e32 v19, v18
	ds_write_b64 v12, v[18:19]
; %bb.72:
	s_andn2_saveexec_b32 s3, s3
	s_cbranch_execz .LBB115_74
; %bb.73:
	global_load_dwordx2 v[18:19], v[7:8], off
	s_waitcnt vmcnt(0)
	ds_write_b64 v12, v[18:19]
.LBB115_74:
	s_or_b32 exec_lo, exec_lo, s3
	v_add_nc_u32_e32 v2, 8, v9
	v_cmp_le_i32_e64 s3, s8, v2
	s_and_saveexec_b32 s11, s3
	s_xor_b32 s3, exec_lo, s11
; %bb.75:
	v_mov_b32_e32 v18, 0
	v_mov_b32_e32 v19, v18
	ds_write_b64 v12, v[18:19] offset:2112
; %bb.76:
	s_andn2_saveexec_b32 s11, s3
	s_cbranch_execz .LBB115_78
; %bb.77:
	s_lshl_b32 s20, s12, 3
	s_ashr_i32 s21, s20, 31
	s_lshl_b64 s[20:21], s[20:21], 3
	v_add_co_u32 v18, s3, v7, s20
	v_add_co_ci_u32_e64 v19, null, s21, v8, s3
	global_load_dwordx2 v[18:19], v[18:19], off
	s_waitcnt vmcnt(0)
	ds_write_b64 v12, v[18:19] offset:2112
.LBB115_78:
	s_or_b32 exec_lo, exec_lo, s11
	v_add_nc_u32_e32 v11, 16, v9
	v_cmp_le_i32_e64 s3, s8, v11
	s_and_saveexec_b32 s11, s3
	s_xor_b32 s3, exec_lo, s11
; %bb.79:
	v_mov_b32_e32 v18, 0
	v_mov_b32_e32 v19, v18
	ds_write_b64 v12, v[18:19] offset:4224
; %bb.80:
	s_andn2_saveexec_b32 s11, s3
	s_cbranch_execz .LBB115_82
; %bb.81:
	s_lshl_b32 s20, s12, 4
	s_ashr_i32 s21, s20, 31
	s_lshl_b64 s[20:21], s[20:21], 3
	v_add_co_u32 v18, s3, v7, s20
	v_add_co_ci_u32_e64 v19, null, s21, v8, s3
	global_load_dwordx2 v[18:19], v[18:19], off
	s_waitcnt vmcnt(0)
	ds_write_b64 v12, v[18:19] offset:4224
.LBB115_82:
	s_or_b32 exec_lo, exec_lo, s11
	v_add_nc_u32_e32 v27, 24, v9
	v_cmp_le_i32_e64 s3, s8, v27
	s_and_saveexec_b32 s8, s3
	s_xor_b32 s3, exec_lo, s8
; %bb.83:
	v_mov_b32_e32 v18, 0
	v_mov_b32_e32 v19, v18
	ds_write_b64 v12, v[18:19] offset:6336
                                        ; implicit-def: $vgpr12
; %bb.84:
	s_andn2_saveexec_b32 s8, s3
	s_cbranch_execz .LBB115_86
; %bb.85:
	s_mul_i32 s20, s12, 24
	s_ashr_i32 s21, s20, 31
	s_lshl_b64 s[20:21], s[20:21], 3
	v_add_co_u32 v18, s3, v7, s20
	v_add_co_ci_u32_e64 v19, null, s21, v8, s3
	global_load_dwordx2 v[18:19], v[18:19], off
	s_waitcnt vmcnt(0)
	ds_write_b64 v12, v[18:19] offset:6336
.LBB115_86:
	s_or_b32 exec_lo, exec_lo, s8
	v_add_co_u32 v7, s3, v7, v10
	v_add_co_ci_u32_e64 v8, null, 0, v8, s3
	v_sub_co_u32 v7, s3, v7, s4
	v_subrev_co_ci_u32_e64 v8, null, s5, v8, s3
	v_add_co_u32 v7, s3, v7, 8
	v_add_co_ci_u32_e64 v8, null, 0, v8, s3
	v_cndmask_b32_e32 v18, v7, v5, vcc_lo
	v_cndmask_b32_e32 v19, v8, v6, vcc_lo
	s_branch .LBB115_92
.LBB115_87:
	ds_read_b64 v[7:8], v21
	s_waitcnt lgkmcnt(0)
	ds_write_b64 v5, v[7:8]
	s_or_b32 exec_lo, exec_lo, s8
	v_add_nc_u32_e32 v22, v10, v6
	s_and_saveexec_b32 s2, s3
	s_cbranch_execz .LBB115_64
.LBB115_88:
	ds_read_b64 v[6:7], v22
	s_waitcnt lgkmcnt(0)
	ds_write_b64 v5, v[6:7] offset:8
	s_or_b32 exec_lo, exec_lo, s2
	s_and_saveexec_b32 s2, s4
	s_cbranch_execz .LBB115_65
.LBB115_89:
	ds_read_b64 v[6:7], v22 offset:264
	s_waitcnt lgkmcnt(0)
	ds_write_b64 v5, v[6:7] offset:16
	s_or_b32 exec_lo, exec_lo, s2
	v_add_nc_u32_e32 v23, 0x2380, v19
	s_and_saveexec_b32 s2, s5
	s_cbranch_execnz .LBB115_66
	s_branch .LBB115_67
.LBB115_90:
                                        ; implicit-def: $vgpr18_vgpr19
                                        ; implicit-def: $vgpr2
                                        ; implicit-def: $vgpr11
                                        ; implicit-def: $vgpr27
	s_cbranch_execz .LBB115_92
; %bb.91:
	s_lshl_b32 s4, s12, 3
	s_ashr_i32 s13, s12, 31
	s_ashr_i32 s5, s4, 31
	v_add_nc_u32_e32 v2, 8, v9
	s_lshl_b64 s[4:5], s[4:5], 3
	v_add_nc_u32_e32 v27, 24, v9
	v_add_co_u32 v7, vcc_lo, v3, s4
	v_add_co_ci_u32_e64 v8, null, s5, v4, vcc_lo
	s_lshl_b64 s[4:5], s[12:13], 6
	v_add_co_u32 v10, vcc_lo, v7, s4
	v_add_co_ci_u32_e64 v11, null, s5, v8, vcc_lo
	v_add_co_u32 v18, vcc_lo, v10, s4
	v_add_co_ci_u32_e64 v19, null, s5, v11, vcc_lo
	s_clause 0x3
	global_load_dwordx2 v[3:4], v[3:4], off offset:-256
	global_load_dwordx2 v[7:8], v[7:8], off offset:-256
	;; [unrolled: 1-line block ×4, first 2 shown]
	v_mov_b32_e32 v19, v6
	v_add_nc_u32_e32 v11, 16, v9
	v_mov_b32_e32 v18, v5
	s_waitcnt vmcnt(3)
	ds_write_b64 v13, v[3:4]
	s_waitcnt vmcnt(2)
	ds_write_b64 v13, v[7:8] offset:2112
	s_waitcnt vmcnt(1)
	ds_write_b64 v13, v[28:29] offset:4224
	;; [unrolled: 2-line block ×3, first 2 shown]
.LBB115_92:
	v_lshlrev_b32_e32 v3, 3, v9
	v_lshlrev_b32_e32 v2, 3, v2
	s_waitcnt lgkmcnt(0)
	s_barrier
	buffer_gl0_inv
	v_add_nc_u32_e32 v5, v25, v3
	v_lshlrev_b32_e32 v6, 3, v27
	v_lshlrev_b32_e32 v4, 3, v11
	v_add_nc_u32_e32 v7, v25, v2
	ds_read_b64 v[27:28], v5
	ds_read_b64 v[29:30], v2 offset:9088
	ds_read_b64 v[31:32], v3 offset:9088
	v_add_nc_u32_e32 v2, v25, v6
	v_add_nc_u32_e32 v8, v25, v4
	ds_read_b64 v[33:34], v7
	ds_read_b64 v[35:36], v8
	ds_read_b64 v[37:38], v6 offset:9088
	ds_read_b64 v[39:40], v4 offset:9088
	ds_read_b64 v[41:42], v2
	ds_read_b128 v[10:13], v23 offset:256
	ds_read_b128 v[2:5], v23 offset:272
	ds_read2_b64 v[6:9], v22 offset1:33
	ds_read_b64 v[22:23], v21
	ds_read_b64 v[20:21], v20
	s_waitcnt lgkmcnt(0)
	s_barrier
	buffer_gl0_inv
	v_mul_f32_e32 v44, v30, v34
	v_mul_f32_e32 v43, v32, v28
	;; [unrolled: 1-line block ×5, first 2 shown]
	v_fma_f32 v29, v29, v33, -v44
	v_fma_f32 v31, v31, v27, -v43
	v_fmac_f32_e32 v28, v32, v27
	v_mul_f32_e32 v27, v39, v36
	v_fmac_f32_e32 v34, v30, v33
	v_mul_f32_e32 v46, v38, v42
	v_add_f32_e32 v30, 0, v31
	v_add_f32_e32 v28, 0, v28
	v_mul_f32_e32 v31, v37, v42
	v_fma_f32 v32, v39, v35, -v45
	v_fmac_f32_e32 v27, v40, v35
	v_add_f32_e32 v29, v30, v29
	v_add_f32_e32 v28, v28, v34
	v_fma_f32 v30, v37, v41, -v46
	v_fmac_f32_e32 v31, v38, v41
	v_add_f32_e32 v29, v29, v32
	v_add_f32_e32 v28, v28, v27
	v_add_f32_e32 v27, v29, v30
	v_add_f32_e32 v28, v28, v31
	ds_write_b64 v26, v[27:28]
	s_waitcnt lgkmcnt(0)
	s_barrier
	buffer_gl0_inv
	s_and_saveexec_b32 s3, s2
	s_cbranch_execz .LBB115_94
; %bb.93:
	ds_read2_b64 v[27:30], v25 offset1:1
	ds_read2_b64 v[31:34], v25 offset0:2 offset1:3
	ds_read2_b64 v[35:38], v25 offset0:4 offset1:5
	s_waitcnt lgkmcnt(2)
	v_add_f32_e32 v27, v59, v27
	v_add_f32_e32 v28, v60, v28
	;; [unrolled: 1-line block ×4, first 2 shown]
	ds_read2_b64 v[27:30], v25 offset0:6 offset1:7
	s_waitcnt lgkmcnt(2)
	v_add_f32_e32 v31, v39, v31
	v_add_f32_e32 v32, v40, v32
	v_add_f32_e32 v31, v31, v33
	v_add_f32_e32 v32, v32, v34
	s_waitcnt lgkmcnt(1)
	v_add_f32_e32 v31, v31, v35
	v_add_f32_e32 v32, v32, v36
	v_add_f32_e32 v31, v31, v37
	v_add_f32_e32 v32, v32, v38
	;; [unrolled: 5-line block ×3, first 2 shown]
.LBB115_94:
	s_or_b32 exec_lo, exec_lo, s3
	v_mul_f32_e32 v27, v11, v23
	v_mul_f32_e32 v23, v10, v23
	;; [unrolled: 1-line block ×5, first 2 shown]
	v_fma_f32 v10, v10, v22, -v27
	v_fmac_f32_e32 v23, v11, v22
	v_mul_f32_e32 v9, v2, v9
	v_fma_f32 v12, v12, v6, -v28
	v_fmac_f32_e32 v7, v13, v6
	v_add_f32_e32 v10, 0, v10
	v_add_f32_e32 v6, 0, v23
	v_mul_f32_e32 v11, v5, v21
	v_mul_f32_e32 v13, v4, v21
	v_fma_f32 v2, v2, v8, -v29
	v_add_f32_e32 v10, v10, v12
	v_fmac_f32_e32 v9, v3, v8
	v_add_f32_e32 v3, v6, v7
	v_fma_f32 v4, v4, v20, -v11
	v_fmac_f32_e32 v13, v5, v20
	v_add_f32_e32 v2, v10, v2
	v_add_f32_e32 v3, v3, v9
	s_barrier
	buffer_gl0_inv
	v_add_f32_e32 v2, v2, v4
	v_add_f32_e32 v3, v3, v13
	ds_write_b64 v26, v[2:3]
	s_waitcnt lgkmcnt(0)
	s_barrier
	buffer_gl0_inv
	s_and_saveexec_b32 s2, s1
	s_cbranch_execz .LBB115_96
; %bb.95:
	ds_read2_b64 v[2:5], v25 offset1:1
	ds_read2_b64 v[6:9], v25 offset0:2 offset1:3
	ds_read2_b64 v[10:13], v25 offset0:4 offset1:5
	s_waitcnt lgkmcnt(2)
	v_add_f32_e32 v2, v59, v2
	v_add_f32_e32 v3, v60, v3
	;; [unrolled: 1-line block ×4, first 2 shown]
	ds_read2_b64 v[2:5], v25 offset0:6 offset1:7
	s_waitcnt lgkmcnt(2)
	v_add_f32_e32 v6, v20, v6
	v_add_f32_e32 v7, v21, v7
	v_add_f32_e32 v6, v6, v8
	v_add_f32_e32 v7, v7, v9
	s_waitcnt lgkmcnt(1)
	v_add_f32_e32 v6, v6, v10
	v_add_f32_e32 v7, v7, v11
	v_add_f32_e32 v6, v6, v12
	v_add_f32_e32 v7, v7, v13
	;; [unrolled: 5-line block ×3, first 2 shown]
.LBB115_96:
	s_or_b32 exec_lo, exec_lo, s2
	s_mul_hi_u32 s1, s9, s7
	s_mul_i32 s25, s25, s7
	s_mul_i32 s2, s9, s7
	s_add_i32 s1, s1, s25
	s_mul_hi_u32 s3, s2, s26
	s_mul_i32 s1, s1, s26
	s_mul_i32 s2, s2, s26
	s_add_i32 s3, s3, s1
	s_mul_hi_i32 s5, s9, s6
	s_lshl_b64 s[2:3], s[2:3], 3
	s_mul_i32 s4, s9, s6
	s_add_u32 s1, s14, s2
	s_addc_u32 s8, s15, s3
	s_lshl_b64 s[2:3], s[4:5], 3
	v_lshlrev_b32_e32 v96, 3, v0
	s_add_u32 s7, s1, s2
	s_addc_u32 s11, s8, s3
	s_add_i32 s4, s6, 1
	s_cmp_ge_u32 s4, s26
	s_barrier
	buffer_gl0_inv
	s_cbranch_scc1 .LBB115_154
; %bb.97:
	v_lshlrev_b32_e32 v97, 2, v1
	s_mul_i32 s2, s24, s22
	s_ashr_i32 s13, s12, 31
	s_ashr_i32 s3, s2, 31
	s_lshl_b32 s30, s24, 6
	v_mad_u64_u32 v[2:3], null, s12, v97, v[0:1]
	s_lshl_b64 s[2:3], s[2:3], 3
	s_lshl_b32 s22, s12, 1
	v_sub_co_u32 v98, vcc_lo, v16, s2
	s_lshl_b32 s2, s12, 4
	v_subrev_co_ci_u32_e64 v99, null, s3, v17, vcc_lo
	v_ashrrev_i32_e32 v3, 31, v2
	s_ashr_i32 s3, s2, 31
	s_mul_i32 s34, s12, 3
	s_mul_i32 s24, s24, s4
	s_lshl_b64 s[14:15], s[12:13], 4
	v_lshlrev_b64 v[4:5], 3, v[2:3]
	s_add_i32 s29, s26, -2
	s_ashr_i32 s23, s22, 31
	s_ashr_i32 s35, s34, 31
	s_lshl_b64 s[20:21], s[12:13], 3
	s_lshl_b32 s4, s24, 6
	s_lshl_b64 s[8:9], s[2:3], 5
	s_add_u32 s5, s14, s18
	v_add_co_u32 v11, vcc_lo, s18, v4
	s_addc_u32 s13, s15, s19
	s_add_u32 s31, s20, s18
	v_add_co_ci_u32_e64 v12, null, s19, v5, vcc_lo
	v_add_co_u32 v13, vcc_lo, s5, v4
	s_addc_u32 s33, s21, s19
	s_lshl_b64 s[24:25], s[22:23], 3
	v_add_co_ci_u32_e64 v16, null, s13, v5, vcc_lo
	v_add_co_u32 v17, vcc_lo, s31, v4
	s_add_u32 s36, s18, s24
	s_addc_u32 s37, s19, s25
	s_lshl_b64 s[22:23], s[34:35], 3
	v_add_co_ci_u32_e64 v20, null, s33, v5, vcc_lo
	v_add_co_u32 v21, vcc_lo, s36, v4
	s_add_u32 s36, s18, s22
	v_add_co_ci_u32_e64 v22, null, s37, v5, vcc_lo
	s_addc_u32 s37, s19, s23
	s_lshl_b64 s[34:35], s[2:3], 3
	v_add_co_u32 v23, vcc_lo, s36, v4
	s_add_u32 s36, s18, s34
	v_lshrrev_b32_e32 v8, 4, v24
	v_cmp_gt_u32_e64 s1, 64, v24
	v_add_co_ci_u32_e64 v24, null, s37, v5, vcc_lo
	s_addc_u32 s37, s19, s35
	v_add_co_u32 v25, vcc_lo, s36, v4
	s_add_u32 s31, s31, s34
	v_add_co_ci_u32_e64 v26, null, s37, v5, vcc_lo
	s_addc_u32 s33, s33, s35
	v_add_co_u32 v27, vcc_lo, s31, v4
	s_add_u32 s31, s36, s24
	;; [unrolled: 4-line block ×4, first 2 shown]
	v_add_co_ci_u32_e64 v32, null, s33, v5, vcc_lo
	s_addc_u32 s33, s37, s23
	s_lshl_b64 s[34:35], s[2:3], 4
	v_add_co_u32 v33, vcc_lo, s31, v4
	s_add_u32 s3, s34, s18
	s_addc_u32 s18, s35, s19
	v_add_co_ci_u32_e64 v34, null, s33, v5, vcc_lo
	v_add_co_u32 v35, vcc_lo, s3, v4
	s_add_u32 s19, s3, s20
	v_add_co_ci_u32_e64 v36, null, s18, v5, vcc_lo
	s_addc_u32 s31, s18, s21
	v_add_co_u32 v37, vcc_lo, s19, v4
	v_add_co_ci_u32_e64 v38, null, s31, v5, vcc_lo
	v_add_co_u32 v2, vcc_lo, s16, v2
	v_add_co_ci_u32_e64 v3, null, s17, v3, vcc_lo
	s_add_u32 s19, s3, s24
	s_addc_u32 s31, s18, s25
	v_add_co_u32 v39, vcc_lo, s19, v4
	v_lshlrev_b64 v[2:3], 3, v[2:3]
	s_add_u32 s5, s5, s34
	s_addc_u32 s13, s13, s35
	v_add_co_ci_u32_e64 v40, null, s31, v5, vcc_lo
	v_add_co_u32 v41, vcc_lo, s5, v4
	v_mad_i64_i32 v[6:7], null, s2, 24, v[2:3]
	s_add_u32 s3, s3, s22
	v_add_co_ci_u32_e64 v42, null, s13, v5, vcc_lo
	s_addc_u32 s5, s18, s23
	v_add_co_u32 v4, vcc_lo, s3, v4
	v_add_co_ci_u32_e64 v5, null, s5, v5, vcc_lo
	v_add_co_u32 v103, vcc_lo, v18, v6
	s_mul_i32 s3, s12, 0x180
	v_add_co_ci_u32_e64 v104, null, v19, v7, vcc_lo
	v_add_co_u32 v43, vcc_lo, v6, s20
	s_mul_hi_i32 s2, s2, 24
	v_add_co_ci_u32_e64 v44, null, s21, v7, vcc_lo
	v_add_co_u32 v45, vcc_lo, v6, s24
	s_add_u32 s3, s3, s14
	v_add_co_ci_u32_e64 v46, null, s25, v7, vcc_lo
	s_addc_u32 s2, s2, s15
	v_add_co_u32 v2, vcc_lo, s3, v2
	v_add_co_ci_u32_e64 v3, null, s2, v3, vcc_lo
	v_add_co_u32 v6, vcc_lo, v6, s22
	v_add_co_ci_u32_e64 v7, null, s23, v7, vcc_lo
	;; [unrolled: 2-line block ×17, first 2 shown]
	v_add_co_u32 v135, vcc_lo, v18, v43
	v_and_b32_e32 v9, 15, v0
	v_and_b32_e32 v10, 48, v0
	v_lshlrev_b32_e32 v47, 5, v8
	v_add_co_ci_u32_e64 v136, null, v19, v44, vcc_lo
	v_add_co_u32 v137, vcc_lo, v18, v45
	v_add_co_ci_u32_e64 v138, null, v19, v46, vcc_lo
	v_add_co_u32 v139, vcc_lo, v18, v2
	v_lshlrev_b32_e32 v10, 3, v10
	v_add_co_ci_u32_e64 v140, null, v19, v3, vcc_lo
	v_or_b32_e32 v2, 0x78, v96
	v_mad_u32_u24 v144, 0x218, v9, v47
	v_mul_i32_i24_e32 v3, 0xffffffe8, v8
	v_add_co_u32 v141, vcc_lo, v18, v6
	v_add_co_ci_u32_e64 v142, null, v19, v7, vcc_lo
	v_sub_co_u32 v147, vcc_lo, 0, v14
	v_add_nc_u32_e32 v100, 0x2180, v96
	v_lshl_add_u32 v101, v1, 5, 0x2180
	v_add_nc_u32_e32 v102, 0x2380, v96
	v_mad_u32_u24 v143, 0x860, v1, v96
	v_mad_u32_u24 v145, 0x218, v9, v10
	;; [unrolled: 1-line block ×3, first 2 shown]
	v_sub_co_ci_u32_e64 v148, null, 0, v15, vcc_lo
	v_add_nc_u32_e32 v149, v144, v3
	v_add_nc_u32_e32 v150, 49, v97
	;; [unrolled: 1-line block ×5, first 2 shown]
	v_mov_b32_e32 v63, 0
	s_cmp_eq_u32 s29, s6
	s_cselect_b32 s3, s27, 0
	s_and_saveexec_b32 s2, s0
	s_cbranch_execz .LBB115_102
.LBB115_98:
	v_cmp_le_i32_e32 vcc_lo, s3, v0
	s_cmp_lg_u32 s3, 0
	s_cselect_b32 s5, -1, 0
	s_and_b32 s5, s5, vcc_lo
	s_and_saveexec_b32 s12, s5
	s_xor_b32 s5, exec_lo, s12
; %bb.99:
	v_mov_b32_e32 v64, v63
	ds_write_b64 v100, v[63:64]
; %bb.100:
	s_andn2_saveexec_b32 s5, s5
	s_cbranch_execz .LBB115_102
; %bb.101:
	s_ashr_i32 s5, s4, 31
	s_lshl_b64 s[12:13], s[4:5], 3
	v_add_co_u32 v2, vcc_lo, v98, s12
	v_add_co_ci_u32_e64 v3, null, s13, v99, vcc_lo
	global_load_dwordx2 v[2:3], v[2:3], off
	s_waitcnt vmcnt(0)
	ds_write_b64 v100, v[2:3]
.LBB115_102:                            ; =>This Inner Loop Header: Depth=1
	s_or_b32 exec_lo, exec_lo, s2
	s_cmp_eq_u32 s3, 0
	v_add_co_u32 v2, vcc_lo, v105, v147
	s_cselect_b32 s5, -1, 0
	s_cmp_lg_u32 s3, 0
	v_add_co_ci_u32_e64 v3, null, v106, v148, vcc_lo
	s_cselect_b32 s2, -1, 0
	s_waitcnt lgkmcnt(0)
	s_and_b32 vcc_lo, exec_lo, s2
	s_barrier
	buffer_gl0_inv
	s_cbranch_vccz .LBB115_110
; %bb.103:                              ;   in Loop: Header=BB115_102 Depth=1
	v_mov_b32_e32 v64, 0
	v_mov_b32_e32 v66, 0
	;; [unrolled: 1-line block ×4, first 2 shown]
	s_mov_b32 s12, exec_lo
	v_cmpx_gt_i32_e64 s3, v97
	s_cbranch_execz .LBB115_105
; %bb.104:                              ;   in Loop: Header=BB115_102 Depth=1
	global_load_dwordx2 v[66:67], v[2:3], off
.LBB115_105:                            ;   in Loop: Header=BB115_102 Depth=1
	s_or_b32 exec_lo, exec_lo, s12
	v_or_b32_e32 v4, 1, v97
	s_mov_b32 s12, exec_lo
	v_cmpx_gt_i32_e64 s3, v4
	s_cbranch_execz .LBB115_107
; %bb.106:                              ;   in Loop: Header=BB115_102 Depth=1
	v_add_co_u32 v4, vcc_lo, v109, v147
	v_add_co_ci_u32_e64 v5, null, v110, v148, vcc_lo
	global_load_dwordx2 v[64:65], v[4:5], off
.LBB115_107:                            ;   in Loop: Header=BB115_102 Depth=1
	s_or_b32 exec_lo, exec_lo, s12
	v_mov_b32_e32 v68, 0
	v_or_b32_e32 v4, 2, v97
	v_mov_b32_e32 v69, 0
	s_mov_b32 s12, exec_lo
	v_cmpx_gt_i32_e64 s3, v4
	s_cbranch_execz .LBB115_109
; %bb.108:                              ;   in Loop: Header=BB115_102 Depth=1
	v_add_co_u32 v4, vcc_lo, v111, v147
	v_add_co_ci_u32_e64 v5, null, v112, v148, vcc_lo
	global_load_dwordx2 v[68:69], v[4:5], off
.LBB115_109:                            ;   in Loop: Header=BB115_102 Depth=1
	s_or_b32 exec_lo, exec_lo, s12
	v_or_b32_e32 v4, 3, v97
	v_cmp_gt_i32_e64 s12, s3, v4
	s_branch .LBB115_112
.LBB115_110:                            ;   in Loop: Header=BB115_102 Depth=1
	s_mov_b32 s12, 0
                                        ; implicit-def: $vgpr68_vgpr69
                                        ; implicit-def: $vgpr64_vgpr65
                                        ; implicit-def: $vgpr66_vgpr67
	s_cbranch_execz .LBB115_112
; %bb.111:                              ;   in Loop: Header=BB115_102 Depth=1
	v_add_co_u32 v4, vcc_lo, v109, v147
	v_add_co_ci_u32_e64 v5, null, v110, v148, vcc_lo
	v_add_co_u32 v6, vcc_lo, v107, v147
	v_add_co_ci_u32_e64 v7, null, v108, v148, vcc_lo
	global_load_dwordx2 v[66:67], v[2:3], off
	global_load_dwordx2 v[64:65], v[4:5], off
	;; [unrolled: 1-line block ×3, first 2 shown]
	s_or_b32 s12, s12, exec_lo
.LBB115_112:                            ;   in Loop: Header=BB115_102 Depth=1
	v_mov_b32_e32 v70, 0
	v_mov_b32_e32 v71, 0
	s_and_saveexec_b32 s13, s12
	s_cbranch_execz .LBB115_114
; %bb.113:                              ;   in Loop: Header=BB115_102 Depth=1
	v_add_co_u32 v2, vcc_lo, v113, v147
	v_add_co_ci_u32_e64 v3, null, v114, v148, vcc_lo
	global_load_dwordx2 v[70:71], v[2:3], off
.LBB115_114:                            ;   in Loop: Header=BB115_102 Depth=1
	s_or_b32 exec_lo, exec_lo, s13
	ds_read_b64 v[2:3], v102
	v_cndmask_b32_e64 v42, 0, 1, s2
	s_waitcnt vmcnt(0) lgkmcnt(0)
	v_mul_f32_e32 v4, v3, v67
	v_mul_f32_e32 v11, v3, v66
	;; [unrolled: 1-line block ×8, first 2 shown]
	v_fma_f32 v10, v2, v66, -v4
	v_fmac_f32_e32 v11, v2, v67
	v_fma_f32 v12, v2, v64, -v5
	v_fmac_f32_e32 v13, v2, v65
	;; [unrolled: 2-line block ×4, first 2 shown]
	ds_read_b128 v[6:9], v101
	ds_read_b128 v[2:5], v101 offset:16
	ds_write2_b64 v143, v[10:11], v[12:13] offset1:67
	ds_write2_b64 v143, v[14:15], v[16:17] offset0:134 offset1:201
	s_waitcnt lgkmcnt(0)
	s_barrier
	buffer_gl0_inv
	ds_read2_b64 v[18:21], v144 offset1:1
	ds_read2_b64 v[14:17], v144 offset0:2 offset1:3
	v_add_co_u32 v10, vcc_lo, v115, v147
	v_add_co_ci_u32_e64 v11, null, v116, v148, vcc_lo
	s_andn2_b32 vcc_lo, exec_lo, s2
	s_waitcnt lgkmcnt(0)
	s_barrier
	buffer_gl0_inv
	s_cbranch_vccnz .LBB115_122
; %bb.115:                              ;   in Loop: Header=BB115_102 Depth=1
	v_mov_b32_e32 v72, 0
	v_mov_b32_e32 v74, 0
	v_add_nc_u32_e32 v12, 16, v97
	v_mov_b32_e32 v73, 0
	v_mov_b32_e32 v75, 0
	s_mov_b32 s2, exec_lo
	v_cmpx_gt_i32_e64 s3, v12
	s_cbranch_execz .LBB115_117
; %bb.116:                              ;   in Loop: Header=BB115_102 Depth=1
	global_load_dwordx2 v[74:75], v[10:11], off
.LBB115_117:                            ;   in Loop: Header=BB115_102 Depth=1
	s_or_b32 exec_lo, exec_lo, s2
	v_add_nc_u32_e32 v12, 17, v97
	s_mov_b32 s2, exec_lo
	v_cmpx_gt_i32_e64 s3, v12
	s_cbranch_execz .LBB115_119
; %bb.118:                              ;   in Loop: Header=BB115_102 Depth=1
	v_add_co_u32 v12, vcc_lo, v117, v147
	v_add_co_ci_u32_e64 v13, null, v118, v148, vcc_lo
	global_load_dwordx2 v[72:73], v[12:13], off
.LBB115_119:                            ;   in Loop: Header=BB115_102 Depth=1
	s_or_b32 exec_lo, exec_lo, s2
	v_mov_b32_e32 v76, 0
	v_add_nc_u32_e32 v12, 18, v97
	v_mov_b32_e32 v77, 0
	s_mov_b32 s2, exec_lo
	v_cmpx_gt_i32_e64 s3, v12
	s_cbranch_execz .LBB115_121
; %bb.120:                              ;   in Loop: Header=BB115_102 Depth=1
	v_add_co_u32 v12, vcc_lo, v119, v147
	v_add_co_ci_u32_e64 v13, null, v120, v148, vcc_lo
	global_load_dwordx2 v[76:77], v[12:13], off
.LBB115_121:                            ;   in Loop: Header=BB115_102 Depth=1
	s_or_b32 exec_lo, exec_lo, s2
	v_add_nc_u32_e32 v12, 19, v97
	v_cmp_gt_i32_e64 s2, s3, v12
	s_branch .LBB115_124
.LBB115_122:                            ;   in Loop: Header=BB115_102 Depth=1
	s_mov_b32 s2, 0
                                        ; implicit-def: $vgpr76_vgpr77
                                        ; implicit-def: $vgpr72_vgpr73
                                        ; implicit-def: $vgpr74_vgpr75
	s_cbranch_execz .LBB115_124
; %bb.123:                              ;   in Loop: Header=BB115_102 Depth=1
	v_add_co_u32 v12, vcc_lo, v117, v147
	v_add_co_ci_u32_e64 v13, null, v118, v148, vcc_lo
	v_add_co_u32 v22, vcc_lo, v121, v147
	v_add_co_ci_u32_e64 v23, null, v122, v148, vcc_lo
	global_load_dwordx2 v[74:75], v[10:11], off
	global_load_dwordx2 v[72:73], v[12:13], off
	;; [unrolled: 1-line block ×3, first 2 shown]
	s_or_b32 s2, s2, exec_lo
.LBB115_124:                            ;   in Loop: Header=BB115_102 Depth=1
	v_mov_b32_e32 v78, 0
	v_mov_b32_e32 v79, 0
	s_and_saveexec_b32 s12, s2
	s_cbranch_execz .LBB115_126
; %bb.125:                              ;   in Loop: Header=BB115_102 Depth=1
	v_add_co_u32 v10, vcc_lo, v123, v147
	v_add_co_ci_u32_e64 v11, null, v124, v148, vcc_lo
	global_load_dwordx2 v[78:79], v[10:11], off
.LBB115_126:                            ;   in Loop: Header=BB115_102 Depth=1
	s_or_b32 exec_lo, exec_lo, s12
	ds_read_b64 v[10:11], v102
	v_cmp_ne_u32_e32 vcc_lo, 1, v42
	s_and_b32 vcc_lo, exec_lo, vcc_lo
	s_waitcnt vmcnt(0) lgkmcnt(0)
	v_mul_f32_e32 v12, v11, v75
	v_mul_f32_e32 v27, v11, v74
	;; [unrolled: 1-line block ×8, first 2 shown]
	v_fma_f32 v26, v10, v74, -v12
	v_fmac_f32_e32 v27, v10, v75
	v_fma_f32 v28, v10, v72, -v13
	v_fmac_f32_e32 v29, v10, v73
	;; [unrolled: 2-line block ×4, first 2 shown]
	ds_read_b128 v[22:25], v101 offset:128
	ds_read_b128 v[10:13], v101 offset:144
	ds_write2_b64 v143, v[26:27], v[28:29] offset1:67
	ds_write2_b64 v143, v[30:31], v[32:33] offset0:134 offset1:201
	s_waitcnt lgkmcnt(0)
	s_barrier
	buffer_gl0_inv
	ds_read2_b64 v[38:41], v144 offset1:1
	ds_read2_b64 v[34:37], v144 offset0:2 offset1:3
	v_add_co_u32 v26, s2, v125, v147
	v_add_co_ci_u32_e64 v27, null, v126, v148, s2
	s_waitcnt lgkmcnt(0)
	s_barrier
	buffer_gl0_inv
	s_cbranch_vccnz .LBB115_134
; %bb.127:                              ;   in Loop: Header=BB115_102 Depth=1
	v_mov_b32_e32 v80, 0
	v_mov_b32_e32 v82, 0
	v_add_nc_u32_e32 v28, 32, v97
	v_mov_b32_e32 v81, 0
	v_mov_b32_e32 v83, 0
	s_mov_b32 s2, exec_lo
	v_cmpx_gt_i32_e64 s3, v28
	s_cbranch_execz .LBB115_129
; %bb.128:                              ;   in Loop: Header=BB115_102 Depth=1
	global_load_dwordx2 v[82:83], v[26:27], off
.LBB115_129:                            ;   in Loop: Header=BB115_102 Depth=1
	s_or_b32 exec_lo, exec_lo, s2
	v_add_nc_u32_e32 v28, 33, v97
	s_mov_b32 s2, exec_lo
	v_cmpx_gt_i32_e64 s3, v28
	s_cbranch_execz .LBB115_131
; %bb.130:                              ;   in Loop: Header=BB115_102 Depth=1
	v_add_co_u32 v28, vcc_lo, v127, v147
	v_add_co_ci_u32_e64 v29, null, v128, v148, vcc_lo
	global_load_dwordx2 v[80:81], v[28:29], off
.LBB115_131:                            ;   in Loop: Header=BB115_102 Depth=1
	s_or_b32 exec_lo, exec_lo, s2
	v_mov_b32_e32 v84, 0
	v_add_nc_u32_e32 v28, 34, v97
	v_mov_b32_e32 v85, 0
	s_mov_b32 s2, exec_lo
	v_cmpx_gt_i32_e64 s3, v28
	s_cbranch_execz .LBB115_133
; %bb.132:                              ;   in Loop: Header=BB115_102 Depth=1
	v_add_co_u32 v28, vcc_lo, v129, v147
	v_add_co_ci_u32_e64 v29, null, v130, v148, vcc_lo
	global_load_dwordx2 v[84:85], v[28:29], off
.LBB115_133:                            ;   in Loop: Header=BB115_102 Depth=1
	s_or_b32 exec_lo, exec_lo, s2
	v_add_nc_u32_e32 v28, 35, v97
	v_cmp_gt_i32_e64 s2, s3, v28
	s_branch .LBB115_136
.LBB115_134:                            ;   in Loop: Header=BB115_102 Depth=1
	s_mov_b32 s2, 0
                                        ; implicit-def: $vgpr84_vgpr85
                                        ; implicit-def: $vgpr80_vgpr81
                                        ; implicit-def: $vgpr82_vgpr83
	s_cbranch_execz .LBB115_136
; %bb.135:                              ;   in Loop: Header=BB115_102 Depth=1
	v_add_co_u32 v28, vcc_lo, v127, v147
	v_add_co_ci_u32_e64 v29, null, v128, v148, vcc_lo
	v_add_co_u32 v30, vcc_lo, v131, v147
	v_add_co_ci_u32_e64 v31, null, v132, v148, vcc_lo
	global_load_dwordx2 v[82:83], v[26:27], off
	global_load_dwordx2 v[80:81], v[28:29], off
	;; [unrolled: 1-line block ×3, first 2 shown]
	s_or_b32 s2, s2, exec_lo
.LBB115_136:                            ;   in Loop: Header=BB115_102 Depth=1
	v_mov_b32_e32 v86, 0
	v_mov_b32_e32 v87, 0
	s_and_saveexec_b32 s12, s2
	s_cbranch_execz .LBB115_138
; %bb.137:                              ;   in Loop: Header=BB115_102 Depth=1
	v_add_co_u32 v26, vcc_lo, v133, v147
	v_add_co_ci_u32_e64 v27, null, v134, v148, vcc_lo
	global_load_dwordx2 v[86:87], v[26:27], off
.LBB115_138:                            ;   in Loop: Header=BB115_102 Depth=1
	s_or_b32 exec_lo, exec_lo, s12
	ds_read_b64 v[26:27], v102
	v_cmp_ne_u32_e32 vcc_lo, 1, v42
	v_add_co_u32 v42, s2, v103, v147
	s_and_b32 vcc_lo, exec_lo, vcc_lo
	s_waitcnt vmcnt(0) lgkmcnt(0)
	v_mul_f32_e32 v28, v27, v83
	v_mul_f32_e32 v44, v27, v82
	;; [unrolled: 1-line block ×8, first 2 shown]
	v_fma_f32 v43, v26, v82, -v28
	v_fmac_f32_e32 v44, v26, v83
	v_fma_f32 v45, v26, v80, -v29
	v_fmac_f32_e32 v46, v26, v81
	;; [unrolled: 2-line block ×4, first 2 shown]
	ds_read_b128 v[30:33], v101 offset:256
	ds_read_b128 v[26:29], v101 offset:272
	ds_write2_b64 v143, v[43:44], v[45:46] offset1:67
	ds_write2_b64 v143, v[47:48], v[49:50] offset0:134 offset1:201
	s_waitcnt lgkmcnt(0)
	s_barrier
	buffer_gl0_inv
	ds_read2_b64 v[54:57], v144 offset1:1
	ds_read2_b64 v[50:53], v144 offset0:2 offset1:3
	v_add_co_ci_u32_e64 v43, null, v104, v148, s2
	s_waitcnt lgkmcnt(0)
	s_barrier
	buffer_gl0_inv
	s_cbranch_vccnz .LBB115_146
; %bb.139:                              ;   in Loop: Header=BB115_102 Depth=1
	v_mov_b32_e32 v88, 0
	v_mov_b32_e32 v90, 0
	v_add_nc_u32_e32 v44, 48, v97
	v_mov_b32_e32 v89, 0
	v_mov_b32_e32 v91, 0
	s_mov_b32 s2, exec_lo
	v_cmpx_gt_i32_e64 s3, v44
	s_cbranch_execz .LBB115_141
; %bb.140:                              ;   in Loop: Header=BB115_102 Depth=1
	global_load_dwordx2 v[90:91], v[42:43], off
.LBB115_141:                            ;   in Loop: Header=BB115_102 Depth=1
	s_or_b32 exec_lo, exec_lo, s2
	s_mov_b32 s2, exec_lo
	v_cmpx_gt_i32_e64 s3, v150
	s_cbranch_execz .LBB115_143
; %bb.142:                              ;   in Loop: Header=BB115_102 Depth=1
	v_add_co_u32 v44, vcc_lo, v135, v147
	v_add_co_ci_u32_e64 v45, null, v136, v148, vcc_lo
	global_load_dwordx2 v[88:89], v[44:45], off
.LBB115_143:                            ;   in Loop: Header=BB115_102 Depth=1
	s_or_b32 exec_lo, exec_lo, s2
	v_mov_b32_e32 v92, 0
	v_mov_b32_e32 v93, 0
	s_mov_b32 s2, exec_lo
	v_cmpx_gt_i32_e64 s3, v151
	s_cbranch_execz .LBB115_145
; %bb.144:                              ;   in Loop: Header=BB115_102 Depth=1
	v_add_co_u32 v44, vcc_lo, v137, v147
	v_add_co_ci_u32_e64 v45, null, v138, v148, vcc_lo
	global_load_dwordx2 v[92:93], v[44:45], off
.LBB115_145:                            ;   in Loop: Header=BB115_102 Depth=1
	s_or_b32 exec_lo, exec_lo, s2
	v_cmp_gt_i32_e64 s2, s3, v152
	s_branch .LBB115_148
.LBB115_146:                            ;   in Loop: Header=BB115_102 Depth=1
	s_mov_b32 s2, 0
                                        ; implicit-def: $vgpr92_vgpr93
                                        ; implicit-def: $vgpr88_vgpr89
                                        ; implicit-def: $vgpr90_vgpr91
	s_cbranch_execz .LBB115_148
; %bb.147:                              ;   in Loop: Header=BB115_102 Depth=1
	v_add_co_u32 v44, vcc_lo, v135, v147
	v_add_co_ci_u32_e64 v45, null, v136, v148, vcc_lo
	v_add_co_u32 v46, vcc_lo, v139, v147
	v_add_co_ci_u32_e64 v47, null, v140, v148, vcc_lo
	global_load_dwordx2 v[90:91], v[42:43], off
	global_load_dwordx2 v[88:89], v[44:45], off
	;; [unrolled: 1-line block ×3, first 2 shown]
	s_or_b32 s2, s2, exec_lo
.LBB115_148:                            ;   in Loop: Header=BB115_102 Depth=1
	v_mov_b32_e32 v94, 0
	v_mov_b32_e32 v95, 0
	s_and_saveexec_b32 s12, s2
	s_cbranch_execz .LBB115_150
; %bb.149:                              ;   in Loop: Header=BB115_102 Depth=1
	v_add_co_u32 v42, vcc_lo, v141, v147
	v_add_co_ci_u32_e64 v43, null, v142, v148, vcc_lo
	global_load_dwordx2 v[94:95], v[42:43], off
.LBB115_150:                            ;   in Loop: Header=BB115_102 Depth=1
	s_or_b32 exec_lo, exec_lo, s12
	ds_read_b64 v[42:43], v102
	v_add_f32_e32 v54, 0, v54
	v_add_f32_e32 v55, 0, v55
	v_add_f32_e32 v38, 0, v38
	v_add_f32_e32 v19, 0, v19
	v_add_f32_e32 v39, 0, v39
	v_add_f32_e32 v62, v54, v56
	v_add_f32_e32 v18, 0, v18
	v_add_f32_e32 v38, v38, v40
	v_add_f32_e32 v19, v19, v21
	v_add_f32_e32 v39, v39, v41
	v_cmp_gt_i32_e32 vcc_lo, s3, v0
	v_add_f32_e32 v18, v18, v20
	v_add_f32_e32 v34, v38, v34
	;; [unrolled: 1-line block ×8, first 2 shown]
	s_waitcnt vmcnt(0) lgkmcnt(0)
	v_mul_f32_e32 v44, v43, v91
	v_mul_f32_e32 v154, v43, v90
	;; [unrolled: 1-line block ×8, first 2 shown]
	v_fma_f32 v153, v42, v90, -v44
	v_fmac_f32_e32 v154, v42, v91
	v_fma_f32 v155, v42, v88, -v45
	v_fmac_f32_e32 v156, v42, v89
	;; [unrolled: 2-line block ×4, first 2 shown]
	ds_read_b128 v[46:49], v101 offset:384
	ds_read_b128 v[42:45], v101 offset:400
	ds_write2_b64 v143, v[153:154], v[155:156] offset1:67
	ds_write2_b64 v143, v[157:158], v[159:160] offset0:134 offset1:201
	s_waitcnt lgkmcnt(0)
	s_barrier
	buffer_gl0_inv
	ds_read2_b64 v[153:156], v144 offset1:1
	v_add_f32_e32 v157, v55, v57
	ds_read2_b64 v[54:57], v144 offset0:2 offset1:3
	v_add_f32_e32 v16, v39, v16
	v_add_f32_e32 v17, v41, v17
	s_or_b32 s2, s5, vcc_lo
	v_add_f32_e32 v21, v157, v51
	s_and_b32 s3, s1, s2
	s_waitcnt lgkmcnt(0)
	s_barrier
	buffer_gl0_inv
	v_add_f32_e32 v15, v21, v53
	v_add_f32_e32 v38, 0, v153
	;; [unrolled: 1-line block ×10, first 2 shown]
	ds_write2_b64 v149, v[16:17], v[18:19] offset1:16
	ds_write2_b64 v149, v[14:15], v[20:21] offset0:32 offset1:48
	s_waitcnt lgkmcnt(0)
	s_barrier
	buffer_gl0_inv
	s_and_saveexec_b32 s2, s3
	s_cbranch_execz .LBB115_152
; %bb.151:                              ;   in Loop: Header=BB115_102 Depth=1
	ds_read_b64 v[38:39], v145
	ds_read2_b64 v[14:17], v145 offset0:1 offset1:2
	ds_read2_b64 v[18:21], v145 offset0:3 offset1:4
	;; [unrolled: 1-line block ×3, first 2 shown]
	v_ashrrev_i32_e32 v62, 31, v61
	s_waitcnt lgkmcnt(2)
	v_add_f32_e32 v14, v14, v38
	v_add_f32_e32 v15, v15, v39
	v_add_f32_e32 v38, v16, v14
	v_add_f32_e32 v39, v17, v15
	ds_read2_b64 v[14:17], v145 offset0:7 offset1:8
	s_waitcnt lgkmcnt(2)
	v_add_f32_e32 v18, v38, v18
	v_add_f32_e32 v19, v39, v19
	v_add_f32_e32 v38, v18, v20
	v_add_f32_e32 v39, v19, v21
	ds_read2_b64 v[18:21], v145 offset0:9 offset1:10
	s_waitcnt lgkmcnt(2)
	v_add_f32_e32 v34, v38, v34
	v_add_f32_e32 v35, v39, v35
	v_add_f32_e32 v38, v34, v36
	v_add_f32_e32 v39, v35, v37
	ds_read2_b64 v[34:37], v145 offset0:11 offset1:12
	s_waitcnt lgkmcnt(2)
	v_add_f32_e32 v14, v38, v14
	v_add_f32_e32 v15, v39, v15
	v_add_f32_e32 v38, v14, v16
	v_add_f32_e32 v39, v15, v17
	ds_read2_b64 v[14:17], v145 offset0:13 offset1:14
	s_waitcnt lgkmcnt(2)
	v_add_f32_e32 v18, v38, v18
	v_add_f32_e32 v19, v39, v19
	v_add_f32_e32 v20, v18, v20
	v_add_f32_e32 v21, v19, v21
	ds_read_b64 v[18:19], v146
	s_waitcnt lgkmcnt(2)
	v_add_f32_e32 v20, v20, v34
	v_add_f32_e32 v21, v21, v35
	;; [unrolled: 1-line block ×4, first 2 shown]
	s_waitcnt lgkmcnt(1)
	v_add_f32_e32 v14, v20, v14
	v_add_f32_e32 v15, v21, v15
	;; [unrolled: 1-line block ×4, first 2 shown]
	v_lshlrev_b64 v[14:15], 3, v[61:62]
	s_waitcnt lgkmcnt(0)
	v_add_f32_e32 v16, v16, v18
	v_add_f32_e32 v17, v17, v19
	v_add_co_u32 v14, vcc_lo, s7, v14
	v_add_co_ci_u32_e64 v15, null, s11, v15, vcc_lo
	global_store_dwordx2 v[14:15], v[16:17], off
.LBB115_152:                            ;   in Loop: Header=BB115_102 Depth=1
	s_or_b32 exec_lo, exec_lo, s2
	v_mul_f32_e32 v14, v7, v67
	v_mul_f32_e32 v7, v7, v66
	;; [unrolled: 1-line block ×5, first 2 shown]
	v_fma_f32 v14, v6, v66, -v14
	v_fmac_f32_e32 v7, v6, v67
	v_fma_f32 v15, v8, v64, -v15
	v_mul_f32_e32 v3, v3, v68
	v_mul_f32_e32 v17, v5, v71
	v_add_f32_e32 v14, v59, v14
	v_fma_f32 v6, v2, v68, -v16
	v_fmac_f32_e32 v9, v8, v65
	v_add_f32_e32 v7, v60, v7
	v_mul_f32_e32 v5, v5, v70
	v_add_f32_e32 v14, v14, v15
	v_mul_f32_e32 v18, v23, v75
	v_fma_f32 v8, v4, v70, -v17
	v_fmac_f32_e32 v3, v2, v69
	v_add_f32_e32 v2, v7, v9
	v_add_f32_e32 v6, v14, v6
	v_mul_f32_e32 v19, v23, v74
	v_mul_f32_e32 v15, v25, v73
	v_fma_f32 v7, v22, v74, -v18
	v_fmac_f32_e32 v5, v4, v71
	v_add_f32_e32 v6, v6, v8
	v_add_f32_e32 v2, v2, v3
	v_mul_f32_e32 v14, v25, v72
	v_mul_f32_e32 v8, v11, v77
	v_fma_f32 v3, v24, v72, -v15
	v_add_f32_e32 v4, v6, v7
	v_fmac_f32_e32 v19, v22, v75
	v_add_f32_e32 v2, v2, v5
	v_mul_f32_e32 v6, v13, v79
	v_fma_f32 v5, v10, v76, -v8
	v_add_f32_e32 v3, v4, v3
	v_mul_f32_e32 v4, v11, v76
	v_fmac_f32_e32 v14, v24, v73
	v_add_f32_e32 v2, v2, v19
	v_fma_f32 v6, v12, v78, -v6
	v_add_f32_e32 v3, v3, v5
	v_mul_f32_e32 v5, v31, v83
	v_fmac_f32_e32 v4, v10, v77
	v_add_f32_e32 v2, v2, v14
	v_mul_f32_e32 v7, v13, v78
	v_add_f32_e32 v3, v3, v6
	v_fma_f32 v5, v30, v82, -v5
	v_mul_f32_e32 v6, v33, v81
	v_add_f32_e32 v2, v2, v4
	v_fmac_f32_e32 v7, v12, v79
	v_mul_f32_e32 v4, v31, v82
	v_add_f32_e32 v3, v3, v5
	v_fma_f32 v5, v32, v80, -v6
	v_mul_f32_e32 v6, v27, v85
	v_add_f32_e32 v2, v2, v7
	v_fmac_f32_e32 v4, v30, v83
	v_mul_f32_e32 v7, v33, v80
	v_add_co_u32 v105, vcc_lo, v105, s8
	v_add_co_ci_u32_e64 v106, null, s9, v106, vcc_lo
	v_add_co_u32 v107, vcc_lo, v107, s8
	v_add_co_ci_u32_e64 v108, null, s9, v108, vcc_lo
	v_add_co_u32 v109, vcc_lo, v109, s8
	v_add_f32_e32 v3, v3, v5
	v_fma_f32 v5, v26, v84, -v6
	v_mul_f32_e32 v6, v29, v87
	v_add_f32_e32 v2, v2, v4
	v_fmac_f32_e32 v7, v32, v81
	v_mul_f32_e32 v4, v27, v84
	v_add_co_ci_u32_e64 v110, null, s9, v110, vcc_lo
	v_add_co_u32 v111, vcc_lo, v111, s8
	v_add_co_ci_u32_e64 v112, null, s9, v112, vcc_lo
	v_add_co_u32 v113, vcc_lo, v113, s8
	v_add_f32_e32 v3, v3, v5
	v_fma_f32 v5, v28, v86, -v6
	v_add_f32_e32 v2, v2, v7
	v_fmac_f32_e32 v4, v26, v85
	v_mul_f32_e32 v6, v47, v91
	v_mul_f32_e32 v7, v29, v86
	v_add_co_ci_u32_e64 v114, null, s9, v114, vcc_lo
	v_add_co_u32 v115, vcc_lo, v115, s8
	v_add_co_ci_u32_e64 v116, null, s9, v116, vcc_lo
	v_add_co_u32 v117, vcc_lo, v117, s8
	v_add_co_ci_u32_e64 v118, null, s9, v118, vcc_lo
	v_add_co_u32 v119, vcc_lo, v119, s8
	v_add_f32_e32 v3, v3, v5
	v_add_f32_e32 v2, v2, v4
	v_fma_f32 v4, v46, v90, -v6
	v_mul_f32_e32 v5, v49, v89
	v_fmac_f32_e32 v7, v28, v87
	v_mul_f32_e32 v6, v47, v90
	v_add_co_ci_u32_e64 v120, null, s9, v120, vcc_lo
	v_add_co_u32 v121, vcc_lo, v121, s8
	v_add_co_ci_u32_e64 v122, null, s9, v122, vcc_lo
	v_add_co_u32 v123, vcc_lo, v123, s8
	v_add_f32_e32 v3, v3, v4
	v_fma_f32 v4, v48, v88, -v5
	v_add_f32_e32 v2, v2, v7
	v_mul_f32_e32 v5, v49, v88
	v_fmac_f32_e32 v6, v46, v91
	v_add_co_ci_u32_e64 v124, null, s9, v124, vcc_lo
	v_add_co_u32 v125, vcc_lo, v125, s8
	v_add_co_ci_u32_e64 v126, null, s9, v126, vcc_lo
	v_add_co_u32 v127, vcc_lo, v127, s8
	v_add_co_ci_u32_e64 v128, null, s9, v128, vcc_lo
	v_add_co_u32 v129, vcc_lo, v129, s8
	v_mul_f32_e32 v7, v43, v93
	v_add_f32_e32 v3, v3, v4
	v_mul_f32_e32 v4, v43, v92
	v_fmac_f32_e32 v5, v48, v89
	v_add_f32_e32 v2, v2, v6
	v_add_co_ci_u32_e64 v130, null, s9, v130, vcc_lo
	v_add_co_u32 v131, vcc_lo, v131, s8
	v_add_co_ci_u32_e64 v132, null, s9, v132, vcc_lo
	v_add_co_u32 v133, vcc_lo, v133, s8
	v_fma_f32 v6, v42, v92, -v7
	v_mul_f32_e32 v7, v45, v95
	v_mul_f32_e32 v8, v45, v94
	v_fmac_f32_e32 v4, v42, v93
	v_add_f32_e32 v2, v2, v5
	v_add_co_ci_u32_e64 v134, null, s9, v134, vcc_lo
	v_add_co_u32 v103, vcc_lo, v103, s8
	v_add_co_ci_u32_e64 v104, null, s9, v104, vcc_lo
	v_add_co_u32 v135, vcc_lo, v135, s8
	;; [unrolled: 2-line block ×3, first 2 shown]
	v_add_f32_e32 v3, v3, v6
	v_fma_f32 v5, v44, v94, -v7
	v_fmac_f32_e32 v8, v44, v95
	v_add_f32_e32 v2, v2, v4
	v_add_co_ci_u32_e64 v138, null, s9, v138, vcc_lo
	v_add_co_u32 v139, vcc_lo, v139, s8
	v_add_co_ci_u32_e64 v140, null, s9, v140, vcc_lo
	v_add_co_u32 v141, vcc_lo, v141, s8
	v_add_f32_e32 v59, v3, v5
	v_add_f32_e32 v60, v2, v8
	v_add_nc_u32_e32 v61, 64, v61
	v_add_co_ci_u32_e64 v142, null, s9, v142, vcc_lo
	s_add_i32 s3, s6, 2
	s_add_i32 s2, s6, 1
	;; [unrolled: 1-line block ×3, first 2 shown]
	s_cmp_ge_u32 s3, s26
	s_waitcnt_vscnt null, 0x0
	s_barrier
	buffer_gl0_inv
	s_cbranch_scc1 .LBB115_154
; %bb.153:                              ;   in Loop: Header=BB115_102 Depth=1
	s_mov_b32 s6, s2
	s_cmp_eq_u32 s29, s6
	s_cselect_b32 s3, s27, 0
	s_and_saveexec_b32 s2, s0
	s_cbranch_execnz .LBB115_98
	s_branch .LBB115_102
.LBB115_154:
	v_cmp_gt_i32_e32 vcc_lo, s10, v0
	v_mad_u32_u24 v1, 0x218, v1, v96
	s_or_b32 s1, s28, vcc_lo
	ds_write_b64 v1, v[59:60]
	s_and_b32 s0, s0, s1
	s_waitcnt lgkmcnt(0)
	s_barrier
	buffer_gl0_inv
	s_and_saveexec_b32 s1, s0
	s_cbranch_execz .LBB115_156
; %bb.155:
	ds_read2_b64 v[0:3], v96 offset1:67
	ds_read2_b64 v[4:7], v96 offset0:134 offset1:201
	v_ashrrev_i32_e32 v59, 31, v58
	s_waitcnt lgkmcnt(1)
	v_add_f32_e32 v0, v2, v0
	v_add_f32_e32 v1, v3, v1
	s_waitcnt lgkmcnt(0)
	v_add_f32_e32 v2, v4, v0
	v_add_f32_e32 v3, v5, v1
	v_lshlrev_b64 v[0:1], 3, v[58:59]
	v_add_f32_e32 v2, v2, v6
	v_add_f32_e32 v3, v3, v7
	v_add_co_u32 v0, vcc_lo, s7, v0
	v_add_co_ci_u32_e64 v1, null, s11, v1, vcc_lo
	global_store_dwordx2 v[0:1], v[2:3], off
.LBB115_156:
	s_endpgm
	.section	.rodata,"a",@progbits
	.p2align	6, 0x0
	.amdhsa_kernel _ZL26rocblas_hemvn_kernel_upperILb0ELi64ELi4ELi33ELi32ELi16EiPK19rocblas_complex_numIfES3_PS1_EviT6_lT7_lT5_lS6_lS7_lS5_lT8_i
		.amdhsa_group_segment_fixed_size 9600
		.amdhsa_private_segment_fixed_size 0
		.amdhsa_kernarg_size 376
		.amdhsa_user_sgpr_count 6
		.amdhsa_user_sgpr_private_segment_buffer 1
		.amdhsa_user_sgpr_dispatch_ptr 0
		.amdhsa_user_sgpr_queue_ptr 0
		.amdhsa_user_sgpr_kernarg_segment_ptr 1
		.amdhsa_user_sgpr_dispatch_id 0
		.amdhsa_user_sgpr_flat_scratch_init 0
		.amdhsa_user_sgpr_private_segment_size 0
		.amdhsa_wavefront_size32 1
		.amdhsa_uses_dynamic_stack 0
		.amdhsa_system_sgpr_private_segment_wavefront_offset 0
		.amdhsa_system_sgpr_workgroup_id_x 1
		.amdhsa_system_sgpr_workgroup_id_y 0
		.amdhsa_system_sgpr_workgroup_id_z 1
		.amdhsa_system_sgpr_workgroup_info 0
		.amdhsa_system_vgpr_workitem_id 1
		.amdhsa_next_free_vgpr 161
		.amdhsa_next_free_sgpr 38
		.amdhsa_reserve_vcc 1
		.amdhsa_reserve_flat_scratch 0
		.amdhsa_float_round_mode_32 0
		.amdhsa_float_round_mode_16_64 0
		.amdhsa_float_denorm_mode_32 3
		.amdhsa_float_denorm_mode_16_64 3
		.amdhsa_dx10_clamp 1
		.amdhsa_ieee_mode 1
		.amdhsa_fp16_overflow 0
		.amdhsa_workgroup_processor_mode 1
		.amdhsa_memory_ordered 1
		.amdhsa_forward_progress 1
		.amdhsa_shared_vgpr_count 0
		.amdhsa_exception_fp_ieee_invalid_op 0
		.amdhsa_exception_fp_denorm_src 0
		.amdhsa_exception_fp_ieee_div_zero 0
		.amdhsa_exception_fp_ieee_overflow 0
		.amdhsa_exception_fp_ieee_underflow 0
		.amdhsa_exception_fp_ieee_inexact 0
		.amdhsa_exception_int_div_zero 0
	.end_amdhsa_kernel
	.section	.text._ZL26rocblas_hemvn_kernel_upperILb0ELi64ELi4ELi33ELi32ELi16EiPK19rocblas_complex_numIfES3_PS1_EviT6_lT7_lT5_lS6_lS7_lS5_lT8_i,"axG",@progbits,_ZL26rocblas_hemvn_kernel_upperILb0ELi64ELi4ELi33ELi32ELi16EiPK19rocblas_complex_numIfES3_PS1_EviT6_lT7_lT5_lS6_lS7_lS5_lT8_i,comdat
.Lfunc_end115:
	.size	_ZL26rocblas_hemvn_kernel_upperILb0ELi64ELi4ELi33ELi32ELi16EiPK19rocblas_complex_numIfES3_PS1_EviT6_lT7_lT5_lS6_lS7_lS5_lT8_i, .Lfunc_end115-_ZL26rocblas_hemvn_kernel_upperILb0ELi64ELi4ELi33ELi32ELi16EiPK19rocblas_complex_numIfES3_PS1_EviT6_lT7_lT5_lS6_lS7_lS5_lT8_i
                                        ; -- End function
	.set _ZL26rocblas_hemvn_kernel_upperILb0ELi64ELi4ELi33ELi32ELi16EiPK19rocblas_complex_numIfES3_PS1_EviT6_lT7_lT5_lS6_lS7_lS5_lT8_i.num_vgpr, 161
	.set _ZL26rocblas_hemvn_kernel_upperILb0ELi64ELi4ELi33ELi32ELi16EiPK19rocblas_complex_numIfES3_PS1_EviT6_lT7_lT5_lS6_lS7_lS5_lT8_i.num_agpr, 0
	.set _ZL26rocblas_hemvn_kernel_upperILb0ELi64ELi4ELi33ELi32ELi16EiPK19rocblas_complex_numIfES3_PS1_EviT6_lT7_lT5_lS6_lS7_lS5_lT8_i.numbered_sgpr, 38
	.set _ZL26rocblas_hemvn_kernel_upperILb0ELi64ELi4ELi33ELi32ELi16EiPK19rocblas_complex_numIfES3_PS1_EviT6_lT7_lT5_lS6_lS7_lS5_lT8_i.num_named_barrier, 0
	.set _ZL26rocblas_hemvn_kernel_upperILb0ELi64ELi4ELi33ELi32ELi16EiPK19rocblas_complex_numIfES3_PS1_EviT6_lT7_lT5_lS6_lS7_lS5_lT8_i.private_seg_size, 0
	.set _ZL26rocblas_hemvn_kernel_upperILb0ELi64ELi4ELi33ELi32ELi16EiPK19rocblas_complex_numIfES3_PS1_EviT6_lT7_lT5_lS6_lS7_lS5_lT8_i.uses_vcc, 1
	.set _ZL26rocblas_hemvn_kernel_upperILb0ELi64ELi4ELi33ELi32ELi16EiPK19rocblas_complex_numIfES3_PS1_EviT6_lT7_lT5_lS6_lS7_lS5_lT8_i.uses_flat_scratch, 0
	.set _ZL26rocblas_hemvn_kernel_upperILb0ELi64ELi4ELi33ELi32ELi16EiPK19rocblas_complex_numIfES3_PS1_EviT6_lT7_lT5_lS6_lS7_lS5_lT8_i.has_dyn_sized_stack, 0
	.set _ZL26rocblas_hemvn_kernel_upperILb0ELi64ELi4ELi33ELi32ELi16EiPK19rocblas_complex_numIfES3_PS1_EviT6_lT7_lT5_lS6_lS7_lS5_lT8_i.has_recursion, 0
	.set _ZL26rocblas_hemvn_kernel_upperILb0ELi64ELi4ELi33ELi32ELi16EiPK19rocblas_complex_numIfES3_PS1_EviT6_lT7_lT5_lS6_lS7_lS5_lT8_i.has_indirect_call, 0
	.section	.AMDGPU.csdata,"",@progbits
; Kernel info:
; codeLenInByte = 9364
; TotalNumSgprs: 40
; NumVgprs: 161
; ScratchSize: 0
; MemoryBound: 1
; FloatMode: 240
; IeeeMode: 1
; LDSByteSize: 9600 bytes/workgroup (compile time only)
; SGPRBlocks: 0
; VGPRBlocks: 20
; NumSGPRsForWavesPerEU: 40
; NumVGPRsForWavesPerEU: 161
; Occupancy: 5
; WaveLimiterHint : 1
; COMPUTE_PGM_RSRC2:SCRATCH_EN: 0
; COMPUTE_PGM_RSRC2:USER_SGPR: 6
; COMPUTE_PGM_RSRC2:TRAP_HANDLER: 0
; COMPUTE_PGM_RSRC2:TGID_X_EN: 1
; COMPUTE_PGM_RSRC2:TGID_Y_EN: 0
; COMPUTE_PGM_RSRC2:TGID_Z_EN: 1
; COMPUTE_PGM_RSRC2:TIDIG_COMP_CNT: 1
	.section	.text._ZL26rocblas_hemvn_kernel_upperILb0ELi64ELi4ELi33ELi32ELi16El19rocblas_complex_numIfEPKS1_PS1_EviT6_lT7_lT5_lS6_lS7_lS5_lT8_i,"axG",@progbits,_ZL26rocblas_hemvn_kernel_upperILb0ELi64ELi4ELi33ELi32ELi16El19rocblas_complex_numIfEPKS1_PS1_EviT6_lT7_lT5_lS6_lS7_lS5_lT8_i,comdat
	.globl	_ZL26rocblas_hemvn_kernel_upperILb0ELi64ELi4ELi33ELi32ELi16El19rocblas_complex_numIfEPKS1_PS1_EviT6_lT7_lT5_lS6_lS7_lS5_lT8_i ; -- Begin function _ZL26rocblas_hemvn_kernel_upperILb0ELi64ELi4ELi33ELi32ELi16El19rocblas_complex_numIfEPKS1_PS1_EviT6_lT7_lT5_lS6_lS7_lS5_lT8_i
	.p2align	8
	.type	_ZL26rocblas_hemvn_kernel_upperILb0ELi64ELi4ELi33ELi32ELi16El19rocblas_complex_numIfEPKS1_PS1_EviT6_lT7_lT5_lS6_lS7_lS5_lT8_i,@function
_ZL26rocblas_hemvn_kernel_upperILb0ELi64ELi4ELi33ELi32ELi16El19rocblas_complex_numIfEPKS1_PS1_EviT6_lT7_lT5_lS6_lS7_lS5_lT8_i: ; @_ZL26rocblas_hemvn_kernel_upperILb0ELi64ELi4ELi33ELi32ELi16El19rocblas_complex_numIfEPKS1_PS1_EviT6_lT7_lT5_lS6_lS7_lS5_lT8_i
; %bb.0:
	s_load_dwordx2 s[2:3], s[4:5], 0x84
	s_add_u32 s0, s4, 0x78
	s_addc_u32 s1, s5, 0
	s_waitcnt lgkmcnt(0)
	s_lshr_b32 s8, s2, 16
	s_and_b32 s2, s2, 0xffff
	s_and_b32 s3, s3, 0xffff
	s_mul_i32 s2, s8, s2
	s_mul_i32 s2, s2, s3
	s_cmpk_lg_i32 s2, 0x100
	s_cbranch_scc1 .LBB116_156
; %bb.1:
	s_load_dwordx2 s[2:3], s[4:5], 0x4
	s_waitcnt lgkmcnt(0)
	s_or_b32 s2, s2, s3
	s_mov_b32 s3, -1
	s_bitset0_b32 s2, 31
	s_cmp_lg_u32 s2, 0
	s_cselect_b32 s2, -1, 0
	s_and_b32 vcc_lo, exec_lo, s2
	s_cbranch_vccnz .LBB116_3
; %bb.2:
	s_load_dwordx2 s[8:9], s[4:5], 0x58
	s_waitcnt lgkmcnt(0)
	v_cmp_neq_f32_e64 s3, s8, 1.0
	v_cmp_neq_f32_e64 s8, s9, 0
	s_or_b32 s3, s3, s8
.LBB116_3:
	s_andn2_b32 vcc_lo, exec_lo, s3
	s_cbranch_vccnz .LBB116_156
; %bb.4:
	s_andn2_b32 vcc_lo, exec_lo, s2
	s_cbranch_vccnz .LBB116_156
; %bb.5:
	s_clause 0x1
	s_load_dwordx16 s[8:23], s[4:5], 0x18
	s_load_dword s24, s[4:5], 0x0
	s_waitcnt lgkmcnt(0)
	s_mul_i32 s3, s23, s7
	s_mul_hi_u32 s23, s22, s7
	s_mul_i32 s2, s22, s7
	s_add_i32 s3, s23, s3
	s_load_dword s22, s[0:1], 0x0
	s_lshl_b64 s[2:3], s[2:3], 3
	s_add_u32 s16, s16, s2
	s_addc_u32 s17, s17, s3
	s_lshl_b64 s[2:3], s[18:19], 3
	s_add_u32 s2, s16, s2
	s_addc_u32 s3, s17, s3
	s_lshl_b32 s18, s6, 6
	s_ashr_i32 s25, s24, 31
	v_add_nc_u32_e32 v58, s18, v0
	s_lshr_b32 s0, s25, 26
	s_add_i32 s0, s24, s0
	v_ashrrev_i32_e32 v59, 31, v58
	v_mul_lo_u32 v4, s21, v58
	v_mad_u64_u32 v[2:3], null, s20, v58, 0
	s_andn2_b32 s0, s0, 63
	v_mul_lo_u32 v5, s20, v59
	s_waitcnt lgkmcnt(0)
	s_add_i32 s1, s22, -1
	s_sub_i32 s23, s24, s0
	v_cmp_eq_u32_e64 s0, 0, v1
	s_cmp_eq_u32 s6, s1
	s_cselect_b32 s16, s23, 0
	v_add3_u32 v3, v3, v5, v4
	v_lshlrev_b64 v[2:3], 3, v[2:3]
	v_add_co_u32 v16, vcc_lo, s2, v2
	v_add_co_ci_u32_e64 v17, null, s3, v3, vcc_lo
	s_mov_b32 s3, -1
	s_and_saveexec_b32 s1, s0
	s_cbranch_execz .LBB116_10
; %bb.6:
	v_cmp_le_i32_e32 vcc_lo, s16, v0
	s_cmp_lg_u32 s16, 0
	v_lshl_add_u32 v2, v0, 3, 0x2380
	s_cselect_b32 s2, -1, 0
	s_and_b32 s2, s2, vcc_lo
	s_and_saveexec_b32 s17, s2
	s_xor_b32 s2, exec_lo, s17
; %bb.7:
	v_mov_b32_e32 v3, 0
	v_mov_b32_e32 v4, v3
	ds_write_b64 v2, v[3:4]
                                        ; implicit-def: $vgpr2
; %bb.8:
	s_andn2_saveexec_b32 s2, s2
	s_cbranch_execz .LBB116_10
; %bb.9:
	global_load_dwordx2 v[3:4], v[16:17], off
	s_waitcnt vmcnt(0)
	ds_write_b64 v2, v[3:4]
.LBB116_10:
	s_or_b32 exec_lo, exec_lo, s1
	v_lshl_add_u32 v24, v1, 6, v0
	v_and_b32_e32 v2, 31, v0
	v_mov_b32_e32 v3, 0
	s_mul_i32 s1, s15, s7
	s_mul_hi_u32 s2, s14, s7
	v_lshrrev_b32_e32 v9, 5, v24
	s_mul_i32 s14, s14, s7
	s_add_i32 s15, s2, s1
	s_mul_hi_u32 s2, s12, s18
	s_lshl_b64 s[14:15], s[14:15], 3
	v_mad_u64_u32 v[3:4], null, s12, v9, v[2:3]
	s_add_u32 s1, s8, s14
	s_addc_u32 s14, s9, s15
	s_lshl_b64 s[8:9], s[10:11], 3
	s_mul_i32 s17, s13, s18
	s_add_u32 s11, s1, s8
	s_addc_u32 s14, s14, s9
	v_mad_u64_u32 v[4:5], null, s13, v9, v[4:5]
	s_ashr_i32 s19, s18, 31
	s_mul_i32 s10, s12, s18
	s_lshl_b64 s[8:9], s[18:19], 3
	s_mul_i32 s15, s12, s19
	s_add_u32 s27, s11, s8
	s_addc_u32 s14, s14, s9
	v_lshlrev_b64 v[14:15], 3, v[3:4]
	s_add_i32 s2, s2, s15
	v_cmp_gt_i32_e64 s1, s16, v2
	s_add_i32 s11, s2, s17
	v_lshlrev_b32_e32 v10, 3, v2
	s_lshl_b64 s[8:9], s[10:11], 3
	v_add_co_u32 v3, vcc_lo, s27, v14
	v_add_co_ci_u32_e64 v4, null, s14, v15, vcc_lo
	s_cmp_eq_u32 s16, 0
	v_add_co_u32 v5, s2, v3, s8
	s_cselect_b32 s11, -1, 0
	s_cmp_lg_u32 s16, 0
	v_lshlrev_b32_e32 v11, 3, v2
	v_add_co_ci_u32_e64 v6, null, s9, v4, s2
	v_mul_u32_u24_e32 v12, 0x108, v9
	s_cselect_b32 s26, -1, 0
                                        ; implicit-def: $vgpr3_vgpr4
	s_and_b32 vcc_lo, exec_lo, s26
	s_cbranch_vccz .LBB116_28
; %bb.11:
	v_sub_co_u32 v3, vcc_lo, v5, v10
	s_ashr_i32 s17, s16, 31
	v_subrev_co_ci_u32_e64 v4, null, 0, v6, vcc_lo
	s_lshl_b64 s[2:3], s[16:17], 3
	v_add_nc_u32_e32 v7, v11, v12
	v_add_co_u32 v3, vcc_lo, v3, s2
	v_add_co_ci_u32_e64 v4, null, s3, v4, vcc_lo
	s_mov_b32 s8, exec_lo
	v_add_co_u32 v3, vcc_lo, v3, -8
	v_add_co_ci_u32_e64 v4, null, -1, v4, vcc_lo
	v_cndmask_b32_e64 v3, v3, v5, s1
	v_cndmask_b32_e64 v4, v4, v6, s1
	v_cmpx_le_i32_e64 s16, v9
	s_xor_b32 s8, exec_lo, s8
; %bb.12:
	v_mov_b32_e32 v18, 0
	v_mov_b32_e32 v19, v18
	ds_write_b64 v7, v[18:19]
; %bb.13:
	s_andn2_saveexec_b32 s8, s8
	s_cbranch_execz .LBB116_15
; %bb.14:
	global_load_dwordx2 v[18:19], v[3:4], off
	s_waitcnt vmcnt(0)
	ds_write_b64 v7, v[18:19]
.LBB116_15:
	s_or_b32 exec_lo, exec_lo, s8
	v_add_nc_u32_e32 v8, 8, v9
	s_mov_b32 s8, exec_lo
	v_cmpx_le_i32_e64 s16, v8
	s_xor_b32 s8, exec_lo, s8
; %bb.16:
	v_mov_b32_e32 v18, 0
	v_mov_b32_e32 v19, v18
	ds_write_b64 v7, v[18:19] offset:2112
; %bb.17:
	s_andn2_saveexec_b32 s8, s8
	s_cbranch_execz .LBB116_19
; %bb.18:
	s_lshl_b64 s[14:15], s[12:13], 6
	v_add_co_u32 v18, vcc_lo, v3, s14
	v_add_co_ci_u32_e64 v19, null, s15, v4, vcc_lo
	global_load_dwordx2 v[18:19], v[18:19], off
	s_waitcnt vmcnt(0)
	ds_write_b64 v7, v[18:19] offset:2112
.LBB116_19:
	s_or_b32 exec_lo, exec_lo, s8
	v_add_nc_u32_e32 v8, 16, v9
	s_mov_b32 s8, exec_lo
	v_cmpx_le_i32_e64 s16, v8
	s_xor_b32 s8, exec_lo, s8
; %bb.20:
	v_mov_b32_e32 v18, 0
	v_mov_b32_e32 v19, v18
	ds_write_b64 v7, v[18:19] offset:4224
; %bb.21:
	s_andn2_saveexec_b32 s8, s8
	s_cbranch_execz .LBB116_23
; %bb.22:
	s_lshl_b64 s[14:15], s[12:13], 7
	v_add_co_u32 v18, vcc_lo, v3, s14
	v_add_co_ci_u32_e64 v19, null, s15, v4, vcc_lo
	global_load_dwordx2 v[18:19], v[18:19], off
	s_waitcnt vmcnt(0)
	ds_write_b64 v7, v[18:19] offset:4224
.LBB116_23:
	s_or_b32 exec_lo, exec_lo, s8
	v_add_nc_u32_e32 v8, 24, v9
	s_mov_b32 s8, exec_lo
	v_cmpx_le_i32_e64 s16, v8
	s_xor_b32 s8, exec_lo, s8
; %bb.24:
	v_mov_b32_e32 v18, 0
	v_mov_b32_e32 v19, v18
	ds_write_b64 v7, v[18:19] offset:6336
                                        ; implicit-def: $vgpr7
; %bb.25:
	s_andn2_saveexec_b32 s8, s8
	s_cbranch_execz .LBB116_27
; %bb.26:
	v_mad_u64_u32 v[18:19], null, 0xc0, s12, v[3:4]
	v_mov_b32_e32 v8, v19
	v_mad_u64_u32 v[19:20], null, 0xc0, s13, v[8:9]
	global_load_dwordx2 v[18:19], v[18:19], off
	s_waitcnt vmcnt(0)
	ds_write_b64 v7, v[18:19] offset:6336
.LBB116_27:
	s_or_b32 exec_lo, exec_lo, s8
	v_add_co_u32 v3, vcc_lo, v3, v10
	v_add_co_ci_u32_e64 v4, null, 0, v4, vcc_lo
	v_sub_co_u32 v3, vcc_lo, v3, s2
	v_subrev_co_ci_u32_e64 v4, null, s3, v4, vcc_lo
	s_mov_b32 s3, 0
	v_add_co_u32 v3, vcc_lo, v3, 8
	v_add_co_ci_u32_e64 v4, null, 0, v4, vcc_lo
	v_cndmask_b32_e64 v3, v3, v5, s1
	v_cndmask_b32_e64 v4, v4, v6, s1
.LBB116_28:
	s_and_b32 vcc_lo, exec_lo, s3
	s_cbranch_vccz .LBB116_30
; %bb.29:
	s_lshl_b64 s[2:3], s[12:13], 6
	v_lshl_add_u32 v13, v2, 3, v12
	v_add_co_u32 v3, vcc_lo, v5, s2
	v_add_co_ci_u32_e64 v4, null, s3, v6, vcc_lo
	v_add_co_u32 v7, vcc_lo, v3, s2
	v_add_co_ci_u32_e64 v8, null, s3, v4, vcc_lo
	;; [unrolled: 2-line block ×3, first 2 shown]
	s_clause 0x3
	global_load_dwordx2 v[20:21], v[5:6], off
	global_load_dwordx2 v[22:23], v[3:4], off
	;; [unrolled: 1-line block ×4, first 2 shown]
	v_mov_b32_e32 v3, v5
	v_mov_b32_e32 v4, v6
	s_waitcnt vmcnt(3)
	ds_write_b64 v13, v[20:21]
	s_waitcnt vmcnt(2)
	ds_write_b64 v13, v[22:23] offset:2112
	s_waitcnt vmcnt(1)
	ds_write_b64 v13, v[7:8] offset:4224
	;; [unrolled: 2-line block ×3, first 2 shown]
.LBB116_30:
	v_lshlrev_b32_e32 v13, 2, v9
	v_lshl_or_b32 v5, v2, 8, v11
	s_waitcnt lgkmcnt(0)
	s_barrier
	buffer_gl0_inv
	v_cmp_gt_u32_e64 s2, v13, v2
	v_lshl_add_u32 v7, v13, 3, v5
	v_mad_u32_u24 v5, 0x420, v9, v11
	s_and_saveexec_b32 s1, s2
	s_cbranch_execz .LBB116_32
; %bb.31:
	ds_read_b64 v[18:19], v5
	s_waitcnt lgkmcnt(0)
	ds_write_b64 v7, v[18:19]
.LBB116_32:
	s_or_b32 exec_lo, exec_lo, s1
	v_or_b32_e32 v18, 1, v13
	v_cmp_ge_u32_e64 s3, v13, v2
	v_mad_u32_u24 v6, 0x108, v18, v11
	s_and_saveexec_b32 s1, s3
	s_cbranch_execz .LBB116_34
; %bb.33:
	ds_read_b64 v[19:20], v6
	s_waitcnt lgkmcnt(0)
	ds_write_b64 v7, v[19:20] offset:8
.LBB116_34:
	s_or_b32 exec_lo, exec_lo, s1
	v_or_b32_e32 v8, 2, v13
	v_cmp_gt_u32_e64 s8, v8, v2
	s_and_saveexec_b32 s1, s8
	s_cbranch_execz .LBB116_36
; %bb.35:
	v_mad_u32_u24 v8, 0x108, v8, v11
	ds_read_b64 v[19:20], v8
	s_waitcnt lgkmcnt(0)
	ds_write_b64 v7, v[19:20] offset:16
.LBB116_36:
	s_or_b32 exec_lo, exec_lo, s1
	v_or_b32_e32 v19, 3, v13
	s_mov_b32 s1, exec_lo
	v_cmp_gt_u32_e64 s9, v19, v2
	v_mul_u32_u24_e32 v8, 0x108, v19
	v_cmpx_le_u32_e64 v19, v2
	s_xor_b32 s1, exec_lo, s1
; %bb.37:
	v_mul_u32_u24_e32 v8, 0x108, v19
                                        ; implicit-def: $vgpr19
                                        ; implicit-def: $vgpr7
; %bb.38:
	s_andn2_saveexec_b32 s1, s1
	s_cbranch_execz .LBB116_40
; %bb.39:
	v_mad_u32_u24 v19, 0x108, v19, v11
	ds_read_b64 v[19:20], v19
	s_waitcnt lgkmcnt(0)
	ds_write_b64 v7, v[19:20] offset:24
.LBB116_40:
	s_or_b32 exec_lo, exec_lo, s1
	v_lshlrev_b32_e32 v19, 3, v13
	s_waitcnt lgkmcnt(0)
	s_barrier
	buffer_gl0_inv
	ds_read_b64 v[21:22], v5
	ds_read_b128 v[25:28], v19 offset:9088
	ds_read2_b64 v[29:32], v6 offset1:33
	v_add_nc_u32_e32 v20, v11, v8
	ds_read_b128 v[5:8], v19 offset:9104
	ds_read_b64 v[33:34], v20
	v_mul_u32_u24_e32 v23, 33, v2
	v_mov_b32_e32 v60, 0
	v_cmp_gt_u32_e64 s1, 32, v24
	v_mov_b32_e32 v61, 0
	s_waitcnt lgkmcnt(0)
	s_barrier
	buffer_gl0_inv
	v_mul_f32_e32 v35, v26, v22
	v_mul_f32_e32 v22, v25, v22
	;; [unrolled: 1-line block ×5, first 2 shown]
	v_fma_f32 v25, v25, v21, -v35
	v_fmac_f32_e32 v22, v26, v21
	v_mul_f32_e32 v32, v5, v32
	v_fma_f32 v26, v27, v29, -v36
	v_fmac_f32_e32 v30, v28, v29
	v_add_f32_e32 v25, 0, v25
	v_add_f32_e32 v22, 0, v22
	v_mul_f32_e32 v21, v8, v34
	v_mul_f32_e32 v27, v7, v34
	v_fma_f32 v5, v5, v31, -v37
	v_fmac_f32_e32 v32, v6, v31
	v_add_f32_e32 v6, v25, v26
	v_add_f32_e32 v22, v22, v30
	v_lshlrev_b32_e32 v25, 3, v23
	v_fma_f32 v7, v7, v33, -v21
	v_fmac_f32_e32 v27, v8, v33
	v_add_f32_e32 v5, v6, v5
	v_add_f32_e32 v6, v22, v32
	v_lshl_add_u32 v26, v9, 3, v25
	v_add_f32_e32 v5, v5, v7
	v_add_f32_e32 v6, v6, v27
	ds_write_b64 v26, v[5:6]
	s_waitcnt lgkmcnt(0)
	s_barrier
	buffer_gl0_inv
	s_and_saveexec_b32 s10, s1
	s_cbranch_execz .LBB116_42
; %bb.41:
	ds_read2_b64 v[5:8], v25 offset1:7
	ds_read2_b64 v[27:30], v25 offset0:1 offset1:2
	ds_read2_b64 v[31:34], v25 offset0:3 offset1:4
	;; [unrolled: 1-line block ×3, first 2 shown]
	s_waitcnt lgkmcnt(2)
	v_add_f32_e32 v5, v27, v5
	v_add_f32_e32 v6, v28, v6
	v_add_f32_e32 v5, v29, v5
	v_add_f32_e32 v6, v30, v6
	s_waitcnt lgkmcnt(1)
	v_add_f32_e32 v5, v5, v31
	v_add_f32_e32 v6, v6, v32
	v_add_f32_e32 v5, v5, v33
	v_add_f32_e32 v6, v6, v34
	;; [unrolled: 5-line block ×3, first 2 shown]
	v_add_f32_e32 v60, v5, v7
	v_add_f32_e32 v61, v6, v8
.LBB116_42:
	s_or_b32 exec_lo, exec_lo, s10
	s_lshl_b64 s[14:15], s[12:13], 8
	v_add_co_u32 v7, vcc_lo, v3, s14
	v_add_co_ci_u32_e64 v8, null, s15, v4, vcc_lo
	s_barrier
	v_add_co_u32 v5, vcc_lo, 0x100, v7
	v_add_co_ci_u32_e64 v6, null, 0, v8, vcc_lo
	s_and_b32 vcc_lo, exec_lo, s26
	buffer_gl0_inv
	s_cbranch_vccz .LBB116_60
; %bb.43:
	v_sub_co_u32 v3, vcc_lo, v7, v10
	s_ashr_i32 s17, s16, 31
	v_subrev_co_ci_u32_e64 v4, null, 0, v8, vcc_lo
	s_lshl_b64 s[14:15], s[16:17], 3
	v_or_b32_e32 v21, 32, v2
	v_add_co_u32 v3, vcc_lo, v3, s14
	v_add_co_ci_u32_e64 v4, null, s15, v4, vcc_lo
	s_sub_i32 s17, s16, 32
	v_add_co_u32 v3, vcc_lo, v3, -8
	v_add_co_ci_u32_e64 v4, null, -1, v4, vcc_lo
	v_cmp_gt_i32_e32 vcc_lo, s16, v21
	v_cmp_le_i32_e64 s10, s17, v9
	v_add_nc_u32_e32 v21, v11, v12
	v_cndmask_b32_e32 v4, v4, v6, vcc_lo
	v_cndmask_b32_e32 v3, v3, v5, vcc_lo
	s_and_saveexec_b32 s27, s10
	s_xor_b32 s10, exec_lo, s27
; %bb.44:
	v_mov_b32_e32 v22, 0
	v_mov_b32_e32 v23, v22
	ds_write_b64 v21, v[22:23]
; %bb.45:
	s_andn2_saveexec_b32 s10, s10
	s_cbranch_execz .LBB116_47
; %bb.46:
	global_load_dwordx2 v[22:23], v[3:4], off
	s_waitcnt vmcnt(0)
	ds_write_b64 v21, v[22:23]
.LBB116_47:
	s_or_b32 exec_lo, exec_lo, s10
	v_add_nc_u32_e32 v22, 8, v9
	v_cmp_le_i32_e64 s10, s17, v22
	s_and_saveexec_b32 s27, s10
	s_xor_b32 s10, exec_lo, s27
; %bb.48:
	v_mov_b32_e32 v22, 0
	v_mov_b32_e32 v23, v22
	ds_write_b64 v21, v[22:23] offset:2112
; %bb.49:
	s_andn2_saveexec_b32 s27, s10
	s_cbranch_execz .LBB116_51
; %bb.50:
	s_lshl_b64 s[28:29], s[12:13], 6
	v_add_co_u32 v22, s10, v3, s28
	v_add_co_ci_u32_e64 v23, null, s29, v4, s10
	global_load_dwordx2 v[22:23], v[22:23], off
	s_waitcnt vmcnt(0)
	ds_write_b64 v21, v[22:23] offset:2112
.LBB116_51:
	s_or_b32 exec_lo, exec_lo, s27
	v_add_nc_u32_e32 v22, 16, v9
	v_cmp_le_i32_e64 s10, s17, v22
	s_and_saveexec_b32 s27, s10
	s_xor_b32 s10, exec_lo, s27
; %bb.52:
	v_mov_b32_e32 v22, 0
	v_mov_b32_e32 v23, v22
	ds_write_b64 v21, v[22:23] offset:4224
; %bb.53:
	s_andn2_saveexec_b32 s27, s10
	s_cbranch_execz .LBB116_55
; %bb.54:
	s_lshl_b64 s[28:29], s[12:13], 7
	v_add_co_u32 v22, s10, v3, s28
	v_add_co_ci_u32_e64 v23, null, s29, v4, s10
	global_load_dwordx2 v[22:23], v[22:23], off
	s_waitcnt vmcnt(0)
	ds_write_b64 v21, v[22:23] offset:4224
.LBB116_55:
	s_or_b32 exec_lo, exec_lo, s27
	v_add_nc_u32_e32 v22, 24, v9
	v_cmp_le_i32_e64 s10, s17, v22
	s_and_saveexec_b32 s17, s10
	s_xor_b32 s10, exec_lo, s17
; %bb.56:
	v_mov_b32_e32 v22, 0
	v_mov_b32_e32 v23, v22
	ds_write_b64 v21, v[22:23] offset:6336
                                        ; implicit-def: $vgpr21
; %bb.57:
	s_andn2_saveexec_b32 s10, s10
	s_cbranch_execz .LBB116_59
; %bb.58:
	v_mad_u64_u32 v[22:23], null, 0xc0, s12, v[3:4]
	v_mad_u64_u32 v[27:28], null, 0xc0, s13, v[23:24]
	v_mov_b32_e32 v23, v27
	global_load_dwordx2 v[22:23], v[22:23], off
	s_waitcnt vmcnt(0)
	ds_write_b64 v21, v[22:23] offset:6336
.LBB116_59:
	s_or_b32 exec_lo, exec_lo, s10
	v_add_co_u32 v3, s10, v3, v10
	v_add_co_ci_u32_e64 v4, null, 0, v4, s10
	v_sub_co_u32 v3, s10, v3, s14
	v_subrev_co_ci_u32_e64 v4, null, s15, v4, s10
	v_add_co_u32 v3, s10, 0x108, v3
	v_add_co_ci_u32_e64 v4, null, 0, v4, s10
	v_cndmask_b32_e32 v3, v3, v5, vcc_lo
	v_cndmask_b32_e32 v4, v4, v6, vcc_lo
	v_mul_u32_u24_e32 v21, 0x420, v9
	v_mad_u32_u24 v22, 0x108, v9, v11
	s_branch .LBB116_62
.LBB116_60:
                                        ; implicit-def: $vgpr3_vgpr4
	v_mul_u32_u24_e32 v21, 0x420, v9
	v_mad_u32_u24 v22, 0x108, v9, v11
	s_cbranch_execz .LBB116_62
; %bb.61:
	s_lshl_b64 s[14:15], s[12:13], 6
	v_add_co_u32 v3, vcc_lo, v7, s14
	v_add_co_ci_u32_e64 v4, null, s15, v8, vcc_lo
	v_add_co_u32 v27, vcc_lo, v3, s14
	v_add_co_ci_u32_e64 v28, null, s15, v4, vcc_lo
	;; [unrolled: 2-line block ×3, first 2 shown]
	s_clause 0x3
	global_load_dwordx2 v[7:8], v[7:8], off offset:256
	global_load_dwordx2 v[31:32], v[3:4], off offset:256
	;; [unrolled: 1-line block ×4, first 2 shown]
	v_mov_b32_e32 v3, v5
	v_mov_b32_e32 v4, v6
	s_waitcnt vmcnt(3)
	ds_write_b64 v22, v[7:8]
	s_waitcnt vmcnt(2)
	ds_write_b64 v22, v[31:32] offset:2112
	s_waitcnt vmcnt(1)
	ds_write_b64 v22, v[27:28] offset:4224
	s_waitcnt vmcnt(0)
	ds_write_b64 v22, v[29:30] offset:6336
.LBB116_62:
	v_mul_u32_u24_e32 v6, 0x108, v18
	v_add_nc_u32_e32 v21, v11, v21
	v_lshl_add_u32 v5, v13, 3, v25
	s_waitcnt lgkmcnt(0)
	s_barrier
	buffer_gl0_inv
	s_and_saveexec_b32 s10, s2
	s_cbranch_execnz .LBB116_87
; %bb.63:
	s_or_b32 exec_lo, exec_lo, s10
	v_add_nc_u32_e32 v23, v11, v6
	s_and_saveexec_b32 s2, s3
	s_cbranch_execnz .LBB116_88
.LBB116_64:
	s_or_b32 exec_lo, exec_lo, s2
	s_and_saveexec_b32 s2, s8
	s_cbranch_execnz .LBB116_89
.LBB116_65:
	s_or_b32 exec_lo, exec_lo, s2
	v_add_nc_u32_e32 v27, 0x2380, v19
	s_and_saveexec_b32 s2, s9
	s_cbranch_execz .LBB116_67
.LBB116_66:
	ds_read_b64 v[6:7], v20
	s_waitcnt lgkmcnt(0)
	ds_write_b64 v5, v[6:7] offset:24
.LBB116_67:
	s_or_b32 exec_lo, exec_lo, s2
	s_waitcnt lgkmcnt(0)
	s_barrier
	buffer_gl0_inv
	ds_read_b64 v[18:19], v21
	ds_read_b128 v[5:8], v27 offset:256
	ds_read2_b64 v[28:31], v23 offset1:33
	ds_read_b128 v[32:35], v27 offset:272
	ds_read_b64 v[36:37], v20
	v_cmp_eq_u32_e64 s2, 1, v9
	s_waitcnt lgkmcnt(0)
	s_barrier
	buffer_gl0_inv
	v_mul_f32_e32 v13, v6, v19
	v_mul_f32_e32 v19, v5, v19
	v_mul_f32_e32 v38, v8, v29
	v_mul_f32_e32 v29, v7, v29
	v_mul_f32_e32 v39, v33, v31
	v_fma_f32 v5, v5, v18, -v13
	v_fmac_f32_e32 v19, v6, v18
	v_mul_f32_e32 v31, v32, v31
	v_fma_f32 v7, v7, v28, -v38
	v_fmac_f32_e32 v29, v8, v28
	v_add_f32_e32 v5, 0, v5
	v_add_f32_e32 v8, 0, v19
	v_mul_f32_e32 v6, v35, v37
	v_mul_f32_e32 v13, v34, v37
	v_fma_f32 v18, v32, v30, -v39
	v_fmac_f32_e32 v31, v33, v30
	v_add_f32_e32 v5, v5, v7
	v_add_f32_e32 v7, v8, v29
	v_fma_f32 v6, v34, v36, -v6
	v_fmac_f32_e32 v13, v35, v36
	v_add_f32_e32 v5, v5, v18
	v_add_f32_e32 v7, v7, v31
	;; [unrolled: 1-line block ×4, first 2 shown]
	ds_write_b64 v26, v[5:6]
	s_waitcnt lgkmcnt(0)
	s_barrier
	buffer_gl0_inv
	s_and_saveexec_b32 s3, s2
	s_cbranch_execz .LBB116_69
; %bb.68:
	ds_read2_b64 v[5:8], v25 offset1:7
	ds_read2_b64 v[28:31], v25 offset0:1 offset1:2
	ds_read2_b64 v[32:35], v25 offset0:3 offset1:4
	;; [unrolled: 1-line block ×3, first 2 shown]
	s_waitcnt lgkmcnt(2)
	v_add_f32_e32 v5, v28, v5
	v_add_f32_e32 v6, v29, v6
	v_add_f32_e32 v5, v30, v5
	v_add_f32_e32 v6, v31, v6
	s_waitcnt lgkmcnt(1)
	v_add_f32_e32 v5, v5, v32
	v_add_f32_e32 v6, v6, v33
	v_add_f32_e32 v5, v5, v34
	v_add_f32_e32 v6, v6, v35
	;; [unrolled: 5-line block ×3, first 2 shown]
	v_add_f32_e32 v60, v5, v7
	v_add_f32_e32 v61, v6, v8
.LBB116_69:
	s_or_b32 exec_lo, exec_lo, s3
	v_add_co_u32 v5, vcc_lo, 0xffffff00, v3
	v_add_co_ci_u32_e64 v6, null, -1, v4, vcc_lo
	s_and_b32 vcc_lo, exec_lo, s26
	s_barrier
	buffer_gl0_inv
	s_cbranch_vccz .LBB116_90
; %bb.70:
	v_sub_co_u32 v7, vcc_lo, v3, v10
	s_ashr_i32 s17, s16, 31
	v_subrev_co_ci_u32_e64 v8, null, 0, v4, vcc_lo
	s_lshl_b64 s[8:9], s[16:17], 3
	s_sub_i32 s10, s16, 32
	v_add_co_u32 v7, vcc_lo, v7, s8
	v_add_co_ci_u32_e64 v8, null, s9, v8, vcc_lo
	v_cmp_le_i32_e64 s3, s10, v9
	v_add_co_u32 v7, vcc_lo, 0xfffffef8, v7
	v_add_co_ci_u32_e64 v8, null, -1, v8, vcc_lo
	v_cmp_gt_i32_e32 vcc_lo, s16, v2
	v_add_nc_u32_e32 v12, v11, v12
	v_cndmask_b32_e32 v8, v8, v6, vcc_lo
	v_cndmask_b32_e32 v7, v7, v5, vcc_lo
	s_and_saveexec_b32 s14, s3
	s_xor_b32 s3, exec_lo, s14
; %bb.71:
	v_mov_b32_e32 v18, 0
	v_mov_b32_e32 v19, v18
	ds_write_b64 v12, v[18:19]
; %bb.72:
	s_andn2_saveexec_b32 s3, s3
	s_cbranch_execz .LBB116_74
; %bb.73:
	global_load_dwordx2 v[18:19], v[7:8], off
	s_waitcnt vmcnt(0)
	ds_write_b64 v12, v[18:19]
.LBB116_74:
	s_or_b32 exec_lo, exec_lo, s3
	v_add_nc_u32_e32 v2, 8, v9
	v_cmp_le_i32_e64 s3, s10, v2
	s_and_saveexec_b32 s14, s3
	s_xor_b32 s3, exec_lo, s14
; %bb.75:
	v_mov_b32_e32 v18, 0
	v_mov_b32_e32 v19, v18
	ds_write_b64 v12, v[18:19] offset:2112
; %bb.76:
	s_andn2_saveexec_b32 s14, s3
	s_cbranch_execz .LBB116_78
; %bb.77:
	s_lshl_b64 s[26:27], s[12:13], 6
	v_add_co_u32 v18, s3, v7, s26
	v_add_co_ci_u32_e64 v19, null, s27, v8, s3
	global_load_dwordx2 v[18:19], v[18:19], off
	s_waitcnt vmcnt(0)
	ds_write_b64 v12, v[18:19] offset:2112
.LBB116_78:
	s_or_b32 exec_lo, exec_lo, s14
	v_add_nc_u32_e32 v11, 16, v9
	v_cmp_le_i32_e64 s3, s10, v11
	s_and_saveexec_b32 s14, s3
	s_xor_b32 s3, exec_lo, s14
; %bb.79:
	v_mov_b32_e32 v18, 0
	v_mov_b32_e32 v19, v18
	ds_write_b64 v12, v[18:19] offset:4224
; %bb.80:
	s_andn2_saveexec_b32 s14, s3
	s_cbranch_execz .LBB116_82
; %bb.81:
	s_lshl_b64 s[26:27], s[12:13], 7
	v_add_co_u32 v18, s3, v7, s26
	v_add_co_ci_u32_e64 v19, null, s27, v8, s3
	global_load_dwordx2 v[18:19], v[18:19], off
	s_waitcnt vmcnt(0)
	ds_write_b64 v12, v[18:19] offset:4224
.LBB116_82:
	s_or_b32 exec_lo, exec_lo, s14
	v_add_nc_u32_e32 v13, 24, v9
	v_cmp_le_i32_e64 s3, s10, v13
	s_and_saveexec_b32 s10, s3
	s_xor_b32 s3, exec_lo, s10
; %bb.83:
	v_mov_b32_e32 v18, 0
	v_mov_b32_e32 v19, v18
	ds_write_b64 v12, v[18:19] offset:6336
                                        ; implicit-def: $vgpr12
; %bb.84:
	s_andn2_saveexec_b32 s3, s3
	s_cbranch_execz .LBB116_86
; %bb.85:
	v_mad_u64_u32 v[18:19], null, 0xc0, s12, v[7:8]
	v_mad_u64_u32 v[28:29], null, 0xc0, s13, v[19:20]
	v_mov_b32_e32 v19, v28
	global_load_dwordx2 v[18:19], v[18:19], off
	s_waitcnt vmcnt(0)
	ds_write_b64 v12, v[18:19] offset:6336
.LBB116_86:
	s_or_b32 exec_lo, exec_lo, s3
	v_add_co_u32 v7, s3, v7, v10
	v_add_co_ci_u32_e64 v8, null, 0, v8, s3
	v_sub_co_u32 v7, s3, v7, s8
	v_subrev_co_ci_u32_e64 v8, null, s9, v8, s3
	v_add_co_u32 v7, s3, v7, 8
	v_add_co_ci_u32_e64 v8, null, 0, v8, s3
	v_cndmask_b32_e32 v18, v7, v5, vcc_lo
	v_cndmask_b32_e32 v19, v8, v6, vcc_lo
	s_branch .LBB116_92
.LBB116_87:
	ds_read_b64 v[7:8], v21
	s_waitcnt lgkmcnt(0)
	ds_write_b64 v5, v[7:8]
	s_or_b32 exec_lo, exec_lo, s10
	v_add_nc_u32_e32 v23, v11, v6
	s_and_saveexec_b32 s2, s3
	s_cbranch_execz .LBB116_64
.LBB116_88:
	ds_read_b64 v[6:7], v23
	s_waitcnt lgkmcnt(0)
	ds_write_b64 v5, v[6:7] offset:8
	s_or_b32 exec_lo, exec_lo, s2
	s_and_saveexec_b32 s2, s8
	s_cbranch_execz .LBB116_65
.LBB116_89:
	ds_read_b64 v[6:7], v23 offset:264
	s_waitcnt lgkmcnt(0)
	ds_write_b64 v5, v[6:7] offset:16
	s_or_b32 exec_lo, exec_lo, s2
	v_add_nc_u32_e32 v27, 0x2380, v19
	s_and_saveexec_b32 s2, s9
	s_cbranch_execnz .LBB116_66
	s_branch .LBB116_67
.LBB116_90:
                                        ; implicit-def: $vgpr18_vgpr19
                                        ; implicit-def: $vgpr2
                                        ; implicit-def: $vgpr11
                                        ; implicit-def: $vgpr13
	s_cbranch_execz .LBB116_92
; %bb.91:
	s_lshl_b64 s[8:9], s[12:13], 6
	v_mov_b32_e32 v19, v6
	v_add_co_u32 v7, vcc_lo, v3, s8
	v_add_co_ci_u32_e64 v8, null, s9, v4, vcc_lo
	v_add_nc_u32_e32 v2, 8, v9
	v_add_co_u32 v10, vcc_lo, v7, s8
	v_add_co_ci_u32_e64 v11, null, s9, v8, vcc_lo
	v_mov_b32_e32 v18, v5
	v_add_co_u32 v12, vcc_lo, v10, s8
	v_add_co_ci_u32_e64 v13, null, s9, v11, vcc_lo
	s_clause 0x3
	global_load_dwordx2 v[3:4], v[3:4], off offset:-256
	global_load_dwordx2 v[7:8], v[7:8], off offset:-256
	;; [unrolled: 1-line block ×4, first 2 shown]
	v_add_nc_u32_e32 v11, 16, v9
	v_add_nc_u32_e32 v13, 24, v9
	s_waitcnt vmcnt(3)
	ds_write_b64 v22, v[3:4]
	s_waitcnt vmcnt(2)
	ds_write_b64 v22, v[7:8] offset:2112
	s_waitcnt vmcnt(1)
	ds_write_b64 v22, v[28:29] offset:4224
	;; [unrolled: 2-line block ×3, first 2 shown]
.LBB116_92:
	v_lshlrev_b32_e32 v3, 3, v9
	v_lshlrev_b32_e32 v2, 3, v2
	s_waitcnt lgkmcnt(0)
	s_barrier
	buffer_gl0_inv
	v_add_nc_u32_e32 v5, v25, v3
	v_lshlrev_b32_e32 v4, 3, v11
	v_lshlrev_b32_e32 v6, 3, v13
	v_add_nc_u32_e32 v7, v25, v2
	ds_read_b64 v[28:29], v5
	ds_read_b64 v[30:31], v2 offset:9088
	ds_read_b64 v[32:33], v3 offset:9088
	v_add_nc_u32_e32 v8, v25, v4
	v_add_nc_u32_e32 v2, v25, v6
	ds_read_b64 v[34:35], v7
	ds_read_b64 v[36:37], v8
	ds_read_b64 v[38:39], v6 offset:9088
	ds_read_b64 v[40:41], v4 offset:9088
	ds_read_b64 v[42:43], v2
	ds_read_b128 v[10:13], v27 offset:256
	ds_read_b128 v[2:5], v27 offset:272
	ds_read2_b64 v[6:9], v23 offset1:33
	ds_read_b64 v[22:23], v21
	ds_read_b64 v[20:21], v20
	s_waitcnt lgkmcnt(0)
	s_barrier
	buffer_gl0_inv
	v_mul_f32_e32 v45, v41, v37
	v_mul_f32_e32 v27, v33, v29
	;; [unrolled: 1-line block ×6, first 2 shown]
	v_fma_f32 v27, v32, v28, -v27
	v_fmac_f32_e32 v29, v33, v28
	v_mul_f32_e32 v28, v40, v37
	v_fma_f32 v30, v30, v34, -v44
	v_fmac_f32_e32 v35, v31, v34
	v_add_f32_e32 v27, 0, v27
	v_add_f32_e32 v29, 0, v29
	v_mul_f32_e32 v31, v38, v43
	v_fma_f32 v32, v40, v36, -v45
	v_fmac_f32_e32 v28, v41, v36
	v_add_f32_e32 v27, v27, v30
	v_add_f32_e32 v29, v29, v35
	v_fma_f32 v30, v38, v42, -v46
	v_fmac_f32_e32 v31, v39, v42
	v_add_f32_e32 v27, v27, v32
	v_add_f32_e32 v28, v29, v28
	;; [unrolled: 1-line block ×4, first 2 shown]
	ds_write_b64 v26, v[27:28]
	s_waitcnt lgkmcnt(0)
	s_barrier
	buffer_gl0_inv
	s_and_saveexec_b32 s3, s2
	s_cbranch_execz .LBB116_94
; %bb.93:
	ds_read2_b64 v[27:30], v25 offset1:1
	ds_read2_b64 v[31:34], v25 offset0:2 offset1:3
	ds_read2_b64 v[35:38], v25 offset0:4 offset1:5
	s_waitcnt lgkmcnt(2)
	v_add_f32_e32 v27, v60, v27
	v_add_f32_e32 v28, v61, v28
	;; [unrolled: 1-line block ×4, first 2 shown]
	ds_read2_b64 v[27:30], v25 offset0:6 offset1:7
	s_waitcnt lgkmcnt(2)
	v_add_f32_e32 v31, v39, v31
	v_add_f32_e32 v32, v40, v32
	v_add_f32_e32 v31, v31, v33
	v_add_f32_e32 v32, v32, v34
	s_waitcnt lgkmcnt(1)
	v_add_f32_e32 v31, v31, v35
	v_add_f32_e32 v32, v32, v36
	v_add_f32_e32 v31, v31, v37
	v_add_f32_e32 v32, v32, v38
	;; [unrolled: 5-line block ×3, first 2 shown]
.LBB116_94:
	s_or_b32 exec_lo, exec_lo, s3
	v_mul_f32_e32 v27, v11, v23
	v_mul_f32_e32 v23, v10, v23
	;; [unrolled: 1-line block ×5, first 2 shown]
	v_fma_f32 v10, v10, v22, -v27
	v_fmac_f32_e32 v23, v11, v22
	v_mul_f32_e32 v9, v2, v9
	v_fma_f32 v12, v12, v6, -v28
	v_fmac_f32_e32 v7, v13, v6
	v_add_f32_e32 v10, 0, v10
	v_add_f32_e32 v6, 0, v23
	v_mul_f32_e32 v11, v5, v21
	v_mul_f32_e32 v13, v4, v21
	v_fma_f32 v2, v2, v8, -v29
	v_add_f32_e32 v10, v10, v12
	v_fmac_f32_e32 v9, v3, v8
	v_add_f32_e32 v3, v6, v7
	v_fma_f32 v4, v4, v20, -v11
	v_fmac_f32_e32 v13, v5, v20
	v_add_f32_e32 v2, v10, v2
	v_add_f32_e32 v3, v3, v9
	s_barrier
	buffer_gl0_inv
	v_add_f32_e32 v2, v2, v4
	v_add_f32_e32 v3, v3, v13
	ds_write_b64 v26, v[2:3]
	s_waitcnt lgkmcnt(0)
	s_barrier
	buffer_gl0_inv
	s_and_saveexec_b32 s2, s1
	s_cbranch_execz .LBB116_96
; %bb.95:
	ds_read2_b64 v[2:5], v25 offset1:1
	ds_read2_b64 v[6:9], v25 offset0:2 offset1:3
	ds_read2_b64 v[10:13], v25 offset0:4 offset1:5
	s_waitcnt lgkmcnt(2)
	v_add_f32_e32 v2, v60, v2
	v_add_f32_e32 v3, v61, v3
	v_add_f32_e32 v20, v2, v4
	v_add_f32_e32 v21, v3, v5
	ds_read2_b64 v[2:5], v25 offset0:6 offset1:7
	s_waitcnt lgkmcnt(2)
	v_add_f32_e32 v6, v20, v6
	v_add_f32_e32 v7, v21, v7
	v_add_f32_e32 v6, v6, v8
	v_add_f32_e32 v7, v7, v9
	s_waitcnt lgkmcnt(1)
	v_add_f32_e32 v6, v6, v10
	v_add_f32_e32 v7, v7, v11
	v_add_f32_e32 v6, v6, v12
	v_add_f32_e32 v7, v7, v13
	;; [unrolled: 5-line block ×3, first 2 shown]
.LBB116_96:
	s_or_b32 exec_lo, exec_lo, s2
	s_load_dwordx2 s[2:3], s[4:5], 0x68
	s_mul_hi_u32 s1, s24, s7
	s_mul_i32 s25, s25, s7
	s_mul_i32 s4, s24, s7
	s_add_i32 s1, s1, s25
	s_mul_hi_u32 s5, s4, s22
	s_mul_i32 s1, s1, s22
	s_mul_i32 s4, s4, s22
	s_add_i32 s5, s5, s1
	s_mul_hi_i32 s9, s24, s6
	s_lshl_b64 s[4:5], s[4:5], 3
	s_mul_i32 s8, s24, s6
	v_lshlrev_b32_e32 v95, 3, v0
	s_waitcnt lgkmcnt(0)
	s_barrier
	buffer_gl0_inv
	s_add_u32 s1, s2, s4
	s_addc_u32 s2, s3, s5
	s_lshl_b64 s[4:5], s[8:9], 3
	s_add_u32 s3, s1, s4
	s_addc_u32 s7, s2, s5
	s_add_i32 s1, s6, 1
	s_cmp_ge_u32 s1, s22
	s_cbranch_scc1 .LBB116_154
; %bb.97:
	v_lshrrev_b32_e32 v2, 4, v24
	v_lshlrev_b32_e32 v12, 5, v1
	v_and_b32_e32 v4, 48, v0
	v_and_b32_e32 v6, 15, v0
	s_mul_i32 s1, s20, s19
	v_lshlrev_b32_e32 v3, 5, v2
	v_add_nc_u32_e32 v7, 0x100, v12
	v_lshlrev_b32_e32 v4, 3, v4
	v_add_nc_u32_e32 v9, 0x110, v12
	s_mul_hi_u32 s2, s20, s18
	v_mad_u32_u24 v103, 0x218, v6, v3
	v_mul_i32_i24_e32 v13, 0xffffffe8, v2
	v_mad_u64_u32 v[2:3], null, s12, v7, 0
	v_mad_u32_u24 v104, 0x218, v6, v4
	v_mad_u64_u32 v[4:5], null, s12, v9, 0
	s_mul_i32 s4, s21, s18
	s_add_i32 s1, s2, s1
	v_or_b32_e32 v8, 0x78, v95
	s_add_i32 s5, s1, s4
	s_mul_i32 s4, s20, s18
	v_cmp_gt_u32_e64 s1, 64, v24
	s_lshl_b64 s[4:5], s[4:5], 3
	v_mad_u32_u24 v105, 0x218, v6, v8
	v_sub_co_u32 v97, vcc_lo, v16, s4
	v_mad_u64_u32 v[6:7], null, s13, v7, v[3:4]
	v_mov_b32_e32 v3, v5
	v_subrev_co_ci_u32_e64 v98, null, s5, v17, vcc_lo
	v_add_nc_u32_e32 v16, 0x108, v12
	v_add_nc_u32_e32 v17, 0x118, v12
	v_mad_u64_u32 v[9:10], null, s13, v9, v[3:4]
	v_sub_co_u32 v20, vcc_lo, v2, v14
	v_mad_u64_u32 v[7:8], null, s12, v16, 0
	v_mad_u64_u32 v[10:11], null, s12, v17, 0
	v_sub_co_ci_u32_e64 v21, null, v6, v15, vcc_lo
	v_sub_co_u32 v22, vcc_lo, v4, v14
	v_mov_b32_e32 v2, v8
	v_add_nc_u32_e32 v8, 0x180, v12
	v_mov_b32_e32 v3, v11
	v_sub_co_ci_u32_e64 v23, null, v9, v15, vcc_lo
	v_add_nc_u32_e32 v9, 0x188, v12
	v_sub_co_u32 v11, vcc_lo, v7, v14
	v_mad_u64_u32 v[4:5], null, s13, v16, v[2:3]
	v_mad_u64_u32 v[5:6], null, s12, v8, 0
	v_add_nc_u32_e32 v25, 0x190, v12
	v_add_nc_u32_e32 v26, 0x198, v12
	;; [unrolled: 1-line block ×4, first 2 shown]
	v_mad_u64_u32 v[2:3], null, s13, v17, v[3:4]
	v_mov_b32_e32 v3, v6
	v_mad_u64_u32 v[6:7], null, s12, v9, 0
	v_sub_co_ci_u32_e64 v16, null, v4, v15, vcc_lo
	v_sub_co_u32 v17, vcc_lo, v10, v14
	v_sub_co_ci_u32_e64 v24, null, v2, v15, vcc_lo
	v_mad_u64_u32 v[2:3], null, s13, v8, v[3:4]
	v_mov_b32_e32 v3, v7
	v_mad_u64_u32 v[7:8], null, s12, v25, 0
	v_sub_co_u32 v27, vcc_lo, v5, v14
	v_mad_u64_u32 v[3:4], null, s13, v9, v[3:4]
	v_mad_u64_u32 v[9:10], null, s12, v26, 0
	v_sub_co_ci_u32_e64 v28, null, v2, v15, vcc_lo
	v_sub_co_u32 v29, vcc_lo, v6, v14
	v_mov_b32_e32 v2, v8
	v_sub_co_ci_u32_e64 v30, null, v3, v15, vcc_lo
	v_mov_b32_e32 v3, v10
	v_add_nc_u32_e32 v8, 0x200, v12
	v_add_nc_u32_e32 v10, 0x208, v12
	;; [unrolled: 1-line block ×4, first 2 shown]
	v_mad_u64_u32 v[4:5], null, s13, v25, v[2:3]
	v_mad_u64_u32 v[5:6], null, s12, v8, 0
	v_sub_co_u32 v25, vcc_lo, v7, v14
	v_lshlrev_b32_e32 v96, 2, v1
	v_add_nc_u32_e32 v99, 0x2180, v95
	v_mad_u64_u32 v[2:3], null, s13, v26, v[3:4]
	v_mov_b32_e32 v3, v6
	v_mad_u64_u32 v[6:7], null, s12, v10, 0
	v_sub_co_ci_u32_e64 v26, null, v4, v15, vcc_lo
	v_sub_co_u32 v31, vcc_lo, v9, v14
	v_sub_co_ci_u32_e64 v32, null, v2, v15, vcc_lo
	v_mad_u64_u32 v[2:3], null, s13, v8, v[3:4]
	v_mov_b32_e32 v3, v7
	v_mad_u64_u32 v[7:8], null, s12, v33, 0
	v_sub_co_u32 v35, vcc_lo, v5, v14
	v_mad_u64_u32 v[3:4], null, s13, v10, v[3:4]
	v_mad_u64_u32 v[9:10], null, s12, v34, 0
	v_sub_co_ci_u32_e64 v36, null, v2, v15, vcc_lo
	v_sub_co_u32 v37, vcc_lo, v6, v14
	v_mov_b32_e32 v2, v8
	v_sub_co_ci_u32_e64 v38, null, v3, v15, vcc_lo
	v_mov_b32_e32 v3, v10
	v_add_nc_u32_e32 v8, 0x280, v12
	v_add_nc_u32_e32 v10, 0x288, v12
	;; [unrolled: 1-line block ×4, first 2 shown]
	v_mad_u64_u32 v[4:5], null, s13, v33, v[2:3]
	v_mad_u64_u32 v[5:6], null, s12, v8, 0
	v_sub_co_u32 v33, vcc_lo, v7, v14
	v_mad_u32_u24 v102, 0x860, v1, v95
	v_or_b32_e32 v106, 3, v96
	v_mad_u64_u32 v[2:3], null, s13, v34, v[3:4]
	v_mov_b32_e32 v3, v6
	v_mad_u64_u32 v[6:7], null, s12, v10, 0
	v_sub_co_ci_u32_e64 v34, null, v4, v15, vcc_lo
	v_sub_co_u32 v39, vcc_lo, v9, v14
	v_sub_co_ci_u32_e64 v40, null, v2, v15, vcc_lo
	v_mad_u64_u32 v[2:3], null, s13, v8, v[3:4]
	v_mov_b32_e32 v3, v7
	v_mad_u64_u32 v[7:8], null, s12, v41, 0
	v_sub_co_u32 v42, vcc_lo, v5, v14
	v_mad_u64_u32 v[3:4], null, s13, v10, v[3:4]
	v_mad_u64_u32 v[9:10], null, s12, v12, 0
	v_sub_co_ci_u32_e64 v43, null, v2, v15, vcc_lo
	v_sub_co_u32 v6, vcc_lo, v6, v14
	v_mov_b32_e32 v2, v8
	v_sub_co_ci_u32_e64 v8, null, v3, v15, vcc_lo
	v_mov_b32_e32 v3, v10
	v_add_nc_u32_e32 v107, 16, v96
	v_add_nc_u32_e32 v108, 17, v96
	;; [unrolled: 1-line block ×4, first 2 shown]
	v_mad_u64_u32 v[4:5], null, s13, v41, v[2:3]
	v_add_nc_u32_e32 v111, 32, v96
	v_add_nc_u32_e32 v112, 33, v96
	v_add_nc_u32_e32 v113, 34, v96
	v_add_nc_u32_e32 v114, 35, v96
	v_add_nc_u32_e32 v115, 48, v96
	v_add_nc_u32_e32 v148, 49, v96
	v_mad_u64_u32 v[2:3], null, s13, v12, v[3:4]
	v_sub_co_u32 v3, vcc_lo, v7, v14
	v_sub_co_ci_u32_e64 v4, null, v4, v15, vcc_lo
	v_sub_co_u32 v5, vcc_lo, v9, v14
	v_sub_co_ci_u32_e64 v2, null, v2, v15, vcc_lo
	v_add_co_u32 v116, vcc_lo, v18, v20
	v_add_co_ci_u32_e64 v117, null, v19, v21, vcc_lo
	v_add_co_u32 v118, vcc_lo, v18, v22
	v_add_co_ci_u32_e64 v119, null, v19, v23, vcc_lo
	;; [unrolled: 2-line block ×16, first 2 shown]
	v_add_nc_u32_e32 v149, 50, v96
	v_add_nc_u32_e32 v150, v103, v13
	;; [unrolled: 1-line block ×3, first 2 shown]
	v_mov_b32_e32 v62, 0
	s_add_i32 s8, s22, -2
	s_add_i32 s9, s18, 64
	s_lshl_b64 s[4:5], s[12:13], 9
	s_cmp_eq_u32 s8, s6
	s_cselect_b32 s10, s23, 0
	s_and_saveexec_b32 s2, s0
	s_cbranch_execz .LBB116_102
.LBB116_98:
	v_cmp_le_i32_e32 vcc_lo, s10, v0
	s_cmp_lg_u32 s10, 0
	s_cselect_b32 s12, -1, 0
	s_and_b32 s12, s12, vcc_lo
	s_and_saveexec_b32 s13, s12
	s_xor_b32 s12, exec_lo, s13
; %bb.99:
	v_mov_b32_e32 v63, v62
	ds_write_b64 v99, v[62:63]
; %bb.100:
	s_andn2_saveexec_b32 s12, s12
	s_cbranch_execz .LBB116_102
; %bb.101:
	s_ashr_i32 s12, s9, 31
	s_mul_hi_u32 s13, s20, s9
	s_mul_i32 s12, s20, s12
	s_mul_i32 s14, s21, s9
	s_add_i32 s13, s13, s12
	s_mul_i32 s12, s20, s9
	s_add_i32 s13, s13, s14
	s_lshl_b64 s[12:13], s[12:13], 3
	v_add_co_u32 v2, vcc_lo, v97, s12
	v_add_co_ci_u32_e64 v3, null, s13, v98, vcc_lo
	global_load_dwordx2 v[2:3], v[2:3], off
	s_waitcnt vmcnt(0)
	ds_write_b64 v99, v[2:3]
.LBB116_102:                            ; =>This Inner Loop Header: Depth=1
	s_or_b32 exec_lo, exec_lo, s2
	s_cmp_eq_u32 s10, 0
	v_add_co_u32 v2, vcc_lo, v116, v95
	s_cselect_b32 s12, -1, 0
	s_cmp_lg_u32 s10, 0
	v_add_co_ci_u32_e64 v3, null, 0, v117, vcc_lo
	s_cselect_b32 s2, -1, 0
	s_waitcnt lgkmcnt(0)
	s_and_b32 vcc_lo, exec_lo, s2
	s_barrier
	buffer_gl0_inv
	s_cbranch_vccz .LBB116_110
; %bb.103:                              ;   in Loop: Header=BB116_102 Depth=1
	v_mov_b32_e32 v63, 0
	v_mov_b32_e32 v65, 0
	;; [unrolled: 1-line block ×4, first 2 shown]
	s_mov_b32 s13, exec_lo
	v_cmpx_gt_i32_e64 s10, v96
	s_cbranch_execz .LBB116_105
; %bb.104:                              ;   in Loop: Header=BB116_102 Depth=1
	global_load_dwordx2 v[65:66], v[2:3], off
.LBB116_105:                            ;   in Loop: Header=BB116_102 Depth=1
	s_or_b32 exec_lo, exec_lo, s13
	v_or_b32_e32 v4, 1, v96
	s_mov_b32 s13, exec_lo
	v_cmpx_gt_i32_e64 s10, v4
	s_cbranch_execz .LBB116_107
; %bb.106:                              ;   in Loop: Header=BB116_102 Depth=1
	v_add_co_u32 v4, vcc_lo, v120, v95
	v_add_co_ci_u32_e64 v5, null, 0, v121, vcc_lo
	global_load_dwordx2 v[63:64], v[4:5], off
.LBB116_107:                            ;   in Loop: Header=BB116_102 Depth=1
	s_or_b32 exec_lo, exec_lo, s13
	v_mov_b32_e32 v67, 0
	v_or_b32_e32 v4, 2, v96
	v_mov_b32_e32 v68, 0
	s_mov_b32 s13, exec_lo
	v_cmpx_gt_i32_e64 s10, v4
	s_cbranch_execz .LBB116_109
; %bb.108:                              ;   in Loop: Header=BB116_102 Depth=1
	v_add_co_u32 v4, vcc_lo, v118, v95
	v_add_co_ci_u32_e64 v5, null, 0, v119, vcc_lo
	global_load_dwordx2 v[67:68], v[4:5], off
.LBB116_109:                            ;   in Loop: Header=BB116_102 Depth=1
	s_or_b32 exec_lo, exec_lo, s13
	v_cmp_gt_i32_e64 s13, s10, v106
	s_branch .LBB116_112
.LBB116_110:                            ;   in Loop: Header=BB116_102 Depth=1
	s_mov_b32 s13, 0
                                        ; implicit-def: $vgpr67_vgpr68
                                        ; implicit-def: $vgpr63_vgpr64
                                        ; implicit-def: $vgpr65_vgpr66
	s_cbranch_execz .LBB116_112
; %bb.111:                              ;   in Loop: Header=BB116_102 Depth=1
	v_add_co_u32 v4, vcc_lo, v120, v95
	v_add_co_ci_u32_e64 v5, null, 0, v121, vcc_lo
	v_add_co_u32 v6, vcc_lo, v118, v95
	v_add_co_ci_u32_e64 v7, null, 0, v119, vcc_lo
	global_load_dwordx2 v[65:66], v[2:3], off
	global_load_dwordx2 v[63:64], v[4:5], off
	;; [unrolled: 1-line block ×3, first 2 shown]
	s_or_b32 s13, s13, exec_lo
.LBB116_112:                            ;   in Loop: Header=BB116_102 Depth=1
	v_mov_b32_e32 v69, 0
	v_mov_b32_e32 v70, 0
	s_and_saveexec_b32 s14, s13
	s_cbranch_execz .LBB116_114
; %bb.113:                              ;   in Loop: Header=BB116_102 Depth=1
	v_add_co_u32 v2, vcc_lo, v122, v95
	v_add_co_ci_u32_e64 v3, null, 0, v123, vcc_lo
	global_load_dwordx2 v[69:70], v[2:3], off
.LBB116_114:                            ;   in Loop: Header=BB116_102 Depth=1
	s_or_b32 exec_lo, exec_lo, s14
	ds_read_b64 v[2:3], v101
	v_cndmask_b32_e64 v42, 0, 1, s2
	s_waitcnt vmcnt(0) lgkmcnt(0)
	v_mul_f32_e32 v4, v3, v66
	v_mul_f32_e32 v11, v3, v65
	v_mul_f32_e32 v5, v3, v64
	v_mul_f32_e32 v13, v3, v63
	v_mul_f32_e32 v6, v3, v68
	v_mul_f32_e32 v15, v3, v67
	v_mul_f32_e32 v7, v3, v70
	v_mul_f32_e32 v17, v2, v70
	v_fma_f32 v10, v2, v65, -v4
	v_fmac_f32_e32 v11, v2, v66
	v_fma_f32 v12, v2, v63, -v5
	v_fmac_f32_e32 v13, v2, v64
	;; [unrolled: 2-line block ×4, first 2 shown]
	ds_read_b128 v[6:9], v100
	ds_read_b128 v[2:5], v100 offset:16
	ds_write2_b64 v102, v[10:11], v[12:13] offset1:67
	ds_write2_b64 v102, v[14:15], v[16:17] offset0:134 offset1:201
	s_waitcnt lgkmcnt(0)
	s_barrier
	buffer_gl0_inv
	ds_read2_b64 v[22:25], v103 offset1:1
	ds_read2_b64 v[14:17], v103 offset0:2 offset1:3
	v_add_co_u32 v10, vcc_lo, v124, v95
	v_add_co_ci_u32_e64 v11, null, 0, v125, vcc_lo
	s_andn2_b32 vcc_lo, exec_lo, s2
	s_waitcnt lgkmcnt(0)
	s_barrier
	buffer_gl0_inv
	s_cbranch_vccnz .LBB116_122
; %bb.115:                              ;   in Loop: Header=BB116_102 Depth=1
	v_mov_b32_e32 v71, 0
	v_mov_b32_e32 v73, 0
	v_mov_b32_e32 v72, 0
	v_mov_b32_e32 v74, 0
	s_mov_b32 s2, exec_lo
	v_cmpx_gt_i32_e64 s10, v107
	s_cbranch_execz .LBB116_117
; %bb.116:                              ;   in Loop: Header=BB116_102 Depth=1
	global_load_dwordx2 v[73:74], v[10:11], off
.LBB116_117:                            ;   in Loop: Header=BB116_102 Depth=1
	s_or_b32 exec_lo, exec_lo, s2
	s_mov_b32 s2, exec_lo
	v_cmpx_gt_i32_e64 s10, v108
	s_cbranch_execz .LBB116_119
; %bb.118:                              ;   in Loop: Header=BB116_102 Depth=1
	v_add_co_u32 v12, vcc_lo, v126, v95
	v_add_co_ci_u32_e64 v13, null, 0, v127, vcc_lo
	global_load_dwordx2 v[71:72], v[12:13], off
.LBB116_119:                            ;   in Loop: Header=BB116_102 Depth=1
	s_or_b32 exec_lo, exec_lo, s2
	v_mov_b32_e32 v75, 0
	v_mov_b32_e32 v76, 0
	s_mov_b32 s2, exec_lo
	v_cmpx_gt_i32_e64 s10, v109
	s_cbranch_execz .LBB116_121
; %bb.120:                              ;   in Loop: Header=BB116_102 Depth=1
	v_add_co_u32 v12, vcc_lo, v128, v95
	v_add_co_ci_u32_e64 v13, null, 0, v129, vcc_lo
	global_load_dwordx2 v[75:76], v[12:13], off
.LBB116_121:                            ;   in Loop: Header=BB116_102 Depth=1
	s_or_b32 exec_lo, exec_lo, s2
	v_cmp_gt_i32_e64 s2, s10, v110
	s_branch .LBB116_124
.LBB116_122:                            ;   in Loop: Header=BB116_102 Depth=1
	s_mov_b32 s2, 0
                                        ; implicit-def: $vgpr75_vgpr76
                                        ; implicit-def: $vgpr71_vgpr72
                                        ; implicit-def: $vgpr73_vgpr74
	s_cbranch_execz .LBB116_124
; %bb.123:                              ;   in Loop: Header=BB116_102 Depth=1
	v_add_co_u32 v12, vcc_lo, v126, v95
	v_add_co_ci_u32_e64 v13, null, 0, v127, vcc_lo
	v_add_co_u32 v18, vcc_lo, v128, v95
	v_add_co_ci_u32_e64 v19, null, 0, v129, vcc_lo
	global_load_dwordx2 v[73:74], v[10:11], off
	global_load_dwordx2 v[71:72], v[12:13], off
	;; [unrolled: 1-line block ×3, first 2 shown]
	s_or_b32 s2, s2, exec_lo
.LBB116_124:                            ;   in Loop: Header=BB116_102 Depth=1
	v_mov_b32_e32 v77, 0
	v_mov_b32_e32 v78, 0
	s_and_saveexec_b32 s13, s2
	s_cbranch_execz .LBB116_126
; %bb.125:                              ;   in Loop: Header=BB116_102 Depth=1
	v_add_co_u32 v10, vcc_lo, v130, v95
	v_add_co_ci_u32_e64 v11, null, 0, v131, vcc_lo
	global_load_dwordx2 v[77:78], v[10:11], off
.LBB116_126:                            ;   in Loop: Header=BB116_102 Depth=1
	s_or_b32 exec_lo, exec_lo, s13
	ds_read_b64 v[10:11], v101
	v_cmp_ne_u32_e32 vcc_lo, 1, v42
	s_and_b32 vcc_lo, exec_lo, vcc_lo
	s_waitcnt vmcnt(0) lgkmcnt(0)
	v_mul_f32_e32 v12, v11, v74
	v_mul_f32_e32 v27, v11, v73
	;; [unrolled: 1-line block ×8, first 2 shown]
	v_fma_f32 v26, v10, v73, -v12
	v_fmac_f32_e32 v27, v10, v74
	v_fma_f32 v28, v10, v71, -v13
	v_fmac_f32_e32 v29, v10, v72
	;; [unrolled: 2-line block ×4, first 2 shown]
	ds_read_b128 v[18:21], v100 offset:128
	ds_read_b128 v[10:13], v100 offset:144
	ds_write2_b64 v102, v[26:27], v[28:29] offset1:67
	ds_write2_b64 v102, v[30:31], v[32:33] offset0:134 offset1:201
	s_waitcnt lgkmcnt(0)
	s_barrier
	buffer_gl0_inv
	ds_read2_b64 v[38:41], v103 offset1:1
	ds_read2_b64 v[34:37], v103 offset0:2 offset1:3
	v_add_co_u32 v26, s2, v132, v95
	v_add_co_ci_u32_e64 v27, null, 0, v133, s2
	s_waitcnt lgkmcnt(0)
	s_barrier
	buffer_gl0_inv
	s_cbranch_vccnz .LBB116_134
; %bb.127:                              ;   in Loop: Header=BB116_102 Depth=1
	v_mov_b32_e32 v79, 0
	v_mov_b32_e32 v81, 0
	;; [unrolled: 1-line block ×4, first 2 shown]
	s_mov_b32 s2, exec_lo
	v_cmpx_gt_i32_e64 s10, v111
	s_cbranch_execz .LBB116_129
; %bb.128:                              ;   in Loop: Header=BB116_102 Depth=1
	global_load_dwordx2 v[81:82], v[26:27], off
.LBB116_129:                            ;   in Loop: Header=BB116_102 Depth=1
	s_or_b32 exec_lo, exec_lo, s2
	s_mov_b32 s2, exec_lo
	v_cmpx_gt_i32_e64 s10, v112
	s_cbranch_execz .LBB116_131
; %bb.130:                              ;   in Loop: Header=BB116_102 Depth=1
	v_add_co_u32 v28, vcc_lo, v134, v95
	v_add_co_ci_u32_e64 v29, null, 0, v135, vcc_lo
	global_load_dwordx2 v[79:80], v[28:29], off
.LBB116_131:                            ;   in Loop: Header=BB116_102 Depth=1
	s_or_b32 exec_lo, exec_lo, s2
	v_mov_b32_e32 v83, 0
	v_mov_b32_e32 v84, 0
	s_mov_b32 s2, exec_lo
	v_cmpx_gt_i32_e64 s10, v113
	s_cbranch_execz .LBB116_133
; %bb.132:                              ;   in Loop: Header=BB116_102 Depth=1
	v_add_co_u32 v28, vcc_lo, v136, v95
	v_add_co_ci_u32_e64 v29, null, 0, v137, vcc_lo
	global_load_dwordx2 v[83:84], v[28:29], off
.LBB116_133:                            ;   in Loop: Header=BB116_102 Depth=1
	s_or_b32 exec_lo, exec_lo, s2
	v_cmp_gt_i32_e64 s2, s10, v114
	s_branch .LBB116_136
.LBB116_134:                            ;   in Loop: Header=BB116_102 Depth=1
	s_mov_b32 s2, 0
                                        ; implicit-def: $vgpr83_vgpr84
                                        ; implicit-def: $vgpr79_vgpr80
                                        ; implicit-def: $vgpr81_vgpr82
	s_cbranch_execz .LBB116_136
; %bb.135:                              ;   in Loop: Header=BB116_102 Depth=1
	v_add_co_u32 v28, vcc_lo, v134, v95
	v_add_co_ci_u32_e64 v29, null, 0, v135, vcc_lo
	v_add_co_u32 v30, vcc_lo, v136, v95
	v_add_co_ci_u32_e64 v31, null, 0, v137, vcc_lo
	global_load_dwordx2 v[81:82], v[26:27], off
	global_load_dwordx2 v[79:80], v[28:29], off
	;; [unrolled: 1-line block ×3, first 2 shown]
	s_or_b32 s2, s2, exec_lo
.LBB116_136:                            ;   in Loop: Header=BB116_102 Depth=1
	v_mov_b32_e32 v85, 0
	v_mov_b32_e32 v86, 0
	s_and_saveexec_b32 s13, s2
	s_cbranch_execz .LBB116_138
; %bb.137:                              ;   in Loop: Header=BB116_102 Depth=1
	v_add_co_u32 v26, vcc_lo, v138, v95
	v_add_co_ci_u32_e64 v27, null, 0, v139, vcc_lo
	global_load_dwordx2 v[85:86], v[26:27], off
.LBB116_138:                            ;   in Loop: Header=BB116_102 Depth=1
	s_or_b32 exec_lo, exec_lo, s13
	ds_read_b64 v[26:27], v101
	v_cmp_ne_u32_e32 vcc_lo, 1, v42
	v_add_co_u32 v42, s2, v140, v95
	s_and_b32 vcc_lo, exec_lo, vcc_lo
	s_waitcnt vmcnt(0) lgkmcnt(0)
	v_mul_f32_e32 v28, v27, v82
	v_mul_f32_e32 v44, v27, v81
	;; [unrolled: 1-line block ×8, first 2 shown]
	v_fma_f32 v43, v26, v81, -v28
	v_fmac_f32_e32 v44, v26, v82
	v_fma_f32 v45, v26, v79, -v29
	v_fmac_f32_e32 v46, v26, v80
	;; [unrolled: 2-line block ×4, first 2 shown]
	ds_read_b128 v[30:33], v100 offset:256
	ds_read_b128 v[26:29], v100 offset:272
	ds_write2_b64 v102, v[43:44], v[45:46] offset1:67
	ds_write2_b64 v102, v[47:48], v[49:50] offset0:134 offset1:201
	s_waitcnt lgkmcnt(0)
	s_barrier
	buffer_gl0_inv
	ds_read2_b64 v[54:57], v103 offset1:1
	ds_read2_b64 v[50:53], v103 offset0:2 offset1:3
	v_add_co_ci_u32_e64 v43, null, 0, v141, s2
	s_waitcnt lgkmcnt(0)
	s_barrier
	buffer_gl0_inv
	s_cbranch_vccnz .LBB116_146
; %bb.139:                              ;   in Loop: Header=BB116_102 Depth=1
	v_mov_b32_e32 v87, 0
	v_mov_b32_e32 v89, 0
	v_mov_b32_e32 v88, 0
	v_mov_b32_e32 v90, 0
	s_mov_b32 s2, exec_lo
	v_cmpx_gt_i32_e64 s10, v115
	s_cbranch_execz .LBB116_141
; %bb.140:                              ;   in Loop: Header=BB116_102 Depth=1
	global_load_dwordx2 v[89:90], v[42:43], off
.LBB116_141:                            ;   in Loop: Header=BB116_102 Depth=1
	s_or_b32 exec_lo, exec_lo, s2
	s_mov_b32 s2, exec_lo
	v_cmpx_gt_i32_e64 s10, v148
	s_cbranch_execz .LBB116_143
; %bb.142:                              ;   in Loop: Header=BB116_102 Depth=1
	v_add_co_u32 v44, vcc_lo, v142, v95
	v_add_co_ci_u32_e64 v45, null, 0, v143, vcc_lo
	global_load_dwordx2 v[87:88], v[44:45], off
.LBB116_143:                            ;   in Loop: Header=BB116_102 Depth=1
	s_or_b32 exec_lo, exec_lo, s2
	v_mov_b32_e32 v91, 0
	v_mov_b32_e32 v92, 0
	s_mov_b32 s2, exec_lo
	v_cmpx_gt_i32_e64 s10, v149
	s_cbranch_execz .LBB116_145
; %bb.144:                              ;   in Loop: Header=BB116_102 Depth=1
	v_add_co_u32 v44, vcc_lo, v144, v95
	v_add_co_ci_u32_e64 v45, null, 0, v145, vcc_lo
	global_load_dwordx2 v[91:92], v[44:45], off
.LBB116_145:                            ;   in Loop: Header=BB116_102 Depth=1
	s_or_b32 exec_lo, exec_lo, s2
	v_cmp_gt_i32_e64 s2, s10, v151
	s_branch .LBB116_148
.LBB116_146:                            ;   in Loop: Header=BB116_102 Depth=1
	s_mov_b32 s2, 0
                                        ; implicit-def: $vgpr91_vgpr92
                                        ; implicit-def: $vgpr87_vgpr88
                                        ; implicit-def: $vgpr89_vgpr90
	s_cbranch_execz .LBB116_148
; %bb.147:                              ;   in Loop: Header=BB116_102 Depth=1
	v_add_co_u32 v44, vcc_lo, v142, v95
	v_add_co_ci_u32_e64 v45, null, 0, v143, vcc_lo
	v_add_co_u32 v46, vcc_lo, v144, v95
	v_add_co_ci_u32_e64 v47, null, 0, v145, vcc_lo
	global_load_dwordx2 v[89:90], v[42:43], off
	global_load_dwordx2 v[87:88], v[44:45], off
	;; [unrolled: 1-line block ×3, first 2 shown]
	s_or_b32 s2, s2, exec_lo
.LBB116_148:                            ;   in Loop: Header=BB116_102 Depth=1
	v_mov_b32_e32 v93, 0
	v_mov_b32_e32 v94, 0
	s_and_saveexec_b32 s13, s2
	s_cbranch_execz .LBB116_150
; %bb.149:                              ;   in Loop: Header=BB116_102 Depth=1
	v_add_co_u32 v42, vcc_lo, v146, v95
	v_add_co_ci_u32_e64 v43, null, 0, v147, vcc_lo
	global_load_dwordx2 v[93:94], v[42:43], off
.LBB116_150:                            ;   in Loop: Header=BB116_102 Depth=1
	s_or_b32 exec_lo, exec_lo, s13
	ds_read_b64 v[42:43], v101
	v_add_f32_e32 v54, 0, v54
	v_add_f32_e32 v55, 0, v55
	;; [unrolled: 1-line block ×6, first 2 shown]
	v_cmp_gt_i32_e32 vcc_lo, s10, v0
	v_add_f32_e32 v38, v38, v40
	v_add_f32_e32 v23, v23, v25
	;; [unrolled: 1-line block ×4, first 2 shown]
	s_or_b32 s2, s12, vcc_lo
	v_add_f32_e32 v34, v38, v34
	v_add_f32_e32 v41, v23, v15
	;; [unrolled: 1-line block ×4, first 2 shown]
	s_and_b32 s10, s1, s2
	v_add_f32_e32 v22, v34, v36
	v_add_f32_e32 v17, v41, v17
	s_waitcnt vmcnt(0) lgkmcnt(0)
	v_mul_f32_e32 v44, v43, v90
	v_mul_f32_e32 v153, v43, v89
	;; [unrolled: 1-line block ×8, first 2 shown]
	v_fma_f32 v152, v42, v89, -v44
	v_fmac_f32_e32 v153, v42, v90
	v_fma_f32 v154, v42, v87, -v45
	v_fmac_f32_e32 v155, v42, v88
	;; [unrolled: 2-line block ×4, first 2 shown]
	ds_read_b128 v[46:49], v100 offset:384
	ds_read_b128 v[42:45], v100 offset:400
	ds_write2_b64 v102, v[152:153], v[154:155] offset1:67
	ds_write2_b64 v102, v[156:157], v[158:159] offset0:134 offset1:201
	s_waitcnt lgkmcnt(0)
	s_barrier
	buffer_gl0_inv
	ds_read2_b64 v[152:155], v103 offset1:1
	v_add_f32_e32 v156, v54, v56
	v_add_f32_e32 v157, v55, v57
	ds_read2_b64 v[54:57], v103 offset0:2 offset1:3
	v_add_f32_e32 v16, v39, v16
	s_waitcnt lgkmcnt(0)
	v_add_f32_e32 v24, v156, v50
	v_add_f32_e32 v25, v157, v51
	s_barrier
	buffer_gl0_inv
	v_add_f32_e32 v14, v24, v52
	v_add_f32_e32 v15, v25, v53
	;; [unrolled: 1-line block ×11, first 2 shown]
	ds_write2_b64 v150, v[16:17], v[22:23] offset1:16
	ds_write2_b64 v150, v[14:15], v[24:25] offset0:32 offset1:48
	s_waitcnt lgkmcnt(0)
	s_barrier
	buffer_gl0_inv
	s_and_saveexec_b32 s2, s10
	s_cbranch_execz .LBB116_152
; %bb.151:                              ;   in Loop: Header=BB116_102 Depth=1
	ds_read_b64 v[38:39], v104
	ds_read2_b64 v[14:17], v104 offset0:1 offset1:2
	ds_read2_b64 v[22:25], v104 offset0:3 offset1:4
	;; [unrolled: 1-line block ×3, first 2 shown]
	s_waitcnt lgkmcnt(2)
	v_add_f32_e32 v14, v14, v38
	v_add_f32_e32 v15, v15, v39
	v_add_f32_e32 v38, v16, v14
	v_add_f32_e32 v39, v17, v15
	ds_read2_b64 v[14:17], v104 offset0:7 offset1:8
	s_waitcnt lgkmcnt(2)
	v_add_f32_e32 v22, v38, v22
	v_add_f32_e32 v23, v39, v23
	v_add_f32_e32 v38, v22, v24
	v_add_f32_e32 v39, v23, v25
	ds_read2_b64 v[22:25], v104 offset0:9 offset1:10
	;; [unrolled: 6-line block ×4, first 2 shown]
	s_waitcnt lgkmcnt(2)
	v_add_f32_e32 v22, v38, v22
	v_add_f32_e32 v23, v39, v23
	;; [unrolled: 1-line block ×4, first 2 shown]
	ds_read_b64 v[22:23], v105
	s_waitcnt lgkmcnt(2)
	v_add_f32_e32 v24, v24, v34
	v_add_f32_e32 v25, v25, v35
	;; [unrolled: 1-line block ×4, first 2 shown]
	v_add_nc_u32_e32 v24, s9, v0
	s_waitcnt lgkmcnt(1)
	v_add_f32_e32 v14, v34, v14
	v_add_f32_e32 v15, v25, v15
	v_ashrrev_i32_e32 v25, 31, v24
	v_add_f32_e32 v16, v14, v16
	v_add_f32_e32 v17, v15, v17
	v_lshlrev_b64 v[14:15], 3, v[24:25]
	s_waitcnt lgkmcnt(0)
	v_add_f32_e32 v16, v16, v22
	v_add_f32_e32 v17, v17, v23
	v_add_co_u32 v14, vcc_lo, s3, v14
	v_add_co_ci_u32_e64 v15, null, s7, v15, vcc_lo
	global_store_dwordx2 v[14:15], v[16:17], off
.LBB116_152:                            ;   in Loop: Header=BB116_102 Depth=1
	s_or_b32 exec_lo, exec_lo, s2
	v_mul_f32_e32 v14, v7, v66
	v_mul_f32_e32 v7, v7, v65
	v_mul_f32_e32 v15, v9, v64
	v_mul_f32_e32 v9, v9, v63
	v_mul_f32_e32 v16, v3, v68
	v_fma_f32 v14, v6, v65, -v14
	v_fmac_f32_e32 v7, v6, v66
	v_fma_f32 v15, v8, v63, -v15
	v_mul_f32_e32 v3, v3, v67
	v_mul_f32_e32 v17, v5, v70
	v_add_f32_e32 v14, v60, v14
	v_fma_f32 v6, v2, v67, -v16
	v_fmac_f32_e32 v9, v8, v64
	v_add_f32_e32 v7, v61, v7
	v_mul_f32_e32 v5, v5, v69
	v_add_f32_e32 v14, v14, v15
	v_mul_f32_e32 v22, v19, v74
	v_fma_f32 v8, v4, v69, -v17
	v_fmac_f32_e32 v3, v2, v68
	v_add_f32_e32 v2, v7, v9
	v_add_f32_e32 v6, v14, v6
	v_mul_f32_e32 v19, v19, v73
	v_mul_f32_e32 v15, v21, v72
	v_fma_f32 v7, v18, v73, -v22
	v_fmac_f32_e32 v5, v4, v70
	v_add_f32_e32 v6, v6, v8
	v_add_f32_e32 v2, v2, v3
	v_mul_f32_e32 v14, v21, v71
	v_mul_f32_e32 v8, v11, v76
	v_fma_f32 v3, v20, v71, -v15
	v_add_f32_e32 v4, v6, v7
	v_fmac_f32_e32 v19, v18, v74
	v_add_f32_e32 v2, v2, v5
	v_mul_f32_e32 v6, v13, v78
	v_fma_f32 v5, v10, v75, -v8
	v_add_f32_e32 v3, v4, v3
	v_mul_f32_e32 v4, v11, v75
	v_fmac_f32_e32 v14, v20, v72
	v_add_f32_e32 v2, v2, v19
	v_fma_f32 v6, v12, v77, -v6
	v_add_f32_e32 v3, v3, v5
	v_mul_f32_e32 v5, v31, v82
	v_fmac_f32_e32 v4, v10, v76
	v_add_f32_e32 v2, v2, v14
	v_mul_f32_e32 v7, v13, v77
	v_add_f32_e32 v3, v3, v6
	v_fma_f32 v5, v30, v81, -v5
	v_mul_f32_e32 v6, v33, v80
	v_add_f32_e32 v2, v2, v4
	v_fmac_f32_e32 v7, v12, v78
	v_mul_f32_e32 v4, v31, v81
	v_add_f32_e32 v3, v3, v5
	v_fma_f32 v5, v32, v79, -v6
	v_mul_f32_e32 v6, v27, v84
	v_add_f32_e32 v2, v2, v7
	v_fmac_f32_e32 v4, v30, v82
	;; [unrolled: 6-line block ×3, first 2 shown]
	v_mul_f32_e32 v4, v27, v83
	v_add_co_u32 v116, vcc_lo, v116, s4
	v_add_f32_e32 v3, v3, v5
	v_fma_f32 v5, v28, v85, -v6
	v_add_f32_e32 v2, v2, v7
	v_fmac_f32_e32 v4, v26, v84
	v_mul_f32_e32 v6, v47, v90
	v_mul_f32_e32 v7, v29, v85
	v_add_co_ci_u32_e64 v117, null, s5, v117, vcc_lo
	v_add_co_u32 v118, vcc_lo, v118, s4
	v_add_co_ci_u32_e64 v119, null, s5, v119, vcc_lo
	v_add_co_u32 v120, vcc_lo, v120, s4
	;; [unrolled: 2-line block ×3, first 2 shown]
	v_add_f32_e32 v3, v3, v5
	v_add_f32_e32 v2, v2, v4
	v_fma_f32 v4, v46, v89, -v6
	v_mul_f32_e32 v5, v49, v88
	v_fmac_f32_e32 v7, v28, v86
	v_mul_f32_e32 v6, v47, v89
	v_add_co_ci_u32_e64 v123, null, s5, v123, vcc_lo
	v_add_co_u32 v124, vcc_lo, v124, s4
	v_add_co_ci_u32_e64 v125, null, s5, v125, vcc_lo
	v_add_co_u32 v126, vcc_lo, v126, s4
	v_add_f32_e32 v3, v3, v4
	v_fma_f32 v4, v48, v87, -v5
	v_add_f32_e32 v2, v2, v7
	v_mul_f32_e32 v5, v49, v87
	v_fmac_f32_e32 v6, v46, v90
	v_add_co_ci_u32_e64 v127, null, s5, v127, vcc_lo
	v_add_co_u32 v128, vcc_lo, v128, s4
	v_add_co_ci_u32_e64 v129, null, s5, v129, vcc_lo
	v_add_co_u32 v130, vcc_lo, v130, s4
	;; [unrolled: 2-line block ×3, first 2 shown]
	v_mul_f32_e32 v7, v43, v92
	v_add_f32_e32 v3, v3, v4
	v_mul_f32_e32 v4, v43, v91
	v_fmac_f32_e32 v5, v48, v88
	v_add_f32_e32 v2, v2, v6
	v_add_co_ci_u32_e64 v133, null, s5, v133, vcc_lo
	v_add_co_u32 v134, vcc_lo, v134, s4
	v_add_co_ci_u32_e64 v135, null, s5, v135, vcc_lo
	v_add_co_u32 v136, vcc_lo, v136, s4
	v_fma_f32 v6, v42, v91, -v7
	v_mul_f32_e32 v7, v45, v94
	v_mul_f32_e32 v8, v45, v93
	v_fmac_f32_e32 v4, v42, v92
	v_add_f32_e32 v2, v2, v5
	v_add_co_ci_u32_e64 v137, null, s5, v137, vcc_lo
	v_add_co_u32 v138, vcc_lo, v138, s4
	v_add_co_ci_u32_e64 v139, null, s5, v139, vcc_lo
	v_add_co_u32 v140, vcc_lo, v140, s4
	;; [unrolled: 2-line block ×3, first 2 shown]
	v_add_f32_e32 v3, v3, v6
	v_fma_f32 v5, v44, v93, -v7
	v_fmac_f32_e32 v8, v44, v94
	v_add_f32_e32 v2, v2, v4
	v_add_co_ci_u32_e64 v143, null, s5, v143, vcc_lo
	v_add_co_u32 v144, vcc_lo, v144, s4
	v_add_co_ci_u32_e64 v145, null, s5, v145, vcc_lo
	v_add_co_u32 v146, vcc_lo, v146, s4
	v_add_f32_e32 v60, v3, v5
	v_add_f32_e32 v61, v2, v8
	v_add_co_ci_u32_e64 v147, null, s5, v147, vcc_lo
	s_add_i32 s2, s6, 1
	s_add_i32 s6, s6, 2
	;; [unrolled: 1-line block ×3, first 2 shown]
	s_cmp_ge_u32 s6, s22
	s_waitcnt_vscnt null, 0x0
	s_barrier
	buffer_gl0_inv
	s_cbranch_scc1 .LBB116_154
; %bb.153:                              ;   in Loop: Header=BB116_102 Depth=1
	s_mov_b32 s6, s2
	s_cmp_eq_u32 s8, s6
	s_cselect_b32 s10, s23, 0
	s_and_saveexec_b32 s2, s0
	s_cbranch_execnz .LBB116_98
	s_branch .LBB116_102
.LBB116_154:
	v_cmp_gt_i32_e32 vcc_lo, s16, v0
	v_mad_u32_u24 v1, 0x218, v1, v95
	s_or_b32 s1, s11, vcc_lo
	ds_write_b64 v1, v[60:61]
	s_and_b32 s0, s0, s1
	s_waitcnt lgkmcnt(0)
	s_barrier
	buffer_gl0_inv
	s_and_saveexec_b32 s1, s0
	s_cbranch_execz .LBB116_156
; %bb.155:
	ds_read2_b64 v[0:3], v95 offset1:67
	ds_read2_b64 v[4:7], v95 offset0:134 offset1:201
	s_waitcnt lgkmcnt(1)
	v_add_f32_e32 v0, v2, v0
	v_add_f32_e32 v1, v3, v1
	s_waitcnt lgkmcnt(0)
	v_add_f32_e32 v2, v4, v0
	v_add_f32_e32 v3, v5, v1
	v_lshlrev_b64 v[0:1], 3, v[58:59]
	v_add_f32_e32 v2, v2, v6
	v_add_f32_e32 v3, v3, v7
	v_add_co_u32 v0, vcc_lo, s3, v0
	v_add_co_ci_u32_e64 v1, null, s7, v1, vcc_lo
	global_store_dwordx2 v[0:1], v[2:3], off
.LBB116_156:
	s_endpgm
	.section	.rodata,"a",@progbits
	.p2align	6, 0x0
	.amdhsa_kernel _ZL26rocblas_hemvn_kernel_upperILb0ELi64ELi4ELi33ELi32ELi16El19rocblas_complex_numIfEPKS1_PS1_EviT6_lT7_lT5_lS6_lS7_lS5_lT8_i
		.amdhsa_group_segment_fixed_size 9600
		.amdhsa_private_segment_fixed_size 0
		.amdhsa_kernarg_size 376
		.amdhsa_user_sgpr_count 6
		.amdhsa_user_sgpr_private_segment_buffer 1
		.amdhsa_user_sgpr_dispatch_ptr 0
		.amdhsa_user_sgpr_queue_ptr 0
		.amdhsa_user_sgpr_kernarg_segment_ptr 1
		.amdhsa_user_sgpr_dispatch_id 0
		.amdhsa_user_sgpr_flat_scratch_init 0
		.amdhsa_user_sgpr_private_segment_size 0
		.amdhsa_wavefront_size32 1
		.amdhsa_uses_dynamic_stack 0
		.amdhsa_system_sgpr_private_segment_wavefront_offset 0
		.amdhsa_system_sgpr_workgroup_id_x 1
		.amdhsa_system_sgpr_workgroup_id_y 0
		.amdhsa_system_sgpr_workgroup_id_z 1
		.amdhsa_system_sgpr_workgroup_info 0
		.amdhsa_system_vgpr_workitem_id 1
		.amdhsa_next_free_vgpr 160
		.amdhsa_next_free_sgpr 30
		.amdhsa_reserve_vcc 1
		.amdhsa_reserve_flat_scratch 0
		.amdhsa_float_round_mode_32 0
		.amdhsa_float_round_mode_16_64 0
		.amdhsa_float_denorm_mode_32 3
		.amdhsa_float_denorm_mode_16_64 3
		.amdhsa_dx10_clamp 1
		.amdhsa_ieee_mode 1
		.amdhsa_fp16_overflow 0
		.amdhsa_workgroup_processor_mode 1
		.amdhsa_memory_ordered 1
		.amdhsa_forward_progress 1
		.amdhsa_shared_vgpr_count 0
		.amdhsa_exception_fp_ieee_invalid_op 0
		.amdhsa_exception_fp_denorm_src 0
		.amdhsa_exception_fp_ieee_div_zero 0
		.amdhsa_exception_fp_ieee_overflow 0
		.amdhsa_exception_fp_ieee_underflow 0
		.amdhsa_exception_fp_ieee_inexact 0
		.amdhsa_exception_int_div_zero 0
	.end_amdhsa_kernel
	.section	.text._ZL26rocblas_hemvn_kernel_upperILb0ELi64ELi4ELi33ELi32ELi16El19rocblas_complex_numIfEPKS1_PS1_EviT6_lT7_lT5_lS6_lS7_lS5_lT8_i,"axG",@progbits,_ZL26rocblas_hemvn_kernel_upperILb0ELi64ELi4ELi33ELi32ELi16El19rocblas_complex_numIfEPKS1_PS1_EviT6_lT7_lT5_lS6_lS7_lS5_lT8_i,comdat
.Lfunc_end116:
	.size	_ZL26rocblas_hemvn_kernel_upperILb0ELi64ELi4ELi33ELi32ELi16El19rocblas_complex_numIfEPKS1_PS1_EviT6_lT7_lT5_lS6_lS7_lS5_lT8_i, .Lfunc_end116-_ZL26rocblas_hemvn_kernel_upperILb0ELi64ELi4ELi33ELi32ELi16El19rocblas_complex_numIfEPKS1_PS1_EviT6_lT7_lT5_lS6_lS7_lS5_lT8_i
                                        ; -- End function
	.set _ZL26rocblas_hemvn_kernel_upperILb0ELi64ELi4ELi33ELi32ELi16El19rocblas_complex_numIfEPKS1_PS1_EviT6_lT7_lT5_lS6_lS7_lS5_lT8_i.num_vgpr, 160
	.set _ZL26rocblas_hemvn_kernel_upperILb0ELi64ELi4ELi33ELi32ELi16El19rocblas_complex_numIfEPKS1_PS1_EviT6_lT7_lT5_lS6_lS7_lS5_lT8_i.num_agpr, 0
	.set _ZL26rocblas_hemvn_kernel_upperILb0ELi64ELi4ELi33ELi32ELi16El19rocblas_complex_numIfEPKS1_PS1_EviT6_lT7_lT5_lS6_lS7_lS5_lT8_i.numbered_sgpr, 30
	.set _ZL26rocblas_hemvn_kernel_upperILb0ELi64ELi4ELi33ELi32ELi16El19rocblas_complex_numIfEPKS1_PS1_EviT6_lT7_lT5_lS6_lS7_lS5_lT8_i.num_named_barrier, 0
	.set _ZL26rocblas_hemvn_kernel_upperILb0ELi64ELi4ELi33ELi32ELi16El19rocblas_complex_numIfEPKS1_PS1_EviT6_lT7_lT5_lS6_lS7_lS5_lT8_i.private_seg_size, 0
	.set _ZL26rocblas_hemvn_kernel_upperILb0ELi64ELi4ELi33ELi32ELi16El19rocblas_complex_numIfEPKS1_PS1_EviT6_lT7_lT5_lS6_lS7_lS5_lT8_i.uses_vcc, 1
	.set _ZL26rocblas_hemvn_kernel_upperILb0ELi64ELi4ELi33ELi32ELi16El19rocblas_complex_numIfEPKS1_PS1_EviT6_lT7_lT5_lS6_lS7_lS5_lT8_i.uses_flat_scratch, 0
	.set _ZL26rocblas_hemvn_kernel_upperILb0ELi64ELi4ELi33ELi32ELi16El19rocblas_complex_numIfEPKS1_PS1_EviT6_lT7_lT5_lS6_lS7_lS5_lT8_i.has_dyn_sized_stack, 0
	.set _ZL26rocblas_hemvn_kernel_upperILb0ELi64ELi4ELi33ELi32ELi16El19rocblas_complex_numIfEPKS1_PS1_EviT6_lT7_lT5_lS6_lS7_lS5_lT8_i.has_recursion, 0
	.set _ZL26rocblas_hemvn_kernel_upperILb0ELi64ELi4ELi33ELi32ELi16El19rocblas_complex_numIfEPKS1_PS1_EviT6_lT7_lT5_lS6_lS7_lS5_lT8_i.has_indirect_call, 0
	.section	.AMDGPU.csdata,"",@progbits
; Kernel info:
; codeLenInByte = 9264
; TotalNumSgprs: 32
; NumVgprs: 160
; ScratchSize: 0
; MemoryBound: 1
; FloatMode: 240
; IeeeMode: 1
; LDSByteSize: 9600 bytes/workgroup (compile time only)
; SGPRBlocks: 0
; VGPRBlocks: 19
; NumSGPRsForWavesPerEU: 32
; NumVGPRsForWavesPerEU: 160
; Occupancy: 6
; WaveLimiterHint : 0
; COMPUTE_PGM_RSRC2:SCRATCH_EN: 0
; COMPUTE_PGM_RSRC2:USER_SGPR: 6
; COMPUTE_PGM_RSRC2:TRAP_HANDLER: 0
; COMPUTE_PGM_RSRC2:TGID_X_EN: 1
; COMPUTE_PGM_RSRC2:TGID_Y_EN: 0
; COMPUTE_PGM_RSRC2:TGID_Z_EN: 1
; COMPUTE_PGM_RSRC2:TIDIG_COMP_CNT: 1
	.section	.text._ZL26rocblas_hemvn_kernel_upperILb0ELi64ELi4ELi33ELi32ELi16Ei19rocblas_complex_numIfEPKS1_PS1_EviT6_lT7_lT5_lS6_lS7_lS5_lT8_i,"axG",@progbits,_ZL26rocblas_hemvn_kernel_upperILb0ELi64ELi4ELi33ELi32ELi16Ei19rocblas_complex_numIfEPKS1_PS1_EviT6_lT7_lT5_lS6_lS7_lS5_lT8_i,comdat
	.globl	_ZL26rocblas_hemvn_kernel_upperILb0ELi64ELi4ELi33ELi32ELi16Ei19rocblas_complex_numIfEPKS1_PS1_EviT6_lT7_lT5_lS6_lS7_lS5_lT8_i ; -- Begin function _ZL26rocblas_hemvn_kernel_upperILb0ELi64ELi4ELi33ELi32ELi16Ei19rocblas_complex_numIfEPKS1_PS1_EviT6_lT7_lT5_lS6_lS7_lS5_lT8_i
	.p2align	8
	.type	_ZL26rocblas_hemvn_kernel_upperILb0ELi64ELi4ELi33ELi32ELi16Ei19rocblas_complex_numIfEPKS1_PS1_EviT6_lT7_lT5_lS6_lS7_lS5_lT8_i,@function
_ZL26rocblas_hemvn_kernel_upperILb0ELi64ELi4ELi33ELi32ELi16Ei19rocblas_complex_numIfEPKS1_PS1_EviT6_lT7_lT5_lS6_lS7_lS5_lT8_i: ; @_ZL26rocblas_hemvn_kernel_upperILb0ELi64ELi4ELi33ELi32ELi16Ei19rocblas_complex_numIfEPKS1_PS1_EviT6_lT7_lT5_lS6_lS7_lS5_lT8_i
; %bb.0:
	s_load_dwordx2 s[2:3], s[4:5], 0x84
	s_add_u32 s0, s4, 0x78
	s_addc_u32 s1, s5, 0
	s_waitcnt lgkmcnt(0)
	s_lshr_b32 s8, s2, 16
	s_and_b32 s2, s2, 0xffff
	s_and_b32 s3, s3, 0xffff
	s_mul_i32 s2, s8, s2
	s_mul_i32 s2, s2, s3
	s_cmpk_lg_i32 s2, 0x100
	s_cbranch_scc1 .LBB117_156
; %bb.1:
	s_load_dwordx2 s[2:3], s[4:5], 0x4
	s_waitcnt lgkmcnt(0)
	s_or_b32 s2, s2, s3
	s_mov_b32 s3, -1
	s_bitset0_b32 s2, 31
	s_cmp_lg_u32 s2, 0
	s_cselect_b32 s2, -1, 0
	s_and_b32 vcc_lo, exec_lo, s2
	s_cbranch_vccnz .LBB117_3
; %bb.2:
	s_load_dwordx2 s[8:9], s[4:5], 0x58
	s_waitcnt lgkmcnt(0)
	v_cmp_neq_f32_e64 s3, s8, 1.0
	v_cmp_neq_f32_e64 s8, s9, 0
	s_or_b32 s3, s3, s8
.LBB117_3:
	s_andn2_b32 vcc_lo, exec_lo, s3
	s_cbranch_vccnz .LBB117_156
; %bb.4:
	s_andn2_b32 vcc_lo, exec_lo, s2
	s_cbranch_vccnz .LBB117_156
; %bb.5:
	s_clause 0x4
	s_load_dwordx2 s[2:3], s[4:5], 0x50
	s_load_dwordx4 s[8:11], s[4:5], 0x30
	s_load_dwordx2 s[12:13], s[4:5], 0x40
	s_load_dword s24, s[4:5], 0x48
	s_load_dword s25, s[4:5], 0x0
	;; [unrolled: 1-line block ×3, first 2 shown]
	s_waitcnt lgkmcnt(0)
	s_mul_i32 s3, s3, s7
	s_mul_hi_u32 s14, s2, s7
	s_mul_i32 s2, s2, s7
	s_add_i32 s3, s14, s3
	s_lshl_b64 s[2:3], s[2:3], 3
	s_add_u32 s10, s10, s2
	s_addc_u32 s11, s11, s3
	s_lshl_b64 s[2:3], s[12:13], 3
	s_add_u32 s2, s10, s2
	s_addc_u32 s3, s11, s3
	s_lshl_b32 s16, s6, 6
	s_ashr_i32 s11, s25, 31
	v_add_nc_u32_e32 v58, s16, v0
	s_lshr_b32 s0, s11, 26
	s_add_i32 s1, s26, -1
	s_add_i32 s0, s25, s0
	v_mul_lo_u32 v2, s24, v58
	s_andn2_b32 s0, s0, 63
	s_sub_i32 s27, s25, s0
	v_cmp_eq_u32_e64 s0, 0, v1
	s_cmp_eq_u32 s6, s1
	s_cselect_b32 s12, s27, 0
	v_ashrrev_i32_e32 v3, 31, v2
	v_lshlrev_b64 v[2:3], 3, v[2:3]
	v_add_co_u32 v16, vcc_lo, s2, v2
	v_add_co_ci_u32_e64 v17, null, s3, v3, vcc_lo
	s_mov_b32 s3, -1
	s_and_saveexec_b32 s1, s0
	s_cbranch_execz .LBB117_10
; %bb.6:
	v_cmp_le_i32_e32 vcc_lo, s12, v0
	s_cmp_lg_u32 s12, 0
	v_lshl_add_u32 v2, v0, 3, 0x2380
	s_cselect_b32 s2, -1, 0
	s_and_b32 s2, s2, vcc_lo
	s_and_saveexec_b32 s10, s2
	s_xor_b32 s2, exec_lo, s10
; %bb.7:
	v_mov_b32_e32 v3, 0
	v_mov_b32_e32 v4, v3
	ds_write_b64 v2, v[3:4]
                                        ; implicit-def: $vgpr2
; %bb.8:
	s_andn2_saveexec_b32 s2, s2
	s_cbranch_execz .LBB117_10
; %bb.9:
	global_load_dwordx2 v[3:4], v[16:17], off
	s_waitcnt vmcnt(0)
	ds_write_b64 v2, v[3:4]
.LBB117_10:
	s_or_b32 exec_lo, exec_lo, s1
	s_clause 0x1
	s_load_dwordx4 s[20:23], s[4:5], 0x18
	s_load_dword s14, s[4:5], 0x28
	v_lshl_add_u32 v24, v1, 6, v0
	v_and_b32_e32 v2, 31, v0
	s_mul_i32 s1, s9, s7
	s_mul_hi_u32 s2, s8, s7
	s_mul_i32 s8, s8, s7
	v_lshrrev_b32_e32 v9, 5, v24
	s_add_i32 s9, s2, s1
	v_lshlrev_b32_e32 v10, 3, v2
	s_lshl_b64 s[8:9], s[8:9], 3
	v_mul_u32_u24_e32 v11, 0x108, v9
	s_waitcnt lgkmcnt(0)
	s_add_u32 s1, s20, s8
	v_mad_u64_u32 v[3:4], null, s14, v9, v[2:3]
	s_addc_u32 s2, s21, s9
	s_lshl_b64 s[8:9], s[22:23], 3
	s_mul_i32 s18, s14, s16
	s_add_u32 s1, s1, s8
	s_addc_u32 s2, s2, s9
	s_ashr_i32 s17, s16, 31
	v_ashrrev_i32_e32 v4, 31, v3
	s_lshl_b64 s[8:9], s[16:17], 3
	s_add_u32 s10, s1, s8
	s_addc_u32 s2, s2, s9
	v_lshlrev_b64 v[14:15], 3, v[3:4]
	s_ashr_i32 s19, s18, 31
	v_cmp_gt_i32_e64 s1, s12, v2
	s_lshl_b64 s[8:9], s[18:19], 3
	s_cmp_eq_u32 s12, 0
	s_cselect_b32 s28, -1, 0
	v_add_co_u32 v3, vcc_lo, s10, v14
	v_add_co_ci_u32_e64 v4, null, s2, v15, vcc_lo
	s_cmp_lg_u32 s12, 0
	v_add_co_u32 v5, s2, v3, s8
	v_add_co_ci_u32_e64 v6, null, s9, v4, s2
	s_cselect_b32 s17, -1, 0
                                        ; implicit-def: $vgpr3_vgpr4
	s_and_b32 vcc_lo, exec_lo, s17
	s_cbranch_vccz .LBB117_28
; %bb.11:
	v_sub_co_u32 v3, vcc_lo, v5, v10
	s_ashr_i32 s13, s12, 31
	v_subrev_co_ci_u32_e64 v4, null, 0, v6, vcc_lo
	s_lshl_b64 s[2:3], s[12:13], 3
	v_add_nc_u32_e32 v7, v10, v11
	v_add_co_u32 v3, vcc_lo, v3, s2
	v_add_co_ci_u32_e64 v4, null, s3, v4, vcc_lo
	s_mov_b32 s8, exec_lo
	v_add_co_u32 v3, vcc_lo, v3, -8
	v_add_co_ci_u32_e64 v4, null, -1, v4, vcc_lo
	v_cndmask_b32_e64 v3, v3, v5, s1
	v_cndmask_b32_e64 v4, v4, v6, s1
	v_cmpx_le_i32_e64 s12, v9
	s_xor_b32 s8, exec_lo, s8
; %bb.12:
	v_mov_b32_e32 v12, 0
	v_mov_b32_e32 v13, v12
	ds_write_b64 v7, v[12:13]
; %bb.13:
	s_andn2_saveexec_b32 s8, s8
	s_cbranch_execz .LBB117_15
; %bb.14:
	global_load_dwordx2 v[12:13], v[3:4], off
	s_waitcnt vmcnt(0)
	ds_write_b64 v7, v[12:13]
.LBB117_15:
	s_or_b32 exec_lo, exec_lo, s8
	v_add_nc_u32_e32 v8, 8, v9
	s_mov_b32 s8, exec_lo
	v_cmpx_le_i32_e64 s12, v8
	s_xor_b32 s8, exec_lo, s8
; %bb.16:
	v_mov_b32_e32 v12, 0
	v_mov_b32_e32 v13, v12
	ds_write_b64 v7, v[12:13] offset:2112
; %bb.17:
	s_andn2_saveexec_b32 s8, s8
	s_cbranch_execz .LBB117_19
; %bb.18:
	s_lshl_b32 s18, s14, 3
	s_ashr_i32 s19, s18, 31
	s_lshl_b64 s[18:19], s[18:19], 3
	v_add_co_u32 v12, vcc_lo, v3, s18
	v_add_co_ci_u32_e64 v13, null, s19, v4, vcc_lo
	global_load_dwordx2 v[12:13], v[12:13], off
	s_waitcnt vmcnt(0)
	ds_write_b64 v7, v[12:13] offset:2112
.LBB117_19:
	s_or_b32 exec_lo, exec_lo, s8
	v_add_nc_u32_e32 v8, 16, v9
	s_mov_b32 s8, exec_lo
	v_cmpx_le_i32_e64 s12, v8
	s_xor_b32 s8, exec_lo, s8
; %bb.20:
	v_mov_b32_e32 v12, 0
	v_mov_b32_e32 v13, v12
	ds_write_b64 v7, v[12:13] offset:4224
; %bb.21:
	s_andn2_saveexec_b32 s8, s8
	s_cbranch_execz .LBB117_23
; %bb.22:
	s_lshl_b32 s18, s14, 4
	s_ashr_i32 s19, s18, 31
	s_lshl_b64 s[18:19], s[18:19], 3
	v_add_co_u32 v12, vcc_lo, v3, s18
	v_add_co_ci_u32_e64 v13, null, s19, v4, vcc_lo
	global_load_dwordx2 v[12:13], v[12:13], off
	s_waitcnt vmcnt(0)
	ds_write_b64 v7, v[12:13] offset:4224
.LBB117_23:
	s_or_b32 exec_lo, exec_lo, s8
	v_add_nc_u32_e32 v8, 24, v9
	s_mov_b32 s8, exec_lo
	v_cmpx_le_i32_e64 s12, v8
	s_xor_b32 s8, exec_lo, s8
; %bb.24:
	v_mov_b32_e32 v12, 0
	v_mov_b32_e32 v13, v12
	ds_write_b64 v7, v[12:13] offset:6336
                                        ; implicit-def: $vgpr7
; %bb.25:
	s_andn2_saveexec_b32 s8, s8
	s_cbranch_execz .LBB117_27
; %bb.26:
	s_mul_i32 s18, s14, 24
	s_ashr_i32 s19, s18, 31
	s_lshl_b64 s[18:19], s[18:19], 3
	v_add_co_u32 v12, vcc_lo, v3, s18
	v_add_co_ci_u32_e64 v13, null, s19, v4, vcc_lo
	global_load_dwordx2 v[12:13], v[12:13], off
	s_waitcnt vmcnt(0)
	ds_write_b64 v7, v[12:13] offset:6336
.LBB117_27:
	s_or_b32 exec_lo, exec_lo, s8
	v_add_co_u32 v3, vcc_lo, v3, v10
	v_add_co_ci_u32_e64 v4, null, 0, v4, vcc_lo
	v_sub_co_u32 v3, vcc_lo, v3, s2
	v_subrev_co_ci_u32_e64 v4, null, s3, v4, vcc_lo
	s_mov_b32 s3, 0
	v_add_co_u32 v3, vcc_lo, v3, 8
	v_add_co_ci_u32_e64 v4, null, 0, v4, vcc_lo
	v_cndmask_b32_e64 v3, v3, v5, s1
	v_cndmask_b32_e64 v4, v4, v6, s1
.LBB117_28:
	s_and_b32 vcc_lo, exec_lo, s3
	s_cbranch_vccz .LBB117_30
; %bb.29:
	s_lshl_b32 s2, s14, 3
	s_ashr_i32 s15, s14, 31
	s_ashr_i32 s3, s2, 31
	v_lshl_add_u32 v22, v2, 3, v11
	s_lshl_b64 s[2:3], s[2:3], 3
	v_add_co_u32 v3, vcc_lo, v5, s2
	v_add_co_ci_u32_e64 v4, null, s3, v6, vcc_lo
	s_lshl_b64 s[2:3], s[14:15], 6
	v_add_co_u32 v7, vcc_lo, v3, s2
	v_add_co_ci_u32_e64 v8, null, s3, v4, vcc_lo
	v_add_co_u32 v12, vcc_lo, v7, s2
	v_add_co_ci_u32_e64 v13, null, s3, v8, vcc_lo
	s_clause 0x3
	global_load_dwordx2 v[18:19], v[5:6], off
	global_load_dwordx2 v[20:21], v[3:4], off
	;; [unrolled: 1-line block ×4, first 2 shown]
	v_mov_b32_e32 v3, v5
	v_mov_b32_e32 v4, v6
	s_waitcnt vmcnt(3)
	ds_write_b64 v22, v[18:19]
	s_waitcnt vmcnt(2)
	ds_write_b64 v22, v[20:21] offset:2112
	s_waitcnt vmcnt(1)
	ds_write_b64 v22, v[7:8] offset:4224
	;; [unrolled: 2-line block ×3, first 2 shown]
.LBB117_30:
	v_lshlrev_b32_e32 v12, 2, v9
	v_lshl_or_b32 v5, v2, 8, v10
	s_waitcnt lgkmcnt(0)
	s_barrier
	buffer_gl0_inv
	v_cmp_gt_u32_e64 s2, v12, v2
	v_lshl_add_u32 v7, v12, 3, v5
	v_mad_u32_u24 v5, 0x420, v9, v10
	s_and_saveexec_b32 s1, s2
	s_cbranch_execz .LBB117_32
; %bb.31:
	ds_read_b64 v[18:19], v5
	s_waitcnt lgkmcnt(0)
	ds_write_b64 v7, v[18:19]
.LBB117_32:
	s_or_b32 exec_lo, exec_lo, s1
	v_or_b32_e32 v18, 1, v12
	v_cmp_ge_u32_e64 s3, v12, v2
	v_mad_u32_u24 v6, 0x108, v18, v10
	s_and_saveexec_b32 s1, s3
	s_cbranch_execz .LBB117_34
; %bb.33:
	ds_read_b64 v[19:20], v6
	s_waitcnt lgkmcnt(0)
	ds_write_b64 v7, v[19:20] offset:8
.LBB117_34:
	s_or_b32 exec_lo, exec_lo, s1
	v_or_b32_e32 v8, 2, v12
	v_cmp_gt_u32_e64 s8, v8, v2
	s_and_saveexec_b32 s1, s8
	s_cbranch_execz .LBB117_36
; %bb.35:
	v_mad_u32_u24 v8, 0x108, v8, v10
	ds_read_b64 v[19:20], v8
	s_waitcnt lgkmcnt(0)
	ds_write_b64 v7, v[19:20] offset:16
.LBB117_36:
	s_or_b32 exec_lo, exec_lo, s1
	v_or_b32_e32 v13, 3, v12
	s_mov_b32 s1, exec_lo
	v_cmp_gt_u32_e64 s9, v13, v2
	v_mul_u32_u24_e32 v8, 0x108, v13
	v_cmpx_le_u32_e64 v13, v2
	s_xor_b32 s1, exec_lo, s1
; %bb.37:
	v_mul_u32_u24_e32 v8, 0x108, v13
                                        ; implicit-def: $vgpr13
                                        ; implicit-def: $vgpr7
; %bb.38:
	s_andn2_saveexec_b32 s1, s1
	s_cbranch_execz .LBB117_40
; %bb.39:
	v_mad_u32_u24 v13, 0x108, v13, v10
	ds_read_b64 v[19:20], v13
	s_waitcnt lgkmcnt(0)
	ds_write_b64 v7, v[19:20] offset:24
.LBB117_40:
	s_or_b32 exec_lo, exec_lo, s1
	v_lshlrev_b32_e32 v19, 3, v12
	s_waitcnt lgkmcnt(0)
	s_barrier
	buffer_gl0_inv
	ds_read_b64 v[21:22], v5
	ds_read_b128 v[25:28], v19 offset:9088
	ds_read2_b64 v[29:32], v6 offset1:33
	v_add_nc_u32_e32 v20, v10, v8
	ds_read_b128 v[5:8], v19 offset:9104
	ds_read_b64 v[33:34], v20
	v_mul_u32_u24_e32 v13, 33, v2
	v_mov_b32_e32 v59, 0
	v_cmp_gt_u32_e64 s1, 32, v24
	v_mov_b32_e32 v60, 0
	s_waitcnt lgkmcnt(0)
	s_barrier
	buffer_gl0_inv
	v_mul_f32_e32 v23, v26, v22
	v_mul_f32_e32 v22, v25, v22
	;; [unrolled: 1-line block ×5, first 2 shown]
	v_fma_f32 v23, v25, v21, -v23
	v_fmac_f32_e32 v22, v26, v21
	v_mul_f32_e32 v32, v5, v32
	v_fma_f32 v25, v27, v29, -v35
	v_fmac_f32_e32 v30, v28, v29
	v_add_f32_e32 v23, 0, v23
	v_add_f32_e32 v22, 0, v22
	v_mul_f32_e32 v21, v8, v34
	v_mul_f32_e32 v27, v7, v34
	v_fma_f32 v5, v5, v31, -v36
	v_fmac_f32_e32 v32, v6, v31
	v_add_f32_e32 v6, v23, v25
	v_add_f32_e32 v22, v22, v30
	v_lshlrev_b32_e32 v25, 3, v13
	v_fma_f32 v7, v7, v33, -v21
	v_fmac_f32_e32 v27, v8, v33
	v_add_f32_e32 v5, v6, v5
	v_add_f32_e32 v6, v22, v32
	v_lshl_add_u32 v26, v9, 3, v25
	v_add_f32_e32 v5, v5, v7
	v_add_f32_e32 v6, v6, v27
	ds_write_b64 v26, v[5:6]
	s_waitcnt lgkmcnt(0)
	s_barrier
	buffer_gl0_inv
	s_and_saveexec_b32 s10, s1
	s_cbranch_execz .LBB117_42
; %bb.41:
	ds_read2_b64 v[5:8], v25 offset1:7
	ds_read2_b64 v[27:30], v25 offset0:1 offset1:2
	ds_read2_b64 v[31:34], v25 offset0:3 offset1:4
	;; [unrolled: 1-line block ×3, first 2 shown]
	s_waitcnt lgkmcnt(2)
	v_add_f32_e32 v5, v27, v5
	v_add_f32_e32 v6, v28, v6
	v_add_f32_e32 v5, v29, v5
	v_add_f32_e32 v6, v30, v6
	s_waitcnt lgkmcnt(1)
	v_add_f32_e32 v5, v5, v31
	v_add_f32_e32 v6, v6, v32
	v_add_f32_e32 v5, v5, v33
	v_add_f32_e32 v6, v6, v34
	;; [unrolled: 5-line block ×3, first 2 shown]
	v_add_f32_e32 v59, v5, v7
	v_add_f32_e32 v60, v6, v8
.LBB117_42:
	s_or_b32 exec_lo, exec_lo, s10
	s_lshl_b32 s18, s14, 5
	s_ashr_i32 s19, s18, 31
	s_barrier
	s_lshl_b64 s[20:21], s[18:19], 3
	buffer_gl0_inv
	v_add_co_u32 v7, vcc_lo, v3, s20
	v_add_co_ci_u32_e64 v8, null, s21, v4, vcc_lo
	v_add_co_u32 v5, vcc_lo, 0x100, v7
	v_add_co_ci_u32_e64 v6, null, 0, v8, vcc_lo
	s_and_b32 vcc_lo, exec_lo, s17
	s_cbranch_vccz .LBB117_60
; %bb.43:
	v_sub_co_u32 v3, vcc_lo, v7, v10
	s_ashr_i32 s13, s12, 31
	v_subrev_co_ci_u32_e64 v4, null, 0, v8, vcc_lo
	s_lshl_b64 s[22:23], s[12:13], 3
	v_or_b32_e32 v13, 32, v2
	v_add_co_u32 v3, vcc_lo, v3, s22
	v_add_co_ci_u32_e64 v4, null, s23, v4, vcc_lo
	s_sub_i32 s13, s12, 32
	v_add_co_u32 v3, vcc_lo, v3, -8
	v_add_co_ci_u32_e64 v4, null, -1, v4, vcc_lo
	v_cmp_gt_i32_e32 vcc_lo, s12, v13
	v_cmp_le_i32_e64 s10, s13, v9
	v_add_nc_u32_e32 v13, v10, v11
	v_cndmask_b32_e32 v4, v4, v6, vcc_lo
	v_cndmask_b32_e32 v3, v3, v5, vcc_lo
	s_and_saveexec_b32 s15, s10
	s_xor_b32 s10, exec_lo, s15
; %bb.44:
	v_mov_b32_e32 v21, 0
	v_mov_b32_e32 v22, v21
	ds_write_b64 v13, v[21:22]
; %bb.45:
	s_andn2_saveexec_b32 s10, s10
	s_cbranch_execz .LBB117_47
; %bb.46:
	global_load_dwordx2 v[21:22], v[3:4], off
	s_waitcnt vmcnt(0)
	ds_write_b64 v13, v[21:22]
.LBB117_47:
	s_or_b32 exec_lo, exec_lo, s10
	v_add_nc_u32_e32 v21, 8, v9
	v_cmp_le_i32_e64 s10, s13, v21
	s_and_saveexec_b32 s15, s10
	s_xor_b32 s10, exec_lo, s15
; %bb.48:
	v_mov_b32_e32 v21, 0
	v_mov_b32_e32 v22, v21
	ds_write_b64 v13, v[21:22] offset:2112
; %bb.49:
	s_andn2_saveexec_b32 s15, s10
	s_cbranch_execz .LBB117_51
; %bb.50:
	s_lshl_b32 s30, s14, 3
	s_ashr_i32 s31, s30, 31
	s_lshl_b64 s[30:31], s[30:31], 3
	v_add_co_u32 v21, s10, v3, s30
	v_add_co_ci_u32_e64 v22, null, s31, v4, s10
	global_load_dwordx2 v[21:22], v[21:22], off
	s_waitcnt vmcnt(0)
	ds_write_b64 v13, v[21:22] offset:2112
.LBB117_51:
	s_or_b32 exec_lo, exec_lo, s15
	v_add_nc_u32_e32 v21, 16, v9
	v_cmp_le_i32_e64 s10, s13, v21
	s_and_saveexec_b32 s15, s10
	s_xor_b32 s10, exec_lo, s15
; %bb.52:
	v_mov_b32_e32 v21, 0
	v_mov_b32_e32 v22, v21
	ds_write_b64 v13, v[21:22] offset:4224
; %bb.53:
	s_andn2_saveexec_b32 s15, s10
	s_cbranch_execz .LBB117_55
; %bb.54:
	s_lshl_b32 s30, s14, 4
	s_ashr_i32 s31, s30, 31
	s_lshl_b64 s[30:31], s[30:31], 3
	v_add_co_u32 v21, s10, v3, s30
	v_add_co_ci_u32_e64 v22, null, s31, v4, s10
	global_load_dwordx2 v[21:22], v[21:22], off
	s_waitcnt vmcnt(0)
	ds_write_b64 v13, v[21:22] offset:4224
.LBB117_55:
	s_or_b32 exec_lo, exec_lo, s15
	v_add_nc_u32_e32 v21, 24, v9
	v_cmp_le_i32_e64 s10, s13, v21
	s_and_saveexec_b32 s13, s10
	s_xor_b32 s10, exec_lo, s13
; %bb.56:
	v_mov_b32_e32 v21, 0
	v_mov_b32_e32 v22, v21
	ds_write_b64 v13, v[21:22] offset:6336
                                        ; implicit-def: $vgpr13
; %bb.57:
	s_andn2_saveexec_b32 s13, s10
	s_cbranch_execz .LBB117_59
; %bb.58:
	s_mul_i32 s30, s14, 24
	s_ashr_i32 s31, s30, 31
	s_lshl_b64 s[30:31], s[30:31], 3
	v_add_co_u32 v21, s10, v3, s30
	v_add_co_ci_u32_e64 v22, null, s31, v4, s10
	global_load_dwordx2 v[21:22], v[21:22], off
	s_waitcnt vmcnt(0)
	ds_write_b64 v13, v[21:22] offset:6336
.LBB117_59:
	s_or_b32 exec_lo, exec_lo, s13
	v_add_co_u32 v3, s10, v3, v10
	v_add_co_ci_u32_e64 v4, null, 0, v4, s10
	v_sub_co_u32 v3, s10, v3, s22
	v_subrev_co_ci_u32_e64 v4, null, s23, v4, s10
	v_add_co_u32 v3, s10, 0x108, v3
	v_add_co_ci_u32_e64 v4, null, 0, v4, s10
	v_cndmask_b32_e32 v3, v3, v5, vcc_lo
	v_cndmask_b32_e32 v4, v4, v6, vcc_lo
	v_mul_u32_u24_e32 v21, 0x420, v9
	v_mad_u32_u24 v13, 0x108, v9, v10
	s_branch .LBB117_62
.LBB117_60:
                                        ; implicit-def: $vgpr3_vgpr4
	v_mul_u32_u24_e32 v21, 0x420, v9
	v_mad_u32_u24 v13, 0x108, v9, v10
	s_cbranch_execz .LBB117_62
; %bb.61:
	s_lshl_b32 s22, s14, 3
	s_ashr_i32 s15, s14, 31
	s_ashr_i32 s23, s22, 31
	s_lshl_b64 s[22:23], s[22:23], 3
	v_add_co_u32 v3, vcc_lo, v7, s22
	v_add_co_ci_u32_e64 v4, null, s23, v8, vcc_lo
	s_lshl_b64 s[22:23], s[14:15], 6
	v_add_co_u32 v22, vcc_lo, v3, s22
	v_add_co_ci_u32_e64 v23, null, s23, v4, vcc_lo
	v_add_co_u32 v27, vcc_lo, v22, s22
	v_add_co_ci_u32_e64 v28, null, s23, v23, vcc_lo
	s_clause 0x3
	global_load_dwordx2 v[7:8], v[7:8], off offset:256
	global_load_dwordx2 v[29:30], v[3:4], off offset:256
	;; [unrolled: 1-line block ×4, first 2 shown]
	v_mov_b32_e32 v3, v5
	v_mov_b32_e32 v4, v6
	s_waitcnt vmcnt(3)
	ds_write_b64 v13, v[7:8]
	s_waitcnt vmcnt(2)
	ds_write_b64 v13, v[29:30] offset:2112
	s_waitcnt vmcnt(1)
	ds_write_b64 v13, v[22:23] offset:4224
	;; [unrolled: 2-line block ×3, first 2 shown]
.LBB117_62:
	v_mul_u32_u24_e32 v6, 0x108, v18
	v_add_nc_u32_e32 v21, v10, v21
	v_lshl_add_u32 v5, v12, 3, v25
	s_waitcnt lgkmcnt(0)
	s_barrier
	buffer_gl0_inv
	s_and_saveexec_b32 s10, s2
	s_cbranch_execnz .LBB117_87
; %bb.63:
	s_or_b32 exec_lo, exec_lo, s10
	v_add_nc_u32_e32 v22, v10, v6
	s_and_saveexec_b32 s2, s3
	s_cbranch_execnz .LBB117_88
.LBB117_64:
	s_or_b32 exec_lo, exec_lo, s2
	s_and_saveexec_b32 s2, s8
	s_cbranch_execnz .LBB117_89
.LBB117_65:
	s_or_b32 exec_lo, exec_lo, s2
	v_add_nc_u32_e32 v23, 0x2380, v19
	s_and_saveexec_b32 s2, s9
	s_cbranch_execz .LBB117_67
.LBB117_66:
	ds_read_b64 v[6:7], v20
	s_waitcnt lgkmcnt(0)
	ds_write_b64 v5, v[6:7] offset:24
.LBB117_67:
	s_or_b32 exec_lo, exec_lo, s2
	s_waitcnt lgkmcnt(0)
	s_barrier
	buffer_gl0_inv
	ds_read_b64 v[18:19], v21
	ds_read_b128 v[5:8], v23 offset:256
	ds_read2_b64 v[27:30], v22 offset1:33
	ds_read_b128 v[31:34], v23 offset:272
	ds_read_b64 v[35:36], v20
	v_cmp_eq_u32_e64 s2, 1, v9
	s_waitcnt lgkmcnt(0)
	s_barrier
	buffer_gl0_inv
	v_mul_f32_e32 v12, v6, v19
	v_mul_f32_e32 v19, v5, v19
	;; [unrolled: 1-line block ×5, first 2 shown]
	v_fma_f32 v5, v5, v18, -v12
	v_fmac_f32_e32 v19, v6, v18
	v_mul_f32_e32 v30, v31, v30
	v_fma_f32 v7, v7, v27, -v37
	v_fmac_f32_e32 v28, v8, v27
	v_add_f32_e32 v5, 0, v5
	v_add_f32_e32 v8, 0, v19
	v_mul_f32_e32 v6, v34, v36
	v_mul_f32_e32 v12, v33, v36
	v_fma_f32 v18, v31, v29, -v38
	v_fmac_f32_e32 v30, v32, v29
	v_add_f32_e32 v5, v5, v7
	v_add_f32_e32 v7, v8, v28
	v_fma_f32 v6, v33, v35, -v6
	v_fmac_f32_e32 v12, v34, v35
	v_add_f32_e32 v5, v5, v18
	v_add_f32_e32 v7, v7, v30
	;; [unrolled: 1-line block ×4, first 2 shown]
	ds_write_b64 v26, v[5:6]
	s_waitcnt lgkmcnt(0)
	s_barrier
	buffer_gl0_inv
	s_and_saveexec_b32 s3, s2
	s_cbranch_execz .LBB117_69
; %bb.68:
	ds_read2_b64 v[5:8], v25 offset1:7
	ds_read2_b64 v[27:30], v25 offset0:1 offset1:2
	ds_read2_b64 v[31:34], v25 offset0:3 offset1:4
	;; [unrolled: 1-line block ×3, first 2 shown]
	s_waitcnt lgkmcnt(2)
	v_add_f32_e32 v5, v27, v5
	v_add_f32_e32 v6, v28, v6
	v_add_f32_e32 v5, v29, v5
	v_add_f32_e32 v6, v30, v6
	s_waitcnt lgkmcnt(1)
	v_add_f32_e32 v5, v5, v31
	v_add_f32_e32 v6, v6, v32
	v_add_f32_e32 v5, v5, v33
	v_add_f32_e32 v6, v6, v34
	;; [unrolled: 5-line block ×3, first 2 shown]
	v_add_f32_e32 v59, v5, v7
	v_add_f32_e32 v60, v6, v8
.LBB117_69:
	s_or_b32 exec_lo, exec_lo, s3
	v_add_co_u32 v5, vcc_lo, 0xffffff00, v3
	v_add_co_ci_u32_e64 v6, null, -1, v4, vcc_lo
	s_and_b32 vcc_lo, exec_lo, s17
	s_barrier
	buffer_gl0_inv
	s_cbranch_vccz .LBB117_90
; %bb.70:
	v_sub_co_u32 v7, vcc_lo, v3, v10
	s_ashr_i32 s13, s12, 31
	v_subrev_co_ci_u32_e64 v8, null, 0, v4, vcc_lo
	s_lshl_b64 s[8:9], s[12:13], 3
	s_sub_i32 s10, s12, 32
	v_add_co_u32 v7, vcc_lo, v7, s8
	v_add_co_ci_u32_e64 v8, null, s9, v8, vcc_lo
	v_cmp_le_i32_e64 s3, s10, v9
	v_add_co_u32 v7, vcc_lo, 0xfffffef8, v7
	v_add_co_ci_u32_e64 v8, null, -1, v8, vcc_lo
	v_cmp_gt_i32_e32 vcc_lo, s12, v2
	v_add_nc_u32_e32 v12, v10, v11
	v_cndmask_b32_e32 v8, v8, v6, vcc_lo
	v_cndmask_b32_e32 v7, v7, v5, vcc_lo
	s_and_saveexec_b32 s13, s3
	s_xor_b32 s3, exec_lo, s13
; %bb.71:
	v_mov_b32_e32 v18, 0
	v_mov_b32_e32 v19, v18
	ds_write_b64 v12, v[18:19]
; %bb.72:
	s_andn2_saveexec_b32 s3, s3
	s_cbranch_execz .LBB117_74
; %bb.73:
	global_load_dwordx2 v[18:19], v[7:8], off
	s_waitcnt vmcnt(0)
	ds_write_b64 v12, v[18:19]
.LBB117_74:
	s_or_b32 exec_lo, exec_lo, s3
	v_add_nc_u32_e32 v2, 8, v9
	v_cmp_le_i32_e64 s3, s10, v2
	s_and_saveexec_b32 s13, s3
	s_xor_b32 s3, exec_lo, s13
; %bb.75:
	v_mov_b32_e32 v18, 0
	v_mov_b32_e32 v19, v18
	ds_write_b64 v12, v[18:19] offset:2112
; %bb.76:
	s_andn2_saveexec_b32 s13, s3
	s_cbranch_execz .LBB117_78
; %bb.77:
	s_lshl_b32 s22, s14, 3
	s_ashr_i32 s23, s22, 31
	s_lshl_b64 s[22:23], s[22:23], 3
	v_add_co_u32 v18, s3, v7, s22
	v_add_co_ci_u32_e64 v19, null, s23, v8, s3
	global_load_dwordx2 v[18:19], v[18:19], off
	s_waitcnt vmcnt(0)
	ds_write_b64 v12, v[18:19] offset:2112
.LBB117_78:
	s_or_b32 exec_lo, exec_lo, s13
	v_add_nc_u32_e32 v11, 16, v9
	v_cmp_le_i32_e64 s3, s10, v11
	s_and_saveexec_b32 s13, s3
	s_xor_b32 s3, exec_lo, s13
; %bb.79:
	v_mov_b32_e32 v18, 0
	v_mov_b32_e32 v19, v18
	ds_write_b64 v12, v[18:19] offset:4224
; %bb.80:
	s_andn2_saveexec_b32 s13, s3
	s_cbranch_execz .LBB117_82
; %bb.81:
	s_lshl_b32 s22, s14, 4
	s_ashr_i32 s23, s22, 31
	s_lshl_b64 s[22:23], s[22:23], 3
	v_add_co_u32 v18, s3, v7, s22
	v_add_co_ci_u32_e64 v19, null, s23, v8, s3
	global_load_dwordx2 v[18:19], v[18:19], off
	s_waitcnt vmcnt(0)
	ds_write_b64 v12, v[18:19] offset:4224
.LBB117_82:
	s_or_b32 exec_lo, exec_lo, s13
	v_add_nc_u32_e32 v27, 24, v9
	v_cmp_le_i32_e64 s3, s10, v27
	s_and_saveexec_b32 s10, s3
	s_xor_b32 s3, exec_lo, s10
; %bb.83:
	v_mov_b32_e32 v18, 0
	v_mov_b32_e32 v19, v18
	ds_write_b64 v12, v[18:19] offset:6336
                                        ; implicit-def: $vgpr12
; %bb.84:
	s_andn2_saveexec_b32 s10, s3
	s_cbranch_execz .LBB117_86
; %bb.85:
	s_mul_i32 s22, s14, 24
	s_ashr_i32 s23, s22, 31
	s_lshl_b64 s[22:23], s[22:23], 3
	v_add_co_u32 v18, s3, v7, s22
	v_add_co_ci_u32_e64 v19, null, s23, v8, s3
	global_load_dwordx2 v[18:19], v[18:19], off
	s_waitcnt vmcnt(0)
	ds_write_b64 v12, v[18:19] offset:6336
.LBB117_86:
	s_or_b32 exec_lo, exec_lo, s10
	v_add_co_u32 v7, s3, v7, v10
	v_add_co_ci_u32_e64 v8, null, 0, v8, s3
	v_sub_co_u32 v7, s3, v7, s8
	v_subrev_co_ci_u32_e64 v8, null, s9, v8, s3
	v_add_co_u32 v7, s3, v7, 8
	v_add_co_ci_u32_e64 v8, null, 0, v8, s3
	v_cndmask_b32_e32 v18, v7, v5, vcc_lo
	v_cndmask_b32_e32 v19, v8, v6, vcc_lo
	s_branch .LBB117_92
.LBB117_87:
	ds_read_b64 v[7:8], v21
	s_waitcnt lgkmcnt(0)
	ds_write_b64 v5, v[7:8]
	s_or_b32 exec_lo, exec_lo, s10
	v_add_nc_u32_e32 v22, v10, v6
	s_and_saveexec_b32 s2, s3
	s_cbranch_execz .LBB117_64
.LBB117_88:
	ds_read_b64 v[6:7], v22
	s_waitcnt lgkmcnt(0)
	ds_write_b64 v5, v[6:7] offset:8
	s_or_b32 exec_lo, exec_lo, s2
	s_and_saveexec_b32 s2, s8
	s_cbranch_execz .LBB117_65
.LBB117_89:
	ds_read_b64 v[6:7], v22 offset:264
	s_waitcnt lgkmcnt(0)
	ds_write_b64 v5, v[6:7] offset:16
	s_or_b32 exec_lo, exec_lo, s2
	v_add_nc_u32_e32 v23, 0x2380, v19
	s_and_saveexec_b32 s2, s9
	s_cbranch_execnz .LBB117_66
	s_branch .LBB117_67
.LBB117_90:
                                        ; implicit-def: $vgpr18_vgpr19
                                        ; implicit-def: $vgpr2
                                        ; implicit-def: $vgpr11
                                        ; implicit-def: $vgpr27
	s_cbranch_execz .LBB117_92
; %bb.91:
	s_lshl_b32 s8, s14, 3
	s_ashr_i32 s15, s14, 31
	s_ashr_i32 s9, s8, 31
	v_add_nc_u32_e32 v2, 8, v9
	s_lshl_b64 s[8:9], s[8:9], 3
	v_add_nc_u32_e32 v27, 24, v9
	v_add_co_u32 v7, vcc_lo, v3, s8
	v_add_co_ci_u32_e64 v8, null, s9, v4, vcc_lo
	s_lshl_b64 s[8:9], s[14:15], 6
	v_add_co_u32 v10, vcc_lo, v7, s8
	v_add_co_ci_u32_e64 v11, null, s9, v8, vcc_lo
	v_add_co_u32 v18, vcc_lo, v10, s8
	v_add_co_ci_u32_e64 v19, null, s9, v11, vcc_lo
	s_clause 0x3
	global_load_dwordx2 v[3:4], v[3:4], off offset:-256
	global_load_dwordx2 v[7:8], v[7:8], off offset:-256
	;; [unrolled: 1-line block ×4, first 2 shown]
	v_mov_b32_e32 v19, v6
	v_add_nc_u32_e32 v11, 16, v9
	v_mov_b32_e32 v18, v5
	s_waitcnt vmcnt(3)
	ds_write_b64 v13, v[3:4]
	s_waitcnt vmcnt(2)
	ds_write_b64 v13, v[7:8] offset:2112
	s_waitcnt vmcnt(1)
	ds_write_b64 v13, v[28:29] offset:4224
	;; [unrolled: 2-line block ×3, first 2 shown]
.LBB117_92:
	v_lshlrev_b32_e32 v3, 3, v9
	v_lshlrev_b32_e32 v2, 3, v2
	s_waitcnt lgkmcnt(0)
	s_barrier
	buffer_gl0_inv
	v_add_nc_u32_e32 v5, v25, v3
	v_lshlrev_b32_e32 v6, 3, v27
	v_lshlrev_b32_e32 v4, 3, v11
	v_add_nc_u32_e32 v7, v25, v2
	ds_read_b64 v[27:28], v5
	ds_read_b64 v[29:30], v2 offset:9088
	ds_read_b64 v[31:32], v3 offset:9088
	v_add_nc_u32_e32 v2, v25, v6
	v_add_nc_u32_e32 v8, v25, v4
	ds_read_b64 v[33:34], v7
	ds_read_b64 v[35:36], v8
	ds_read_b64 v[37:38], v6 offset:9088
	ds_read_b64 v[39:40], v4 offset:9088
	ds_read_b64 v[41:42], v2
	ds_read_b128 v[10:13], v23 offset:256
	ds_read_b128 v[2:5], v23 offset:272
	ds_read2_b64 v[6:9], v22 offset1:33
	ds_read_b64 v[22:23], v21
	ds_read_b64 v[20:21], v20
	s_waitcnt lgkmcnt(0)
	s_barrier
	buffer_gl0_inv
	v_mul_f32_e32 v44, v30, v34
	v_mul_f32_e32 v43, v32, v28
	;; [unrolled: 1-line block ×5, first 2 shown]
	v_fma_f32 v29, v29, v33, -v44
	v_fma_f32 v31, v31, v27, -v43
	v_fmac_f32_e32 v28, v32, v27
	v_mul_f32_e32 v27, v39, v36
	v_fmac_f32_e32 v34, v30, v33
	v_mul_f32_e32 v46, v38, v42
	v_add_f32_e32 v30, 0, v31
	v_add_f32_e32 v28, 0, v28
	v_mul_f32_e32 v31, v37, v42
	v_fma_f32 v32, v39, v35, -v45
	v_fmac_f32_e32 v27, v40, v35
	v_add_f32_e32 v29, v30, v29
	v_add_f32_e32 v28, v28, v34
	v_fma_f32 v30, v37, v41, -v46
	v_fmac_f32_e32 v31, v38, v41
	v_add_f32_e32 v29, v29, v32
	v_add_f32_e32 v28, v28, v27
	;; [unrolled: 1-line block ×4, first 2 shown]
	ds_write_b64 v26, v[27:28]
	s_waitcnt lgkmcnt(0)
	s_barrier
	buffer_gl0_inv
	s_and_saveexec_b32 s3, s2
	s_cbranch_execz .LBB117_94
; %bb.93:
	ds_read2_b64 v[27:30], v25 offset1:1
	ds_read2_b64 v[31:34], v25 offset0:2 offset1:3
	ds_read2_b64 v[35:38], v25 offset0:4 offset1:5
	s_waitcnt lgkmcnt(2)
	v_add_f32_e32 v27, v59, v27
	v_add_f32_e32 v28, v60, v28
	v_add_f32_e32 v39, v27, v29
	v_add_f32_e32 v40, v28, v30
	ds_read2_b64 v[27:30], v25 offset0:6 offset1:7
	s_waitcnt lgkmcnt(2)
	v_add_f32_e32 v31, v39, v31
	v_add_f32_e32 v32, v40, v32
	v_add_f32_e32 v31, v31, v33
	v_add_f32_e32 v32, v32, v34
	s_waitcnt lgkmcnt(1)
	v_add_f32_e32 v31, v31, v35
	v_add_f32_e32 v32, v32, v36
	v_add_f32_e32 v31, v31, v37
	v_add_f32_e32 v32, v32, v38
	;; [unrolled: 5-line block ×3, first 2 shown]
.LBB117_94:
	s_or_b32 exec_lo, exec_lo, s3
	v_mul_f32_e32 v27, v11, v23
	v_mul_f32_e32 v23, v10, v23
	;; [unrolled: 1-line block ×5, first 2 shown]
	v_fma_f32 v10, v10, v22, -v27
	v_fmac_f32_e32 v23, v11, v22
	v_mul_f32_e32 v9, v2, v9
	v_fma_f32 v12, v12, v6, -v28
	v_fmac_f32_e32 v7, v13, v6
	v_add_f32_e32 v10, 0, v10
	v_add_f32_e32 v6, 0, v23
	v_mul_f32_e32 v11, v5, v21
	v_mul_f32_e32 v13, v4, v21
	v_fma_f32 v2, v2, v8, -v29
	v_add_f32_e32 v10, v10, v12
	v_fmac_f32_e32 v9, v3, v8
	v_add_f32_e32 v3, v6, v7
	v_fma_f32 v4, v4, v20, -v11
	v_fmac_f32_e32 v13, v5, v20
	v_add_f32_e32 v2, v10, v2
	v_add_f32_e32 v3, v3, v9
	s_barrier
	buffer_gl0_inv
	v_add_f32_e32 v2, v2, v4
	v_add_f32_e32 v3, v3, v13
	ds_write_b64 v26, v[2:3]
	s_waitcnt lgkmcnt(0)
	s_barrier
	buffer_gl0_inv
	s_and_saveexec_b32 s2, s1
	s_cbranch_execz .LBB117_96
; %bb.95:
	ds_read2_b64 v[2:5], v25 offset1:1
	ds_read2_b64 v[6:9], v25 offset0:2 offset1:3
	ds_read2_b64 v[10:13], v25 offset0:4 offset1:5
	s_waitcnt lgkmcnt(2)
	v_add_f32_e32 v2, v59, v2
	v_add_f32_e32 v3, v60, v3
	;; [unrolled: 1-line block ×4, first 2 shown]
	ds_read2_b64 v[2:5], v25 offset0:6 offset1:7
	s_waitcnt lgkmcnt(2)
	v_add_f32_e32 v6, v20, v6
	v_add_f32_e32 v7, v21, v7
	v_add_f32_e32 v6, v6, v8
	v_add_f32_e32 v7, v7, v9
	s_waitcnt lgkmcnt(1)
	v_add_f32_e32 v6, v6, v10
	v_add_f32_e32 v7, v7, v11
	v_add_f32_e32 v6, v6, v12
	v_add_f32_e32 v7, v7, v13
	;; [unrolled: 5-line block ×3, first 2 shown]
.LBB117_96:
	s_or_b32 exec_lo, exec_lo, s2
	s_load_dwordx2 s[2:3], s[4:5], 0x68
	s_mul_hi_u32 s1, s25, s7
	s_mul_i32 s11, s11, s7
	s_mul_i32 s4, s25, s7
	s_add_i32 s1, s1, s11
	s_mul_hi_u32 s5, s4, s26
	s_mul_i32 s1, s1, s26
	s_mul_i32 s4, s4, s26
	s_add_i32 s5, s5, s1
	s_mul_hi_i32 s9, s25, s6
	s_lshl_b64 s[4:5], s[4:5], 3
	s_mul_i32 s8, s25, s6
	v_lshlrev_b32_e32 v96, 3, v0
	s_waitcnt lgkmcnt(0)
	s_barrier
	buffer_gl0_inv
	s_add_u32 s1, s2, s4
	s_addc_u32 s4, s3, s5
	s_lshl_b64 s[2:3], s[8:9], 3
	s_add_u32 s7, s1, s2
	s_addc_u32 s13, s4, s3
	s_add_i32 s4, s6, 1
	s_cmp_ge_u32 s4, s26
	s_cbranch_scc1 .LBB117_154
; %bb.97:
	v_lshlrev_b32_e32 v97, 2, v1
	s_mul_i32 s2, s24, s16
	s_ashr_i32 s15, s14, 31
	s_ashr_i32 s3, s2, 31
	s_lshl_b32 s30, s24, 6
	v_mad_u64_u32 v[2:3], null, s14, v97, v[0:1]
	s_lshl_b64 s[2:3], s[2:3], 3
	s_lshl_b32 s22, s14, 1
	v_sub_co_u32 v98, vcc_lo, v16, s2
	s_lshl_b32 s2, s14, 4
	v_subrev_co_ci_u32_e64 v99, null, s3, v17, vcc_lo
	v_ashrrev_i32_e32 v3, 31, v2
	s_ashr_i32 s3, s2, 31
	s_mul_i32 s34, s14, 3
	s_mul_i32 s24, s24, s4
	s_lshl_b64 s[10:11], s[14:15], 4
	v_lshlrev_b64 v[4:5], 3, v[2:3]
	s_add_i32 s29, s26, -2
	s_ashr_i32 s23, s22, 31
	s_ashr_i32 s35, s34, 31
	s_lshl_b64 s[16:17], s[14:15], 3
	s_lshl_b32 s4, s24, 6
	s_lshl_b64 s[8:9], s[2:3], 5
	s_add_u32 s5, s10, s20
	v_add_co_u32 v11, vcc_lo, s20, v4
	s_addc_u32 s15, s11, s21
	s_add_u32 s31, s16, s20
	v_add_co_ci_u32_e64 v12, null, s21, v5, vcc_lo
	v_add_co_u32 v13, vcc_lo, s5, v4
	s_addc_u32 s33, s17, s21
	s_lshl_b64 s[24:25], s[22:23], 3
	v_add_co_ci_u32_e64 v16, null, s15, v5, vcc_lo
	v_add_co_u32 v17, vcc_lo, s31, v4
	s_add_u32 s36, s20, s24
	s_addc_u32 s37, s21, s25
	s_lshl_b64 s[22:23], s[34:35], 3
	v_add_co_ci_u32_e64 v20, null, s33, v5, vcc_lo
	v_add_co_u32 v21, vcc_lo, s36, v4
	s_add_u32 s36, s20, s22
	v_add_co_ci_u32_e64 v22, null, s37, v5, vcc_lo
	s_addc_u32 s37, s21, s23
	s_lshl_b64 s[34:35], s[2:3], 3
	v_add_co_u32 v23, vcc_lo, s36, v4
	s_add_u32 s36, s20, s34
	v_lshrrev_b32_e32 v8, 4, v24
	v_cmp_gt_u32_e64 s1, 64, v24
	v_add_co_ci_u32_e64 v24, null, s37, v5, vcc_lo
	s_addc_u32 s37, s21, s35
	v_add_co_u32 v25, vcc_lo, s36, v4
	s_add_u32 s31, s31, s34
	v_add_co_ci_u32_e64 v26, null, s37, v5, vcc_lo
	s_addc_u32 s33, s33, s35
	v_add_co_u32 v27, vcc_lo, s31, v4
	s_add_u32 s31, s36, s24
	;; [unrolled: 4-line block ×4, first 2 shown]
	v_add_co_ci_u32_e64 v32, null, s33, v5, vcc_lo
	s_addc_u32 s33, s37, s23
	s_lshl_b64 s[34:35], s[2:3], 4
	v_add_co_u32 v33, vcc_lo, s31, v4
	s_add_u32 s3, s34, s20
	s_addc_u32 s20, s35, s21
	v_add_co_ci_u32_e64 v34, null, s33, v5, vcc_lo
	v_add_co_u32 v35, vcc_lo, s3, v4
	s_add_u32 s21, s3, s16
	v_add_co_ci_u32_e64 v36, null, s20, v5, vcc_lo
	s_addc_u32 s31, s20, s17
	v_add_co_u32 v37, vcc_lo, s21, v4
	v_add_co_ci_u32_e64 v38, null, s31, v5, vcc_lo
	v_add_co_u32 v2, vcc_lo, s18, v2
	v_add_co_ci_u32_e64 v3, null, s19, v3, vcc_lo
	s_add_u32 s21, s3, s24
	s_addc_u32 s31, s20, s25
	v_add_co_u32 v39, vcc_lo, s21, v4
	v_lshlrev_b64 v[2:3], 3, v[2:3]
	s_add_u32 s5, s5, s34
	s_addc_u32 s15, s15, s35
	v_add_co_ci_u32_e64 v40, null, s31, v5, vcc_lo
	v_add_co_u32 v41, vcc_lo, s5, v4
	v_mad_i64_i32 v[6:7], null, s2, 24, v[2:3]
	s_add_u32 s3, s3, s22
	v_add_co_ci_u32_e64 v42, null, s15, v5, vcc_lo
	s_addc_u32 s5, s20, s23
	v_add_co_u32 v4, vcc_lo, s3, v4
	v_add_co_ci_u32_e64 v5, null, s5, v5, vcc_lo
	v_add_co_u32 v103, vcc_lo, v18, v6
	s_mul_i32 s3, s14, 0x180
	v_add_co_ci_u32_e64 v104, null, v19, v7, vcc_lo
	v_add_co_u32 v43, vcc_lo, v6, s16
	s_mul_hi_i32 s2, s2, 24
	v_add_co_ci_u32_e64 v44, null, s17, v7, vcc_lo
	v_add_co_u32 v45, vcc_lo, v6, s24
	s_add_u32 s3, s3, s10
	v_add_co_ci_u32_e64 v46, null, s25, v7, vcc_lo
	s_addc_u32 s2, s2, s11
	v_add_co_u32 v2, vcc_lo, s3, v2
	v_add_co_ci_u32_e64 v3, null, s2, v3, vcc_lo
	v_add_co_u32 v6, vcc_lo, v6, s22
	v_add_co_ci_u32_e64 v7, null, s23, v7, vcc_lo
	;; [unrolled: 2-line block ×17, first 2 shown]
	v_add_co_u32 v135, vcc_lo, v18, v43
	v_and_b32_e32 v9, 15, v0
	v_and_b32_e32 v10, 48, v0
	v_lshlrev_b32_e32 v47, 5, v8
	v_add_co_ci_u32_e64 v136, null, v19, v44, vcc_lo
	v_add_co_u32 v137, vcc_lo, v18, v45
	v_add_co_ci_u32_e64 v138, null, v19, v46, vcc_lo
	v_add_co_u32 v139, vcc_lo, v18, v2
	v_lshlrev_b32_e32 v10, 3, v10
	v_add_co_ci_u32_e64 v140, null, v19, v3, vcc_lo
	v_or_b32_e32 v2, 0x78, v96
	v_mad_u32_u24 v144, 0x218, v9, v47
	v_mul_i32_i24_e32 v3, 0xffffffe8, v8
	v_add_co_u32 v141, vcc_lo, v18, v6
	v_add_co_ci_u32_e64 v142, null, v19, v7, vcc_lo
	v_sub_co_u32 v147, vcc_lo, 0, v14
	v_add_nc_u32_e32 v100, 0x2180, v96
	v_lshl_add_u32 v101, v1, 5, 0x2180
	v_add_nc_u32_e32 v102, 0x2380, v96
	v_mad_u32_u24 v143, 0x860, v1, v96
	v_mad_u32_u24 v145, 0x218, v9, v10
	;; [unrolled: 1-line block ×3, first 2 shown]
	v_sub_co_ci_u32_e64 v148, null, 0, v15, vcc_lo
	v_add_nc_u32_e32 v149, v144, v3
	v_add_nc_u32_e32 v150, 49, v97
	;; [unrolled: 1-line block ×5, first 2 shown]
	v_mov_b32_e32 v63, 0
	s_cmp_eq_u32 s29, s6
	s_cselect_b32 s3, s27, 0
	s_and_saveexec_b32 s2, s0
	s_cbranch_execz .LBB117_102
.LBB117_98:
	v_cmp_le_i32_e32 vcc_lo, s3, v0
	s_cmp_lg_u32 s3, 0
	s_cselect_b32 s5, -1, 0
	s_and_b32 s5, s5, vcc_lo
	s_and_saveexec_b32 s10, s5
	s_xor_b32 s5, exec_lo, s10
; %bb.99:
	v_mov_b32_e32 v64, v63
	ds_write_b64 v100, v[63:64]
; %bb.100:
	s_andn2_saveexec_b32 s5, s5
	s_cbranch_execz .LBB117_102
; %bb.101:
	s_ashr_i32 s5, s4, 31
	s_lshl_b64 s[10:11], s[4:5], 3
	v_add_co_u32 v2, vcc_lo, v98, s10
	v_add_co_ci_u32_e64 v3, null, s11, v99, vcc_lo
	global_load_dwordx2 v[2:3], v[2:3], off
	s_waitcnt vmcnt(0)
	ds_write_b64 v100, v[2:3]
.LBB117_102:                            ; =>This Inner Loop Header: Depth=1
	s_or_b32 exec_lo, exec_lo, s2
	s_cmp_eq_u32 s3, 0
	v_add_co_u32 v2, vcc_lo, v105, v147
	s_cselect_b32 s5, -1, 0
	s_cmp_lg_u32 s3, 0
	v_add_co_ci_u32_e64 v3, null, v106, v148, vcc_lo
	s_cselect_b32 s2, -1, 0
	s_waitcnt lgkmcnt(0)
	s_and_b32 vcc_lo, exec_lo, s2
	s_barrier
	buffer_gl0_inv
	s_cbranch_vccz .LBB117_110
; %bb.103:                              ;   in Loop: Header=BB117_102 Depth=1
	v_mov_b32_e32 v64, 0
	v_mov_b32_e32 v66, 0
	;; [unrolled: 1-line block ×4, first 2 shown]
	s_mov_b32 s10, exec_lo
	v_cmpx_gt_i32_e64 s3, v97
	s_cbranch_execz .LBB117_105
; %bb.104:                              ;   in Loop: Header=BB117_102 Depth=1
	global_load_dwordx2 v[66:67], v[2:3], off
.LBB117_105:                            ;   in Loop: Header=BB117_102 Depth=1
	s_or_b32 exec_lo, exec_lo, s10
	v_or_b32_e32 v4, 1, v97
	s_mov_b32 s10, exec_lo
	v_cmpx_gt_i32_e64 s3, v4
	s_cbranch_execz .LBB117_107
; %bb.106:                              ;   in Loop: Header=BB117_102 Depth=1
	v_add_co_u32 v4, vcc_lo, v109, v147
	v_add_co_ci_u32_e64 v5, null, v110, v148, vcc_lo
	global_load_dwordx2 v[64:65], v[4:5], off
.LBB117_107:                            ;   in Loop: Header=BB117_102 Depth=1
	s_or_b32 exec_lo, exec_lo, s10
	v_mov_b32_e32 v68, 0
	v_or_b32_e32 v4, 2, v97
	v_mov_b32_e32 v69, 0
	s_mov_b32 s10, exec_lo
	v_cmpx_gt_i32_e64 s3, v4
	s_cbranch_execz .LBB117_109
; %bb.108:                              ;   in Loop: Header=BB117_102 Depth=1
	v_add_co_u32 v4, vcc_lo, v111, v147
	v_add_co_ci_u32_e64 v5, null, v112, v148, vcc_lo
	global_load_dwordx2 v[68:69], v[4:5], off
.LBB117_109:                            ;   in Loop: Header=BB117_102 Depth=1
	s_or_b32 exec_lo, exec_lo, s10
	v_or_b32_e32 v4, 3, v97
	v_cmp_gt_i32_e64 s10, s3, v4
	s_branch .LBB117_112
.LBB117_110:                            ;   in Loop: Header=BB117_102 Depth=1
	s_mov_b32 s10, 0
                                        ; implicit-def: $vgpr68_vgpr69
                                        ; implicit-def: $vgpr64_vgpr65
                                        ; implicit-def: $vgpr66_vgpr67
	s_cbranch_execz .LBB117_112
; %bb.111:                              ;   in Loop: Header=BB117_102 Depth=1
	v_add_co_u32 v4, vcc_lo, v109, v147
	v_add_co_ci_u32_e64 v5, null, v110, v148, vcc_lo
	v_add_co_u32 v6, vcc_lo, v107, v147
	v_add_co_ci_u32_e64 v7, null, v108, v148, vcc_lo
	global_load_dwordx2 v[66:67], v[2:3], off
	global_load_dwordx2 v[64:65], v[4:5], off
	global_load_dwordx2 v[68:69], v[6:7], off
	s_or_b32 s10, s10, exec_lo
.LBB117_112:                            ;   in Loop: Header=BB117_102 Depth=1
	v_mov_b32_e32 v70, 0
	v_mov_b32_e32 v71, 0
	s_and_saveexec_b32 s11, s10
	s_cbranch_execz .LBB117_114
; %bb.113:                              ;   in Loop: Header=BB117_102 Depth=1
	v_add_co_u32 v2, vcc_lo, v113, v147
	v_add_co_ci_u32_e64 v3, null, v114, v148, vcc_lo
	global_load_dwordx2 v[70:71], v[2:3], off
.LBB117_114:                            ;   in Loop: Header=BB117_102 Depth=1
	s_or_b32 exec_lo, exec_lo, s11
	ds_read_b64 v[2:3], v102
	v_cndmask_b32_e64 v42, 0, 1, s2
	s_waitcnt vmcnt(0) lgkmcnt(0)
	v_mul_f32_e32 v4, v3, v67
	v_mul_f32_e32 v11, v3, v66
	;; [unrolled: 1-line block ×8, first 2 shown]
	v_fma_f32 v10, v2, v66, -v4
	v_fmac_f32_e32 v11, v2, v67
	v_fma_f32 v12, v2, v64, -v5
	v_fmac_f32_e32 v13, v2, v65
	;; [unrolled: 2-line block ×4, first 2 shown]
	ds_read_b128 v[6:9], v101
	ds_read_b128 v[2:5], v101 offset:16
	ds_write2_b64 v143, v[10:11], v[12:13] offset1:67
	ds_write2_b64 v143, v[14:15], v[16:17] offset0:134 offset1:201
	s_waitcnt lgkmcnt(0)
	s_barrier
	buffer_gl0_inv
	ds_read2_b64 v[18:21], v144 offset1:1
	ds_read2_b64 v[14:17], v144 offset0:2 offset1:3
	v_add_co_u32 v10, vcc_lo, v115, v147
	v_add_co_ci_u32_e64 v11, null, v116, v148, vcc_lo
	s_andn2_b32 vcc_lo, exec_lo, s2
	s_waitcnt lgkmcnt(0)
	s_barrier
	buffer_gl0_inv
	s_cbranch_vccnz .LBB117_122
; %bb.115:                              ;   in Loop: Header=BB117_102 Depth=1
	v_mov_b32_e32 v72, 0
	v_mov_b32_e32 v74, 0
	v_add_nc_u32_e32 v12, 16, v97
	v_mov_b32_e32 v73, 0
	v_mov_b32_e32 v75, 0
	s_mov_b32 s2, exec_lo
	v_cmpx_gt_i32_e64 s3, v12
	s_cbranch_execz .LBB117_117
; %bb.116:                              ;   in Loop: Header=BB117_102 Depth=1
	global_load_dwordx2 v[74:75], v[10:11], off
.LBB117_117:                            ;   in Loop: Header=BB117_102 Depth=1
	s_or_b32 exec_lo, exec_lo, s2
	v_add_nc_u32_e32 v12, 17, v97
	s_mov_b32 s2, exec_lo
	v_cmpx_gt_i32_e64 s3, v12
	s_cbranch_execz .LBB117_119
; %bb.118:                              ;   in Loop: Header=BB117_102 Depth=1
	v_add_co_u32 v12, vcc_lo, v117, v147
	v_add_co_ci_u32_e64 v13, null, v118, v148, vcc_lo
	global_load_dwordx2 v[72:73], v[12:13], off
.LBB117_119:                            ;   in Loop: Header=BB117_102 Depth=1
	s_or_b32 exec_lo, exec_lo, s2
	v_mov_b32_e32 v76, 0
	v_add_nc_u32_e32 v12, 18, v97
	v_mov_b32_e32 v77, 0
	s_mov_b32 s2, exec_lo
	v_cmpx_gt_i32_e64 s3, v12
	s_cbranch_execz .LBB117_121
; %bb.120:                              ;   in Loop: Header=BB117_102 Depth=1
	v_add_co_u32 v12, vcc_lo, v119, v147
	v_add_co_ci_u32_e64 v13, null, v120, v148, vcc_lo
	global_load_dwordx2 v[76:77], v[12:13], off
.LBB117_121:                            ;   in Loop: Header=BB117_102 Depth=1
	s_or_b32 exec_lo, exec_lo, s2
	v_add_nc_u32_e32 v12, 19, v97
	v_cmp_gt_i32_e64 s2, s3, v12
	s_branch .LBB117_124
.LBB117_122:                            ;   in Loop: Header=BB117_102 Depth=1
	s_mov_b32 s2, 0
                                        ; implicit-def: $vgpr76_vgpr77
                                        ; implicit-def: $vgpr72_vgpr73
                                        ; implicit-def: $vgpr74_vgpr75
	s_cbranch_execz .LBB117_124
; %bb.123:                              ;   in Loop: Header=BB117_102 Depth=1
	v_add_co_u32 v12, vcc_lo, v117, v147
	v_add_co_ci_u32_e64 v13, null, v118, v148, vcc_lo
	v_add_co_u32 v22, vcc_lo, v121, v147
	v_add_co_ci_u32_e64 v23, null, v122, v148, vcc_lo
	global_load_dwordx2 v[74:75], v[10:11], off
	global_load_dwordx2 v[72:73], v[12:13], off
	;; [unrolled: 1-line block ×3, first 2 shown]
	s_or_b32 s2, s2, exec_lo
.LBB117_124:                            ;   in Loop: Header=BB117_102 Depth=1
	v_mov_b32_e32 v78, 0
	v_mov_b32_e32 v79, 0
	s_and_saveexec_b32 s10, s2
	s_cbranch_execz .LBB117_126
; %bb.125:                              ;   in Loop: Header=BB117_102 Depth=1
	v_add_co_u32 v10, vcc_lo, v123, v147
	v_add_co_ci_u32_e64 v11, null, v124, v148, vcc_lo
	global_load_dwordx2 v[78:79], v[10:11], off
.LBB117_126:                            ;   in Loop: Header=BB117_102 Depth=1
	s_or_b32 exec_lo, exec_lo, s10
	ds_read_b64 v[10:11], v102
	v_cmp_ne_u32_e32 vcc_lo, 1, v42
	s_and_b32 vcc_lo, exec_lo, vcc_lo
	s_waitcnt vmcnt(0) lgkmcnt(0)
	v_mul_f32_e32 v12, v11, v75
	v_mul_f32_e32 v27, v11, v74
	;; [unrolled: 1-line block ×8, first 2 shown]
	v_fma_f32 v26, v10, v74, -v12
	v_fmac_f32_e32 v27, v10, v75
	v_fma_f32 v28, v10, v72, -v13
	v_fmac_f32_e32 v29, v10, v73
	;; [unrolled: 2-line block ×4, first 2 shown]
	ds_read_b128 v[22:25], v101 offset:128
	ds_read_b128 v[10:13], v101 offset:144
	ds_write2_b64 v143, v[26:27], v[28:29] offset1:67
	ds_write2_b64 v143, v[30:31], v[32:33] offset0:134 offset1:201
	s_waitcnt lgkmcnt(0)
	s_barrier
	buffer_gl0_inv
	ds_read2_b64 v[38:41], v144 offset1:1
	ds_read2_b64 v[34:37], v144 offset0:2 offset1:3
	v_add_co_u32 v26, s2, v125, v147
	v_add_co_ci_u32_e64 v27, null, v126, v148, s2
	s_waitcnt lgkmcnt(0)
	s_barrier
	buffer_gl0_inv
	s_cbranch_vccnz .LBB117_134
; %bb.127:                              ;   in Loop: Header=BB117_102 Depth=1
	v_mov_b32_e32 v80, 0
	v_mov_b32_e32 v82, 0
	v_add_nc_u32_e32 v28, 32, v97
	v_mov_b32_e32 v81, 0
	v_mov_b32_e32 v83, 0
	s_mov_b32 s2, exec_lo
	v_cmpx_gt_i32_e64 s3, v28
	s_cbranch_execz .LBB117_129
; %bb.128:                              ;   in Loop: Header=BB117_102 Depth=1
	global_load_dwordx2 v[82:83], v[26:27], off
.LBB117_129:                            ;   in Loop: Header=BB117_102 Depth=1
	s_or_b32 exec_lo, exec_lo, s2
	v_add_nc_u32_e32 v28, 33, v97
	s_mov_b32 s2, exec_lo
	v_cmpx_gt_i32_e64 s3, v28
	s_cbranch_execz .LBB117_131
; %bb.130:                              ;   in Loop: Header=BB117_102 Depth=1
	v_add_co_u32 v28, vcc_lo, v127, v147
	v_add_co_ci_u32_e64 v29, null, v128, v148, vcc_lo
	global_load_dwordx2 v[80:81], v[28:29], off
.LBB117_131:                            ;   in Loop: Header=BB117_102 Depth=1
	s_or_b32 exec_lo, exec_lo, s2
	v_mov_b32_e32 v84, 0
	v_add_nc_u32_e32 v28, 34, v97
	v_mov_b32_e32 v85, 0
	s_mov_b32 s2, exec_lo
	v_cmpx_gt_i32_e64 s3, v28
	s_cbranch_execz .LBB117_133
; %bb.132:                              ;   in Loop: Header=BB117_102 Depth=1
	v_add_co_u32 v28, vcc_lo, v129, v147
	v_add_co_ci_u32_e64 v29, null, v130, v148, vcc_lo
	global_load_dwordx2 v[84:85], v[28:29], off
.LBB117_133:                            ;   in Loop: Header=BB117_102 Depth=1
	s_or_b32 exec_lo, exec_lo, s2
	v_add_nc_u32_e32 v28, 35, v97
	v_cmp_gt_i32_e64 s2, s3, v28
	s_branch .LBB117_136
.LBB117_134:                            ;   in Loop: Header=BB117_102 Depth=1
	s_mov_b32 s2, 0
                                        ; implicit-def: $vgpr84_vgpr85
                                        ; implicit-def: $vgpr80_vgpr81
                                        ; implicit-def: $vgpr82_vgpr83
	s_cbranch_execz .LBB117_136
; %bb.135:                              ;   in Loop: Header=BB117_102 Depth=1
	v_add_co_u32 v28, vcc_lo, v127, v147
	v_add_co_ci_u32_e64 v29, null, v128, v148, vcc_lo
	v_add_co_u32 v30, vcc_lo, v131, v147
	v_add_co_ci_u32_e64 v31, null, v132, v148, vcc_lo
	global_load_dwordx2 v[82:83], v[26:27], off
	global_load_dwordx2 v[80:81], v[28:29], off
	global_load_dwordx2 v[84:85], v[30:31], off
	s_or_b32 s2, s2, exec_lo
.LBB117_136:                            ;   in Loop: Header=BB117_102 Depth=1
	v_mov_b32_e32 v86, 0
	v_mov_b32_e32 v87, 0
	s_and_saveexec_b32 s10, s2
	s_cbranch_execz .LBB117_138
; %bb.137:                              ;   in Loop: Header=BB117_102 Depth=1
	v_add_co_u32 v26, vcc_lo, v133, v147
	v_add_co_ci_u32_e64 v27, null, v134, v148, vcc_lo
	global_load_dwordx2 v[86:87], v[26:27], off
.LBB117_138:                            ;   in Loop: Header=BB117_102 Depth=1
	s_or_b32 exec_lo, exec_lo, s10
	ds_read_b64 v[26:27], v102
	v_cmp_ne_u32_e32 vcc_lo, 1, v42
	v_add_co_u32 v42, s2, v103, v147
	s_and_b32 vcc_lo, exec_lo, vcc_lo
	s_waitcnt vmcnt(0) lgkmcnt(0)
	v_mul_f32_e32 v28, v27, v83
	v_mul_f32_e32 v44, v27, v82
	;; [unrolled: 1-line block ×8, first 2 shown]
	v_fma_f32 v43, v26, v82, -v28
	v_fmac_f32_e32 v44, v26, v83
	v_fma_f32 v45, v26, v80, -v29
	v_fmac_f32_e32 v46, v26, v81
	;; [unrolled: 2-line block ×4, first 2 shown]
	ds_read_b128 v[30:33], v101 offset:256
	ds_read_b128 v[26:29], v101 offset:272
	ds_write2_b64 v143, v[43:44], v[45:46] offset1:67
	ds_write2_b64 v143, v[47:48], v[49:50] offset0:134 offset1:201
	s_waitcnt lgkmcnt(0)
	s_barrier
	buffer_gl0_inv
	ds_read2_b64 v[54:57], v144 offset1:1
	ds_read2_b64 v[50:53], v144 offset0:2 offset1:3
	v_add_co_ci_u32_e64 v43, null, v104, v148, s2
	s_waitcnt lgkmcnt(0)
	s_barrier
	buffer_gl0_inv
	s_cbranch_vccnz .LBB117_146
; %bb.139:                              ;   in Loop: Header=BB117_102 Depth=1
	v_mov_b32_e32 v88, 0
	v_mov_b32_e32 v90, 0
	v_add_nc_u32_e32 v44, 48, v97
	v_mov_b32_e32 v89, 0
	v_mov_b32_e32 v91, 0
	s_mov_b32 s2, exec_lo
	v_cmpx_gt_i32_e64 s3, v44
	s_cbranch_execz .LBB117_141
; %bb.140:                              ;   in Loop: Header=BB117_102 Depth=1
	global_load_dwordx2 v[90:91], v[42:43], off
.LBB117_141:                            ;   in Loop: Header=BB117_102 Depth=1
	s_or_b32 exec_lo, exec_lo, s2
	s_mov_b32 s2, exec_lo
	v_cmpx_gt_i32_e64 s3, v150
	s_cbranch_execz .LBB117_143
; %bb.142:                              ;   in Loop: Header=BB117_102 Depth=1
	v_add_co_u32 v44, vcc_lo, v135, v147
	v_add_co_ci_u32_e64 v45, null, v136, v148, vcc_lo
	global_load_dwordx2 v[88:89], v[44:45], off
.LBB117_143:                            ;   in Loop: Header=BB117_102 Depth=1
	s_or_b32 exec_lo, exec_lo, s2
	v_mov_b32_e32 v92, 0
	v_mov_b32_e32 v93, 0
	s_mov_b32 s2, exec_lo
	v_cmpx_gt_i32_e64 s3, v151
	s_cbranch_execz .LBB117_145
; %bb.144:                              ;   in Loop: Header=BB117_102 Depth=1
	v_add_co_u32 v44, vcc_lo, v137, v147
	v_add_co_ci_u32_e64 v45, null, v138, v148, vcc_lo
	global_load_dwordx2 v[92:93], v[44:45], off
.LBB117_145:                            ;   in Loop: Header=BB117_102 Depth=1
	s_or_b32 exec_lo, exec_lo, s2
	v_cmp_gt_i32_e64 s2, s3, v152
	s_branch .LBB117_148
.LBB117_146:                            ;   in Loop: Header=BB117_102 Depth=1
	s_mov_b32 s2, 0
                                        ; implicit-def: $vgpr92_vgpr93
                                        ; implicit-def: $vgpr88_vgpr89
                                        ; implicit-def: $vgpr90_vgpr91
	s_cbranch_execz .LBB117_148
; %bb.147:                              ;   in Loop: Header=BB117_102 Depth=1
	v_add_co_u32 v44, vcc_lo, v135, v147
	v_add_co_ci_u32_e64 v45, null, v136, v148, vcc_lo
	v_add_co_u32 v46, vcc_lo, v139, v147
	v_add_co_ci_u32_e64 v47, null, v140, v148, vcc_lo
	global_load_dwordx2 v[90:91], v[42:43], off
	global_load_dwordx2 v[88:89], v[44:45], off
	;; [unrolled: 1-line block ×3, first 2 shown]
	s_or_b32 s2, s2, exec_lo
.LBB117_148:                            ;   in Loop: Header=BB117_102 Depth=1
	v_mov_b32_e32 v94, 0
	v_mov_b32_e32 v95, 0
	s_and_saveexec_b32 s10, s2
	s_cbranch_execz .LBB117_150
; %bb.149:                              ;   in Loop: Header=BB117_102 Depth=1
	v_add_co_u32 v42, vcc_lo, v141, v147
	v_add_co_ci_u32_e64 v43, null, v142, v148, vcc_lo
	global_load_dwordx2 v[94:95], v[42:43], off
.LBB117_150:                            ;   in Loop: Header=BB117_102 Depth=1
	s_or_b32 exec_lo, exec_lo, s10
	ds_read_b64 v[42:43], v102
	v_add_f32_e32 v54, 0, v54
	v_add_f32_e32 v55, 0, v55
	;; [unrolled: 1-line block ×10, first 2 shown]
	v_cmp_gt_i32_e32 vcc_lo, s3, v0
	v_add_f32_e32 v18, v18, v20
	v_add_f32_e32 v34, v38, v34
	;; [unrolled: 1-line block ×8, first 2 shown]
	s_waitcnt vmcnt(0) lgkmcnt(0)
	v_mul_f32_e32 v44, v43, v91
	v_mul_f32_e32 v154, v43, v90
	;; [unrolled: 1-line block ×8, first 2 shown]
	v_fma_f32 v153, v42, v90, -v44
	v_fmac_f32_e32 v154, v42, v91
	v_fma_f32 v155, v42, v88, -v45
	v_fmac_f32_e32 v156, v42, v89
	;; [unrolled: 2-line block ×4, first 2 shown]
	ds_read_b128 v[46:49], v101 offset:384
	ds_read_b128 v[42:45], v101 offset:400
	ds_write2_b64 v143, v[153:154], v[155:156] offset1:67
	ds_write2_b64 v143, v[157:158], v[159:160] offset0:134 offset1:201
	s_waitcnt lgkmcnt(0)
	s_barrier
	buffer_gl0_inv
	ds_read2_b64 v[153:156], v144 offset1:1
	v_add_f32_e32 v157, v55, v57
	ds_read2_b64 v[54:57], v144 offset0:2 offset1:3
	v_add_f32_e32 v16, v39, v16
	v_add_f32_e32 v17, v41, v17
	s_or_b32 s2, s5, vcc_lo
	v_add_f32_e32 v21, v157, v51
	s_and_b32 s3, s1, s2
	s_waitcnt lgkmcnt(0)
	s_barrier
	buffer_gl0_inv
	v_add_f32_e32 v15, v21, v53
	v_add_f32_e32 v38, 0, v153
	;; [unrolled: 1-line block ×10, first 2 shown]
	ds_write2_b64 v149, v[16:17], v[18:19] offset1:16
	ds_write2_b64 v149, v[14:15], v[20:21] offset0:32 offset1:48
	s_waitcnt lgkmcnt(0)
	s_barrier
	buffer_gl0_inv
	s_and_saveexec_b32 s2, s3
	s_cbranch_execz .LBB117_152
; %bb.151:                              ;   in Loop: Header=BB117_102 Depth=1
	ds_read_b64 v[38:39], v145
	ds_read2_b64 v[14:17], v145 offset0:1 offset1:2
	ds_read2_b64 v[18:21], v145 offset0:3 offset1:4
	ds_read2_b64 v[34:37], v145 offset0:5 offset1:6
	v_ashrrev_i32_e32 v62, 31, v61
	s_waitcnt lgkmcnt(2)
	v_add_f32_e32 v14, v14, v38
	v_add_f32_e32 v15, v15, v39
	v_add_f32_e32 v38, v16, v14
	v_add_f32_e32 v39, v17, v15
	ds_read2_b64 v[14:17], v145 offset0:7 offset1:8
	s_waitcnt lgkmcnt(2)
	v_add_f32_e32 v18, v38, v18
	v_add_f32_e32 v19, v39, v19
	v_add_f32_e32 v38, v18, v20
	v_add_f32_e32 v39, v19, v21
	ds_read2_b64 v[18:21], v145 offset0:9 offset1:10
	;; [unrolled: 6-line block ×4, first 2 shown]
	s_waitcnt lgkmcnt(2)
	v_add_f32_e32 v18, v38, v18
	v_add_f32_e32 v19, v39, v19
	;; [unrolled: 1-line block ×4, first 2 shown]
	ds_read_b64 v[18:19], v146
	s_waitcnt lgkmcnt(2)
	v_add_f32_e32 v20, v20, v34
	v_add_f32_e32 v21, v21, v35
	;; [unrolled: 1-line block ×4, first 2 shown]
	s_waitcnt lgkmcnt(1)
	v_add_f32_e32 v14, v20, v14
	v_add_f32_e32 v15, v21, v15
	;; [unrolled: 1-line block ×4, first 2 shown]
	v_lshlrev_b64 v[14:15], 3, v[61:62]
	s_waitcnt lgkmcnt(0)
	v_add_f32_e32 v16, v16, v18
	v_add_f32_e32 v17, v17, v19
	v_add_co_u32 v14, vcc_lo, s7, v14
	v_add_co_ci_u32_e64 v15, null, s13, v15, vcc_lo
	global_store_dwordx2 v[14:15], v[16:17], off
.LBB117_152:                            ;   in Loop: Header=BB117_102 Depth=1
	s_or_b32 exec_lo, exec_lo, s2
	v_mul_f32_e32 v14, v7, v67
	v_mul_f32_e32 v7, v7, v66
	;; [unrolled: 1-line block ×5, first 2 shown]
	v_fma_f32 v14, v6, v66, -v14
	v_fmac_f32_e32 v7, v6, v67
	v_fma_f32 v15, v8, v64, -v15
	v_mul_f32_e32 v3, v3, v68
	v_mul_f32_e32 v17, v5, v71
	v_add_f32_e32 v14, v59, v14
	v_fma_f32 v6, v2, v68, -v16
	v_fmac_f32_e32 v9, v8, v65
	v_add_f32_e32 v7, v60, v7
	v_mul_f32_e32 v5, v5, v70
	v_add_f32_e32 v14, v14, v15
	v_mul_f32_e32 v18, v23, v75
	v_fma_f32 v8, v4, v70, -v17
	v_fmac_f32_e32 v3, v2, v69
	v_add_f32_e32 v2, v7, v9
	v_add_f32_e32 v6, v14, v6
	v_mul_f32_e32 v19, v23, v74
	v_mul_f32_e32 v15, v25, v73
	v_fma_f32 v7, v22, v74, -v18
	v_fmac_f32_e32 v5, v4, v71
	v_add_f32_e32 v6, v6, v8
	v_add_f32_e32 v2, v2, v3
	v_mul_f32_e32 v14, v25, v72
	v_mul_f32_e32 v8, v11, v77
	v_fma_f32 v3, v24, v72, -v15
	v_add_f32_e32 v4, v6, v7
	v_fmac_f32_e32 v19, v22, v75
	v_add_f32_e32 v2, v2, v5
	v_mul_f32_e32 v6, v13, v79
	v_fma_f32 v5, v10, v76, -v8
	v_add_f32_e32 v3, v4, v3
	v_mul_f32_e32 v4, v11, v76
	v_fmac_f32_e32 v14, v24, v73
	v_add_f32_e32 v2, v2, v19
	v_fma_f32 v6, v12, v78, -v6
	v_add_f32_e32 v3, v3, v5
	v_mul_f32_e32 v5, v31, v83
	v_fmac_f32_e32 v4, v10, v77
	v_add_f32_e32 v2, v2, v14
	v_mul_f32_e32 v7, v13, v78
	v_add_f32_e32 v3, v3, v6
	v_fma_f32 v5, v30, v82, -v5
	v_mul_f32_e32 v6, v33, v81
	v_add_f32_e32 v2, v2, v4
	v_fmac_f32_e32 v7, v12, v79
	v_mul_f32_e32 v4, v31, v82
	v_add_f32_e32 v3, v3, v5
	v_fma_f32 v5, v32, v80, -v6
	v_mul_f32_e32 v6, v27, v85
	v_add_f32_e32 v2, v2, v7
	v_fmac_f32_e32 v4, v30, v83
	v_mul_f32_e32 v7, v33, v80
	v_add_co_u32 v105, vcc_lo, v105, s8
	v_add_co_ci_u32_e64 v106, null, s9, v106, vcc_lo
	v_add_co_u32 v107, vcc_lo, v107, s8
	v_add_co_ci_u32_e64 v108, null, s9, v108, vcc_lo
	v_add_co_u32 v109, vcc_lo, v109, s8
	v_add_f32_e32 v3, v3, v5
	v_fma_f32 v5, v26, v84, -v6
	v_mul_f32_e32 v6, v29, v87
	v_add_f32_e32 v2, v2, v4
	v_fmac_f32_e32 v7, v32, v81
	v_mul_f32_e32 v4, v27, v84
	v_add_co_ci_u32_e64 v110, null, s9, v110, vcc_lo
	v_add_co_u32 v111, vcc_lo, v111, s8
	v_add_co_ci_u32_e64 v112, null, s9, v112, vcc_lo
	v_add_co_u32 v113, vcc_lo, v113, s8
	v_add_f32_e32 v3, v3, v5
	v_fma_f32 v5, v28, v86, -v6
	v_add_f32_e32 v2, v2, v7
	v_fmac_f32_e32 v4, v26, v85
	v_mul_f32_e32 v6, v47, v91
	v_mul_f32_e32 v7, v29, v86
	v_add_co_ci_u32_e64 v114, null, s9, v114, vcc_lo
	v_add_co_u32 v115, vcc_lo, v115, s8
	v_add_co_ci_u32_e64 v116, null, s9, v116, vcc_lo
	v_add_co_u32 v117, vcc_lo, v117, s8
	;; [unrolled: 2-line block ×3, first 2 shown]
	v_add_f32_e32 v3, v3, v5
	v_add_f32_e32 v2, v2, v4
	v_fma_f32 v4, v46, v90, -v6
	v_mul_f32_e32 v5, v49, v89
	v_fmac_f32_e32 v7, v28, v87
	v_mul_f32_e32 v6, v47, v90
	v_add_co_ci_u32_e64 v120, null, s9, v120, vcc_lo
	v_add_co_u32 v121, vcc_lo, v121, s8
	v_add_co_ci_u32_e64 v122, null, s9, v122, vcc_lo
	v_add_co_u32 v123, vcc_lo, v123, s8
	v_add_f32_e32 v3, v3, v4
	v_fma_f32 v4, v48, v88, -v5
	v_add_f32_e32 v2, v2, v7
	v_mul_f32_e32 v5, v49, v88
	v_fmac_f32_e32 v6, v46, v91
	v_add_co_ci_u32_e64 v124, null, s9, v124, vcc_lo
	v_add_co_u32 v125, vcc_lo, v125, s8
	v_add_co_ci_u32_e64 v126, null, s9, v126, vcc_lo
	v_add_co_u32 v127, vcc_lo, v127, s8
	;; [unrolled: 2-line block ×3, first 2 shown]
	v_mul_f32_e32 v7, v43, v93
	v_add_f32_e32 v3, v3, v4
	v_mul_f32_e32 v4, v43, v92
	v_fmac_f32_e32 v5, v48, v89
	v_add_f32_e32 v2, v2, v6
	v_add_co_ci_u32_e64 v130, null, s9, v130, vcc_lo
	v_add_co_u32 v131, vcc_lo, v131, s8
	v_add_co_ci_u32_e64 v132, null, s9, v132, vcc_lo
	v_add_co_u32 v133, vcc_lo, v133, s8
	v_fma_f32 v6, v42, v92, -v7
	v_mul_f32_e32 v7, v45, v95
	v_mul_f32_e32 v8, v45, v94
	v_fmac_f32_e32 v4, v42, v93
	v_add_f32_e32 v2, v2, v5
	v_add_co_ci_u32_e64 v134, null, s9, v134, vcc_lo
	v_add_co_u32 v103, vcc_lo, v103, s8
	v_add_co_ci_u32_e64 v104, null, s9, v104, vcc_lo
	v_add_co_u32 v135, vcc_lo, v135, s8
	;; [unrolled: 2-line block ×3, first 2 shown]
	v_add_f32_e32 v3, v3, v6
	v_fma_f32 v5, v44, v94, -v7
	v_fmac_f32_e32 v8, v44, v95
	v_add_f32_e32 v2, v2, v4
	v_add_co_ci_u32_e64 v138, null, s9, v138, vcc_lo
	v_add_co_u32 v139, vcc_lo, v139, s8
	v_add_co_ci_u32_e64 v140, null, s9, v140, vcc_lo
	v_add_co_u32 v141, vcc_lo, v141, s8
	v_add_f32_e32 v59, v3, v5
	v_add_f32_e32 v60, v2, v8
	v_add_nc_u32_e32 v61, 64, v61
	v_add_co_ci_u32_e64 v142, null, s9, v142, vcc_lo
	s_add_i32 s3, s6, 2
	s_add_i32 s2, s6, 1
	;; [unrolled: 1-line block ×3, first 2 shown]
	s_cmp_ge_u32 s3, s26
	s_waitcnt_vscnt null, 0x0
	s_barrier
	buffer_gl0_inv
	s_cbranch_scc1 .LBB117_154
; %bb.153:                              ;   in Loop: Header=BB117_102 Depth=1
	s_mov_b32 s6, s2
	s_cmp_eq_u32 s29, s6
	s_cselect_b32 s3, s27, 0
	s_and_saveexec_b32 s2, s0
	s_cbranch_execnz .LBB117_98
	s_branch .LBB117_102
.LBB117_154:
	v_cmp_gt_i32_e32 vcc_lo, s12, v0
	v_mad_u32_u24 v1, 0x218, v1, v96
	s_or_b32 s1, s28, vcc_lo
	ds_write_b64 v1, v[59:60]
	s_and_b32 s0, s0, s1
	s_waitcnt lgkmcnt(0)
	s_barrier
	buffer_gl0_inv
	s_and_saveexec_b32 s1, s0
	s_cbranch_execz .LBB117_156
; %bb.155:
	ds_read2_b64 v[0:3], v96 offset1:67
	ds_read2_b64 v[4:7], v96 offset0:134 offset1:201
	v_ashrrev_i32_e32 v59, 31, v58
	s_waitcnt lgkmcnt(1)
	v_add_f32_e32 v0, v2, v0
	v_add_f32_e32 v1, v3, v1
	s_waitcnt lgkmcnt(0)
	v_add_f32_e32 v2, v4, v0
	v_add_f32_e32 v3, v5, v1
	v_lshlrev_b64 v[0:1], 3, v[58:59]
	v_add_f32_e32 v2, v2, v6
	v_add_f32_e32 v3, v3, v7
	v_add_co_u32 v0, vcc_lo, s7, v0
	v_add_co_ci_u32_e64 v1, null, s13, v1, vcc_lo
	global_store_dwordx2 v[0:1], v[2:3], off
.LBB117_156:
	s_endpgm
	.section	.rodata,"a",@progbits
	.p2align	6, 0x0
	.amdhsa_kernel _ZL26rocblas_hemvn_kernel_upperILb0ELi64ELi4ELi33ELi32ELi16Ei19rocblas_complex_numIfEPKS1_PS1_EviT6_lT7_lT5_lS6_lS7_lS5_lT8_i
		.amdhsa_group_segment_fixed_size 9600
		.amdhsa_private_segment_fixed_size 0
		.amdhsa_kernarg_size 376
		.amdhsa_user_sgpr_count 6
		.amdhsa_user_sgpr_private_segment_buffer 1
		.amdhsa_user_sgpr_dispatch_ptr 0
		.amdhsa_user_sgpr_queue_ptr 0
		.amdhsa_user_sgpr_kernarg_segment_ptr 1
		.amdhsa_user_sgpr_dispatch_id 0
		.amdhsa_user_sgpr_flat_scratch_init 0
		.amdhsa_user_sgpr_private_segment_size 0
		.amdhsa_wavefront_size32 1
		.amdhsa_uses_dynamic_stack 0
		.amdhsa_system_sgpr_private_segment_wavefront_offset 0
		.amdhsa_system_sgpr_workgroup_id_x 1
		.amdhsa_system_sgpr_workgroup_id_y 0
		.amdhsa_system_sgpr_workgroup_id_z 1
		.amdhsa_system_sgpr_workgroup_info 0
		.amdhsa_system_vgpr_workitem_id 1
		.amdhsa_next_free_vgpr 161
		.amdhsa_next_free_sgpr 38
		.amdhsa_reserve_vcc 1
		.amdhsa_reserve_flat_scratch 0
		.amdhsa_float_round_mode_32 0
		.amdhsa_float_round_mode_16_64 0
		.amdhsa_float_denorm_mode_32 3
		.amdhsa_float_denorm_mode_16_64 3
		.amdhsa_dx10_clamp 1
		.amdhsa_ieee_mode 1
		.amdhsa_fp16_overflow 0
		.amdhsa_workgroup_processor_mode 1
		.amdhsa_memory_ordered 1
		.amdhsa_forward_progress 1
		.amdhsa_shared_vgpr_count 0
		.amdhsa_exception_fp_ieee_invalid_op 0
		.amdhsa_exception_fp_denorm_src 0
		.amdhsa_exception_fp_ieee_div_zero 0
		.amdhsa_exception_fp_ieee_overflow 0
		.amdhsa_exception_fp_ieee_underflow 0
		.amdhsa_exception_fp_ieee_inexact 0
		.amdhsa_exception_int_div_zero 0
	.end_amdhsa_kernel
	.section	.text._ZL26rocblas_hemvn_kernel_upperILb0ELi64ELi4ELi33ELi32ELi16Ei19rocblas_complex_numIfEPKS1_PS1_EviT6_lT7_lT5_lS6_lS7_lS5_lT8_i,"axG",@progbits,_ZL26rocblas_hemvn_kernel_upperILb0ELi64ELi4ELi33ELi32ELi16Ei19rocblas_complex_numIfEPKS1_PS1_EviT6_lT7_lT5_lS6_lS7_lS5_lT8_i,comdat
.Lfunc_end117:
	.size	_ZL26rocblas_hemvn_kernel_upperILb0ELi64ELi4ELi33ELi32ELi16Ei19rocblas_complex_numIfEPKS1_PS1_EviT6_lT7_lT5_lS6_lS7_lS5_lT8_i, .Lfunc_end117-_ZL26rocblas_hemvn_kernel_upperILb0ELi64ELi4ELi33ELi32ELi16Ei19rocblas_complex_numIfEPKS1_PS1_EviT6_lT7_lT5_lS6_lS7_lS5_lT8_i
                                        ; -- End function
	.set _ZL26rocblas_hemvn_kernel_upperILb0ELi64ELi4ELi33ELi32ELi16Ei19rocblas_complex_numIfEPKS1_PS1_EviT6_lT7_lT5_lS6_lS7_lS5_lT8_i.num_vgpr, 161
	.set _ZL26rocblas_hemvn_kernel_upperILb0ELi64ELi4ELi33ELi32ELi16Ei19rocblas_complex_numIfEPKS1_PS1_EviT6_lT7_lT5_lS6_lS7_lS5_lT8_i.num_agpr, 0
	.set _ZL26rocblas_hemvn_kernel_upperILb0ELi64ELi4ELi33ELi32ELi16Ei19rocblas_complex_numIfEPKS1_PS1_EviT6_lT7_lT5_lS6_lS7_lS5_lT8_i.numbered_sgpr, 38
	.set _ZL26rocblas_hemvn_kernel_upperILb0ELi64ELi4ELi33ELi32ELi16Ei19rocblas_complex_numIfEPKS1_PS1_EviT6_lT7_lT5_lS6_lS7_lS5_lT8_i.num_named_barrier, 0
	.set _ZL26rocblas_hemvn_kernel_upperILb0ELi64ELi4ELi33ELi32ELi16Ei19rocblas_complex_numIfEPKS1_PS1_EviT6_lT7_lT5_lS6_lS7_lS5_lT8_i.private_seg_size, 0
	.set _ZL26rocblas_hemvn_kernel_upperILb0ELi64ELi4ELi33ELi32ELi16Ei19rocblas_complex_numIfEPKS1_PS1_EviT6_lT7_lT5_lS6_lS7_lS5_lT8_i.uses_vcc, 1
	.set _ZL26rocblas_hemvn_kernel_upperILb0ELi64ELi4ELi33ELi32ELi16Ei19rocblas_complex_numIfEPKS1_PS1_EviT6_lT7_lT5_lS6_lS7_lS5_lT8_i.uses_flat_scratch, 0
	.set _ZL26rocblas_hemvn_kernel_upperILb0ELi64ELi4ELi33ELi32ELi16Ei19rocblas_complex_numIfEPKS1_PS1_EviT6_lT7_lT5_lS6_lS7_lS5_lT8_i.has_dyn_sized_stack, 0
	.set _ZL26rocblas_hemvn_kernel_upperILb0ELi64ELi4ELi33ELi32ELi16Ei19rocblas_complex_numIfEPKS1_PS1_EviT6_lT7_lT5_lS6_lS7_lS5_lT8_i.has_recursion, 0
	.set _ZL26rocblas_hemvn_kernel_upperILb0ELi64ELi4ELi33ELi32ELi16Ei19rocblas_complex_numIfEPKS1_PS1_EviT6_lT7_lT5_lS6_lS7_lS5_lT8_i.has_indirect_call, 0
	.section	.AMDGPU.csdata,"",@progbits
; Kernel info:
; codeLenInByte = 9320
; TotalNumSgprs: 40
; NumVgprs: 161
; ScratchSize: 0
; MemoryBound: 1
; FloatMode: 240
; IeeeMode: 1
; LDSByteSize: 9600 bytes/workgroup (compile time only)
; SGPRBlocks: 0
; VGPRBlocks: 20
; NumSGPRsForWavesPerEU: 40
; NumVGPRsForWavesPerEU: 161
; Occupancy: 5
; WaveLimiterHint : 1
; COMPUTE_PGM_RSRC2:SCRATCH_EN: 0
; COMPUTE_PGM_RSRC2:USER_SGPR: 6
; COMPUTE_PGM_RSRC2:TRAP_HANDLER: 0
; COMPUTE_PGM_RSRC2:TGID_X_EN: 1
; COMPUTE_PGM_RSRC2:TGID_Y_EN: 0
; COMPUTE_PGM_RSRC2:TGID_Z_EN: 1
; COMPUTE_PGM_RSRC2:TIDIG_COMP_CNT: 1
	.section	.text._ZL26rocblas_hemvn_kernel_lowerILb0ELi64ELi4ELi33ELi32ELi16ElPK19rocblas_complex_numIfES3_PS1_EviT6_lT7_lT5_lS6_lS7_lS5_lT8_i,"axG",@progbits,_ZL26rocblas_hemvn_kernel_lowerILb0ELi64ELi4ELi33ELi32ELi16ElPK19rocblas_complex_numIfES3_PS1_EviT6_lT7_lT5_lS6_lS7_lS5_lT8_i,comdat
	.globl	_ZL26rocblas_hemvn_kernel_lowerILb0ELi64ELi4ELi33ELi32ELi16ElPK19rocblas_complex_numIfES3_PS1_EviT6_lT7_lT5_lS6_lS7_lS5_lT8_i ; -- Begin function _ZL26rocblas_hemvn_kernel_lowerILb0ELi64ELi4ELi33ELi32ELi16ElPK19rocblas_complex_numIfES3_PS1_EviT6_lT7_lT5_lS6_lS7_lS5_lT8_i
	.p2align	8
	.type	_ZL26rocblas_hemvn_kernel_lowerILb0ELi64ELi4ELi33ELi32ELi16ElPK19rocblas_complex_numIfES3_PS1_EviT6_lT7_lT5_lS6_lS7_lS5_lT8_i,@function
_ZL26rocblas_hemvn_kernel_lowerILb0ELi64ELi4ELi33ELi32ELi16ElPK19rocblas_complex_numIfES3_PS1_EviT6_lT7_lT5_lS6_lS7_lS5_lT8_i: ; @_ZL26rocblas_hemvn_kernel_lowerILb0ELi64ELi4ELi33ELi32ELi16ElPK19rocblas_complex_numIfES3_PS1_EviT6_lT7_lT5_lS6_lS7_lS5_lT8_i
; %bb.0:
	s_load_dwordx2 s[2:3], s[4:5], 0x84
	s_add_u32 s0, s4, 0x78
	s_addc_u32 s1, s5, 0
	s_waitcnt lgkmcnt(0)
	s_lshr_b32 s8, s2, 16
	s_and_b32 s2, s2, 0xffff
	s_and_b32 s3, s3, 0xffff
	s_mul_i32 s2, s8, s2
	s_mul_i32 s2, s2, s3
	s_cmpk_lg_i32 s2, 0x100
	s_cbranch_scc1 .LBB118_105
; %bb.1:
	s_load_dwordx16 s[8:23], s[4:5], 0x8
	s_waitcnt lgkmcnt(0)
	s_mul_i32 s2, s11, s7
	s_mul_hi_u32 s3, s10, s7
	s_add_i32 s3, s3, s2
	s_mul_i32 s2, s10, s7
	s_lshl_b64 s[2:3], s[2:3], 3
	s_add_u32 s2, s8, s2
	s_addc_u32 s3, s9, s3
	s_load_dwordx2 s[2:3], s[2:3], 0x0
	s_clause 0x1
	s_load_dwordx2 s[34:35], s[4:5], 0x68
	s_load_dwordx8 s[24:31], s[4:5], 0x48
	s_waitcnt lgkmcnt(0)
	s_or_b32 s2, s2, s3
	s_mov_b32 s3, -1
	s_bitset0_b32 s2, 31
	s_cmp_lg_u32 s2, 0
	s_cselect_b32 s2, -1, 0
	s_and_b32 vcc_lo, exec_lo, s2
	s_cbranch_vccnz .LBB118_3
; %bb.2:
	s_mul_i32 s3, s31, s7
	s_mul_hi_u32 s9, s30, s7
	s_mul_i32 s8, s30, s7
	s_add_i32 s9, s9, s3
	s_lshl_b64 s[8:9], s[8:9], 3
	s_add_u32 s8, s28, s8
	s_addc_u32 s9, s29, s9
	s_load_dwordx2 s[8:9], s[8:9], 0x0
	s_waitcnt lgkmcnt(0)
	v_cmp_neq_f32_e64 s3, s8, 1.0
	v_cmp_neq_f32_e64 s8, s9, 0
	s_or_b32 s3, s3, s8
.LBB118_3:
	s_andn2_b32 vcc_lo, exec_lo, s3
	s_cbranch_vccnz .LBB118_105
; %bb.4:
	s_andn2_b32 vcc_lo, exec_lo, s2
	s_cbranch_vccnz .LBB118_105
; %bb.5:
	s_mul_i32 s3, s27, s7
	s_mul_hi_u32 s8, s26, s7
	s_mul_i32 s2, s26, s7
	s_add_i32 s3, s8, s3
	s_load_dword s26, s[4:5], 0x0
	s_lshl_b64 s[2:3], s[2:3], 3
	s_load_dword s27, s[0:1], 0x0
	s_add_u32 s8, s20, s2
	s_addc_u32 s9, s21, s3
	s_lshl_b64 s[2:3], s[22:23], 3
	s_add_u32 s2, s8, s2
	s_addc_u32 s3, s9, s3
	s_lshl_b32 s20, s6, 6
	v_add_nc_u32_e32 v34, s20, v0
	v_ashrrev_i32_e32 v35, 31, v34
	v_mul_lo_u32 v4, s25, v34
	v_mad_u64_u32 v[2:3], null, s24, v34, 0
	s_waitcnt lgkmcnt(0)
	s_ashr_i32 s28, s26, 31
	v_mul_lo_u32 v5, s24, v35
	s_lshr_b32 s0, s28, 26
	s_add_i32 s4, s27, -1
	s_add_i32 s1, s26, s0
	v_cmp_ne_u32_e64 s0, 0, v1
	s_andn2_b32 s1, s1, 63
	s_sub_i32 s5, s26, s1
	v_add3_u32 v3, v3, v5, v4
	v_cmp_eq_u32_e64 s1, 0, v1
	s_cmp_eq_u32 s6, s4
	s_cselect_b32 s22, s5, 0
	v_lshlrev_b64 v[2:3], 3, v[2:3]
	v_add_co_u32 v18, vcc_lo, s2, v2
	v_add_co_ci_u32_e64 v19, null, s3, v3, vcc_lo
	s_mov_b32 s2, -1
	s_and_saveexec_b32 s3, s1
	s_cbranch_execz .LBB118_10
; %bb.6:
	v_cmp_le_i32_e32 vcc_lo, s22, v0
	s_cmp_lg_u32 s22, 0
	v_lshl_add_u32 v2, v0, 3, 0x2380
	s_cselect_b32 s4, -1, 0
	s_and_b32 s4, s4, vcc_lo
	s_and_saveexec_b32 s5, s4
	s_xor_b32 s4, exec_lo, s5
; %bb.7:
	v_mov_b32_e32 v3, 0
	v_mov_b32_e32 v4, v3
	ds_write_b64 v2, v[3:4]
                                        ; implicit-def: $vgpr2
; %bb.8:
	s_andn2_saveexec_b32 s4, s4
	s_cbranch_execz .LBB118_10
; %bb.9:
	global_load_dwordx2 v[3:4], v[18:19], off
	s_waitcnt vmcnt(0)
	ds_write_b64 v2, v[3:4]
.LBB118_10:
	s_or_b32 exec_lo, exec_lo, s3
	v_lshl_add_u32 v24, v1, 6, v0
	v_and_b32_e32 v2, 31, v0
	v_mov_b32_e32 v3, 0
	s_mul_i32 s3, s19, s7
	s_mul_hi_u32 s5, s18, s7
	v_lshrrev_b32_e32 v7, 5, v24
	s_mul_i32 s4, s18, s7
	s_add_i32 s5, s5, s3
	s_mul_hi_u32 s9, s16, s20
	s_lshl_b64 s[4:5], s[4:5], 3
	v_mad_u64_u32 v[3:4], null, s16, v7, v[2:3]
	s_add_u32 s3, s12, s4
	s_addc_u32 s8, s13, s5
	s_lshl_b64 s[4:5], s[14:15], 3
	s_mul_i32 s10, s17, s20
	s_add_u32 s3, s3, s4
	s_addc_u32 s8, s8, s5
	v_mad_u64_u32 v[4:5], null, s17, v7, v[4:5]
	s_ashr_i32 s21, s20, 31
	s_lshl_b64 s[4:5], s[20:21], 3
	s_mul_i32 s11, s16, s21
	s_add_u32 s3, s3, s4
	s_addc_u32 s8, s8, s5
	v_lshlrev_b64 v[20:21], 3, v[3:4]
	s_add_i32 s5, s9, s11
	s_mul_i32 s4, s16, s20
	s_add_i32 s5, s5, s10
	s_lshl_b64 s[12:13], s[4:5], 3
	v_add_co_u32 v3, vcc_lo, s3, v20
	v_add_co_ci_u32_e64 v4, null, s8, v21, vcc_lo
	s_cmp_lg_u32 s22, 0
	v_add_co_u32 v3, vcc_lo, v3, s12
	v_add_co_ci_u32_e64 v4, null, s13, v4, vcc_lo
	s_cselect_b32 s18, -1, 0
	s_cmp_eq_u32 s22, 0
	s_cselect_b32 s9, -1, 0
	s_and_b32 vcc_lo, exec_lo, s18
	s_cbranch_vccnz .LBB118_12
; %bb.11:
	s_lshl_b64 s[2:3], s[16:17], 6
	v_mul_u32_u24_e32 v14, 0x108, v7
	v_add_co_u32 v5, vcc_lo, v3, s2
	v_add_co_ci_u32_e64 v6, null, s3, v4, vcc_lo
	v_lshl_add_u32 v14, v2, 3, v14
	v_add_co_u32 v8, vcc_lo, v5, s2
	v_add_co_ci_u32_e64 v9, null, s3, v6, vcc_lo
	v_add_co_u32 v10, vcc_lo, v8, s2
	v_add_co_ci_u32_e64 v11, null, s3, v9, vcc_lo
	s_clause 0x3
	global_load_dwordx2 v[12:13], v[3:4], off
	global_load_dwordx2 v[5:6], v[5:6], off
	;; [unrolled: 1-line block ×4, first 2 shown]
	s_mov_b32 s2, 0
	s_waitcnt vmcnt(3)
	ds_write_b64 v14, v[12:13]
	s_waitcnt vmcnt(2)
	ds_write_b64 v14, v[5:6] offset:2112
	s_waitcnt vmcnt(1)
	ds_write_b64 v14, v[8:9] offset:4224
	;; [unrolled: 2-line block ×3, first 2 shown]
.LBB118_12:
	v_lshlrev_b32_e32 v8, 3, v2
	s_andn2_b32 vcc_lo, exec_lo, s2
	s_cbranch_vccnz .LBB118_30
; %bb.13:
	v_lshlrev_b32_e32 v9, 3, v2
	s_ashr_i32 s23, s22, 31
	v_cmp_le_i32_e64 s2, s22, v7
	s_lshl_b64 s[4:5], s[22:23], 3
	v_mul_u32_u24_e32 v10, 0x108, v7
	v_sub_co_u32 v5, vcc_lo, v3, v9
	v_subrev_co_ci_u32_e64 v6, null, 0, v4, vcc_lo
	v_add_co_u32 v5, vcc_lo, v5, s4
	v_add_co_ci_u32_e64 v6, null, s5, v6, vcc_lo
	v_add_co_u32 v5, vcc_lo, v5, -8
	v_add_co_ci_u32_e64 v6, null, -1, v6, vcc_lo
	v_cmp_gt_i32_e32 vcc_lo, s22, v2
	v_cndmask_b32_e32 v6, v6, v4, vcc_lo
	v_cndmask_b32_e32 v5, v5, v3, vcc_lo
	s_and_saveexec_b32 s3, s2
	s_xor_b32 s2, exec_lo, s3
	s_cbranch_execz .LBB118_15
; %bb.14:
	v_mov_b32_e32 v11, 0
	v_add_nc_u32_e32 v13, v8, v10
	v_mov_b32_e32 v12, v11
	ds_write_b64 v13, v[11:12]
.LBB118_15:
	s_andn2_saveexec_b32 s2, s2
	s_cbranch_execz .LBB118_17
; %bb.16:
	global_load_dwordx2 v[11:12], v[5:6], off
	v_add_nc_u32_e32 v13, v8, v10
	s_waitcnt vmcnt(0)
	ds_write_b64 v13, v[11:12]
.LBB118_17:
	s_or_b32 exec_lo, exec_lo, s2
	v_add_nc_u32_e32 v11, 8, v7
	v_cmp_le_i32_e64 s2, s22, v11
	s_and_saveexec_b32 s3, s2
	s_xor_b32 s2, exec_lo, s3
	s_cbranch_execz .LBB118_19
; %bb.18:
	v_mov_b32_e32 v11, 0
	v_add_nc_u32_e32 v13, v10, v8
	v_mov_b32_e32 v12, v11
	ds_write_b64 v13, v[11:12] offset:2112
.LBB118_19:
	s_andn2_saveexec_b32 s3, s2
	s_cbranch_execz .LBB118_21
; %bb.20:
	s_lshl_b64 s[10:11], s[16:17], 6
	v_add_nc_u32_e32 v13, v10, v8
	v_add_co_u32 v11, s2, v5, s10
	v_add_co_ci_u32_e64 v12, null, s11, v6, s2
	global_load_dwordx2 v[11:12], v[11:12], off
	s_waitcnt vmcnt(0)
	ds_write_b64 v13, v[11:12] offset:2112
.LBB118_21:
	s_or_b32 exec_lo, exec_lo, s3
	v_add_nc_u32_e32 v11, 16, v7
	v_cmp_le_i32_e64 s2, s22, v11
	s_and_saveexec_b32 s3, s2
	s_xor_b32 s2, exec_lo, s3
	s_cbranch_execz .LBB118_23
; %bb.22:
	v_mov_b32_e32 v11, 0
	v_add_nc_u32_e32 v13, v10, v8
	v_mov_b32_e32 v12, v11
	ds_write_b64 v13, v[11:12] offset:4224
.LBB118_23:
	s_andn2_saveexec_b32 s3, s2
	s_cbranch_execz .LBB118_25
; %bb.24:
	s_lshl_b64 s[10:11], s[16:17], 7
	v_add_nc_u32_e32 v13, v10, v8
	v_add_co_u32 v11, s2, v5, s10
	v_add_co_ci_u32_e64 v12, null, s11, v6, s2
	global_load_dwordx2 v[11:12], v[11:12], off
	s_waitcnt vmcnt(0)
	ds_write_b64 v13, v[11:12] offset:4224
.LBB118_25:
	s_or_b32 exec_lo, exec_lo, s3
	v_add_nc_u32_e32 v11, 24, v7
	v_cmp_le_i32_e64 s2, s22, v11
	s_and_saveexec_b32 s3, s2
	s_xor_b32 s2, exec_lo, s3
	s_cbranch_execz .LBB118_27
; %bb.26:
	v_mov_b32_e32 v11, 0
	v_add_nc_u32_e32 v10, v10, v8
	v_mov_b32_e32 v12, v11
	ds_write_b64 v10, v[11:12] offset:6336
                                        ; implicit-def: $vgpr10
.LBB118_27:
	s_andn2_saveexec_b32 s2, s2
	s_cbranch_execz .LBB118_29
; %bb.28:
	v_mad_u64_u32 v[11:12], null, 0xc0, s16, v[5:6]
	v_add_nc_u32_e32 v10, v10, v8
	v_mad_u64_u32 v[12:13], null, 0xc0, s17, v[12:13]
	global_load_dwordx2 v[11:12], v[11:12], off
	s_waitcnt vmcnt(0)
	ds_write_b64 v10, v[11:12] offset:6336
.LBB118_29:
	s_or_b32 exec_lo, exec_lo, s2
	v_add_co_u32 v5, s2, v5, v9
	v_add_co_ci_u32_e64 v6, null, 0, v6, s2
	v_sub_co_u32 v5, s2, v5, s4
	v_subrev_co_ci_u32_e64 v6, null, s5, v6, s2
	v_add_co_u32 v5, s2, v5, 8
	v_add_co_ci_u32_e64 v6, null, 0, v6, s2
	v_cndmask_b32_e32 v3, v5, v3, vcc_lo
	v_cndmask_b32_e32 v4, v6, v4, vcc_lo
.LBB118_30:
	v_lshlrev_b32_e32 v5, 2, v7
	v_lshl_or_b32 v11, v2, 8, v8
	v_mad_u32_u24 v9, 0x420, v7, v8
	s_waitcnt lgkmcnt(0)
	s_barrier
	v_cmp_lt_u32_e64 s3, v5, v2
	buffer_gl0_inv
	s_and_saveexec_b32 s2, s3
	s_cbranch_execz .LBB118_32
; %bb.31:
	ds_read_b64 v[12:13], v9
	v_lshl_add_u32 v6, v5, 3, v11
	s_waitcnt lgkmcnt(0)
	ds_write_b64 v6, v[12:13]
.LBB118_32:
	s_or_b32 exec_lo, exec_lo, s2
	v_or_b32_e32 v6, 1, v5
	v_cmp_lt_u32_e64 s4, v6, v2
	v_mad_u32_u24 v10, 0x108, v6, v8
	s_and_saveexec_b32 s2, s4
	s_cbranch_execz .LBB118_34
; %bb.33:
	ds_read_b64 v[12:13], v10
	v_lshl_add_u32 v14, v5, 3, v11
	s_waitcnt lgkmcnt(0)
	ds_write_b64 v14, v[12:13] offset:8
.LBB118_34:
	s_or_b32 exec_lo, exec_lo, s2
	v_or_b32_e32 v12, 2, v5
	v_cmp_lt_u32_e64 s5, v12, v2
	s_and_saveexec_b32 s2, s5
	s_cbranch_execz .LBB118_36
; %bb.35:
	v_mad_u32_u24 v12, 0x108, v12, v8
	v_lshl_add_u32 v14, v5, 3, v11
	ds_read_b64 v[12:13], v12
	s_waitcnt lgkmcnt(0)
	ds_write_b64 v14, v[12:13] offset:16
.LBB118_36:
	s_or_b32 exec_lo, exec_lo, s2
	v_or_b32_e32 v13, 3, v5
	s_mov_b32 s2, exec_lo
                                        ; implicit-def: $vgpr12
	v_cmp_lt_u32_e64 s8, v13, v2
	v_cmpx_ge_u32_e64 v13, v2
	s_xor_b32 s2, exec_lo, s2
; %bb.37:
	v_mul_u32_u24_e32 v12, 0x108, v13
                                        ; implicit-def: $vgpr11
                                        ; implicit-def: $vgpr13
; %bb.38:
	s_andn2_saveexec_b32 s2, s2
	s_cbranch_execz .LBB118_40
; %bb.39:
	v_mad_u32_u24 v12, 0x108, v13, v8
	v_lshl_add_u32 v11, v5, 3, v11
	ds_read_b64 v[14:15], v12
	v_mul_u32_u24_e32 v12, 0x108, v13
	s_waitcnt lgkmcnt(0)
	ds_write_b64 v11, v[14:15] offset:24
.LBB118_40:
	s_or_b32 exec_lo, exec_lo, s2
	v_lshlrev_b32_e32 v13, 3, v5
	s_waitcnt lgkmcnt(0)
	s_barrier
	buffer_gl0_inv
	ds_read_b64 v[22:23], v9
	ds_read_b128 v[14:17], v13 offset:9088
	ds_read2_b64 v[25:28], v10 offset1:33
	v_add_nc_u32_e32 v9, v8, v12
	v_mul_u32_u24_e32 v12, 33, v2
	v_cmp_gt_u32_e64 s2, 32, v24
	ds_read_b128 v[29:32], v13 offset:9104
	ds_read_b64 v[10:11], v9
	s_waitcnt lgkmcnt(0)
	s_barrier
	buffer_gl0_inv
	v_mul_f32_e32 v33, v15, v23
	v_mul_f32_e32 v23, v14, v23
	;; [unrolled: 1-line block ×5, first 2 shown]
	v_fma_f32 v14, v14, v22, -v33
	v_fmac_f32_e32 v23, v15, v22
	v_mul_f32_e32 v28, v29, v28
	v_fma_f32 v16, v16, v25, -v36
	v_fmac_f32_e32 v26, v17, v25
	v_add_f32_e32 v14, 0, v14
	v_add_f32_e32 v17, 0, v23
	v_mul_f32_e32 v15, v32, v11
	v_mul_f32_e32 v11, v31, v11
	v_fma_f32 v22, v29, v27, -v37
	v_fmac_f32_e32 v28, v30, v27
	v_add_f32_e32 v14, v14, v16
	v_add_f32_e32 v16, v17, v26
	v_lshlrev_b32_e32 v25, 3, v12
	v_fma_f32 v12, v31, v10, -v15
	v_fmac_f32_e32 v11, v32, v10
	v_add_f32_e32 v10, v14, v22
	v_add_f32_e32 v14, v16, v28
	v_mov_b32_e32 v36, 0
	v_lshl_add_u32 v26, v7, 3, v25
	v_mov_b32_e32 v37, 0
	v_add_f32_e32 v10, v10, v12
	v_add_f32_e32 v11, v14, v11
	ds_write_b64 v26, v[10:11]
	s_waitcnt lgkmcnt(0)
	s_barrier
	buffer_gl0_inv
	s_and_saveexec_b32 s10, s2
	s_cbranch_execz .LBB118_42
; %bb.41:
	ds_read2_b64 v[14:17], v25 offset1:7
	ds_read2_b64 v[27:30], v25 offset0:1 offset1:2
	ds_read2_b64 v[36:39], v25 offset0:3 offset1:4
	;; [unrolled: 1-line block ×3, first 2 shown]
	s_waitcnt lgkmcnt(2)
	v_add_f32_e32 v10, v27, v14
	v_add_f32_e32 v11, v28, v15
	v_add_f32_e32 v10, v29, v10
	v_add_f32_e32 v11, v30, v11
	s_waitcnt lgkmcnt(1)
	v_add_f32_e32 v10, v10, v36
	v_add_f32_e32 v11, v11, v37
	v_add_f32_e32 v10, v10, v38
	v_add_f32_e32 v11, v11, v39
	;; [unrolled: 5-line block ×3, first 2 shown]
	v_add_f32_e32 v36, v10, v16
	v_add_f32_e32 v37, v11, v17
.LBB118_42:
	s_or_b32 exec_lo, exec_lo, s10
	s_lshl_b64 s[10:11], s[16:17], 8
	v_cndmask_b32_e64 v10, 0, 1, s9
	v_add_co_u32 v3, vcc_lo, v3, s10
	v_add_co_ci_u32_e64 v4, null, s11, v4, vcc_lo
	v_add_co_u32 v11, vcc_lo, 0x100, v3
	v_add_co_ci_u32_e64 v12, null, 0, v4, vcc_lo
	s_andn2_b32 vcc_lo, exec_lo, s9
	s_mov_b32 s9, -1
	s_barrier
	buffer_gl0_inv
	s_cbranch_vccnz .LBB118_44
; %bb.43:
	s_lshl_b64 s[14:15], s[16:17], 6
	v_mad_u32_u24 v29, 0x108, v7, v8
	v_add_co_u32 v14, vcc_lo, v3, s14
	v_add_co_ci_u32_e64 v15, null, s15, v4, vcc_lo
	s_mov_b32 s9, 0
	v_add_co_u32 v16, vcc_lo, v14, s14
	v_add_co_ci_u32_e64 v17, null, s15, v15, vcc_lo
	v_add_co_u32 v22, vcc_lo, v16, s14
	v_add_co_ci_u32_e64 v23, null, s15, v17, vcc_lo
	s_clause 0x3
	global_load_dwordx2 v[27:28], v[3:4], off offset:256
	global_load_dwordx2 v[14:15], v[14:15], off offset:256
	;; [unrolled: 1-line block ×4, first 2 shown]
	s_waitcnt vmcnt(3)
	ds_write_b64 v29, v[27:28]
	s_waitcnt vmcnt(2)
	ds_write_b64 v29, v[14:15] offset:2112
	s_waitcnt vmcnt(1)
	ds_write_b64 v29, v[16:17] offset:4224
	;; [unrolled: 2-line block ×3, first 2 shown]
.LBB118_44:
	s_andn2_b32 vcc_lo, exec_lo, s9
	s_cbranch_vccnz .LBB118_62
; %bb.45:
	v_lshlrev_b32_e32 v14, 3, v2
	s_ashr_i32 s23, s22, 31
	v_or_b32_e32 v15, 32, v2
	s_lshl_b64 s[14:15], s[22:23], 3
	s_sub_i32 s19, s22, 32
	v_sub_co_u32 v3, vcc_lo, v3, v14
	v_subrev_co_ci_u32_e64 v4, null, 0, v4, vcc_lo
	v_cmp_le_i32_e64 s9, s19, v7
	v_add_co_u32 v3, vcc_lo, v3, s14
	v_add_co_ci_u32_e64 v4, null, s15, v4, vcc_lo
	v_add_co_u32 v3, vcc_lo, v3, -8
	v_add_co_ci_u32_e64 v4, null, -1, v4, vcc_lo
	v_cmp_gt_i32_e32 vcc_lo, s22, v15
	v_mul_u32_u24_e32 v15, 0x108, v7
	v_cndmask_b32_e32 v4, v4, v12, vcc_lo
	v_cndmask_b32_e32 v3, v3, v11, vcc_lo
	s_and_saveexec_b32 s23, s9
	s_xor_b32 s9, exec_lo, s23
	s_cbranch_execz .LBB118_47
; %bb.46:
	v_mov_b32_e32 v16, 0
	v_add_nc_u32_e32 v22, v8, v15
	v_mov_b32_e32 v17, v16
	ds_write_b64 v22, v[16:17]
.LBB118_47:
	s_andn2_saveexec_b32 s9, s9
	s_cbranch_execz .LBB118_49
; %bb.48:
	global_load_dwordx2 v[16:17], v[3:4], off
	v_add_nc_u32_e32 v22, v8, v15
	s_waitcnt vmcnt(0)
	ds_write_b64 v22, v[16:17]
.LBB118_49:
	s_or_b32 exec_lo, exec_lo, s9
	v_add_nc_u32_e32 v16, 8, v7
	v_cmp_le_i32_e64 s9, s19, v16
	s_and_saveexec_b32 s23, s9
	s_xor_b32 s9, exec_lo, s23
	s_cbranch_execz .LBB118_51
; %bb.50:
	v_mov_b32_e32 v16, 0
	v_add_nc_u32_e32 v22, v15, v8
	v_mov_b32_e32 v17, v16
	ds_write_b64 v22, v[16:17] offset:2112
.LBB118_51:
	s_andn2_saveexec_b32 s23, s9
	s_cbranch_execz .LBB118_53
; %bb.52:
	s_lshl_b64 s[30:31], s[16:17], 6
	v_add_nc_u32_e32 v22, v15, v8
	v_add_co_u32 v16, s9, v3, s30
	v_add_co_ci_u32_e64 v17, null, s31, v4, s9
	global_load_dwordx2 v[16:17], v[16:17], off
	s_waitcnt vmcnt(0)
	ds_write_b64 v22, v[16:17] offset:2112
.LBB118_53:
	s_or_b32 exec_lo, exec_lo, s23
	v_add_nc_u32_e32 v16, 16, v7
	v_cmp_le_i32_e64 s9, s19, v16
	s_and_saveexec_b32 s23, s9
	s_xor_b32 s9, exec_lo, s23
	s_cbranch_execz .LBB118_55
; %bb.54:
	v_mov_b32_e32 v16, 0
	v_add_nc_u32_e32 v22, v15, v8
	v_mov_b32_e32 v17, v16
	ds_write_b64 v22, v[16:17] offset:4224
.LBB118_55:
	s_andn2_saveexec_b32 s23, s9
	s_cbranch_execz .LBB118_57
; %bb.56:
	s_lshl_b64 s[30:31], s[16:17], 7
	v_add_nc_u32_e32 v22, v15, v8
	v_add_co_u32 v16, s9, v3, s30
	v_add_co_ci_u32_e64 v17, null, s31, v4, s9
	global_load_dwordx2 v[16:17], v[16:17], off
	s_waitcnt vmcnt(0)
	ds_write_b64 v22, v[16:17] offset:4224
.LBB118_57:
	s_or_b32 exec_lo, exec_lo, s23
	v_add_nc_u32_e32 v16, 24, v7
	v_cmp_le_i32_e64 s9, s19, v16
	s_and_saveexec_b32 s19, s9
	s_xor_b32 s9, exec_lo, s19
	s_cbranch_execz .LBB118_59
; %bb.58:
	v_mov_b32_e32 v16, 0
	v_add_nc_u32_e32 v15, v15, v8
	v_mov_b32_e32 v17, v16
	ds_write_b64 v15, v[16:17] offset:6336
                                        ; implicit-def: $vgpr15
.LBB118_59:
	s_andn2_saveexec_b32 s9, s9
	s_cbranch_execz .LBB118_61
; %bb.60:
	v_mad_u64_u32 v[16:17], null, 0xc0, s16, v[3:4]
	v_add_nc_u32_e32 v15, v15, v8
	v_mad_u64_u32 v[22:23], null, 0xc0, s17, v[17:18]
	v_mov_b32_e32 v17, v22
	global_load_dwordx2 v[16:17], v[16:17], off
	s_waitcnt vmcnt(0)
	ds_write_b64 v15, v[16:17] offset:6336
.LBB118_61:
	s_or_b32 exec_lo, exec_lo, s9
	v_add_co_u32 v3, s9, v3, v14
	v_add_co_ci_u32_e64 v4, null, 0, v4, s9
	v_sub_co_u32 v3, s9, v3, s14
	v_subrev_co_ci_u32_e64 v4, null, s15, v4, s9
	v_add_co_u32 v3, s9, 0x108, v3
	v_add_co_ci_u32_e64 v4, null, 0, v4, s9
	v_cndmask_b32_e32 v11, v3, v11, vcc_lo
	v_cndmask_b32_e32 v12, v4, v12, vcc_lo
.LBB118_62:
	v_mul_u32_u24_e32 v3, 0x420, v7
	v_add_nc_u32_e32 v4, 0x2380, v13
	v_mul_u32_u24_e32 v6, 0x108, v6
	s_lshl_b64 s[14:15], s[16:17], 5
	s_waitcnt lgkmcnt(0)
	v_add_nc_u32_e32 v3, v8, v3
	s_barrier
	buffer_gl0_inv
	s_and_saveexec_b32 s9, s3
	s_cbranch_execnz .LBB118_71
; %bb.63:
	s_or_b32 exec_lo, exec_lo, s9
	v_add_nc_u32_e32 v6, v8, v6
	s_and_saveexec_b32 s3, s4
	s_cbranch_execnz .LBB118_72
.LBB118_64:
	s_or_b32 exec_lo, exec_lo, s3
	s_and_saveexec_b32 s3, s5
	s_cbranch_execnz .LBB118_73
.LBB118_65:
	s_or_b32 exec_lo, exec_lo, s3
	s_and_saveexec_b32 s3, s8
	s_cbranch_execz .LBB118_67
.LBB118_66:
	ds_read_b64 v[13:14], v9
	v_lshl_add_u32 v15, v5, 3, v25
	s_waitcnt lgkmcnt(0)
	ds_write_b64 v15, v[13:14] offset:24
.LBB118_67:
	s_or_b32 exec_lo, exec_lo, s3
	s_waitcnt lgkmcnt(0)
	s_barrier
	buffer_gl0_inv
	ds_read_b64 v[22:23], v3
	ds_read_b128 v[13:16], v4 offset:256
	ds_read2_b64 v[27:30], v6 offset1:33
	ds_read_b128 v[38:41], v4 offset:272
	ds_read_b64 v[31:32], v9
	v_cmp_eq_u32_e64 s3, 1, v7
	s_waitcnt lgkmcnt(0)
	s_barrier
	buffer_gl0_inv
	v_mul_f32_e32 v3, v14, v23
	v_mul_f32_e32 v6, v13, v23
	;; [unrolled: 1-line block ×5, first 2 shown]
	v_fma_f32 v3, v13, v22, -v3
	v_fmac_f32_e32 v6, v14, v22
	v_mul_f32_e32 v28, v38, v30
	v_fma_f32 v9, v15, v27, -v9
	v_fmac_f32_e32 v17, v16, v27
	v_add_f32_e32 v3, 0, v3
	v_add_f32_e32 v6, 0, v6
	v_mul_f32_e32 v13, v41, v32
	v_mul_f32_e32 v14, v40, v32
	v_fma_f32 v15, v38, v29, -v23
	v_fmac_f32_e32 v28, v39, v29
	v_add_f32_e32 v3, v3, v9
	v_add_f32_e32 v6, v6, v17
	v_fma_f32 v9, v40, v31, -v13
	v_fmac_f32_e32 v14, v41, v31
	v_add_f32_e32 v3, v3, v15
	v_add_f32_e32 v6, v6, v28
	;; [unrolled: 1-line block ×4, first 2 shown]
	ds_write_b64 v26, v[13:14]
	s_waitcnt lgkmcnt(0)
	s_barrier
	buffer_gl0_inv
	s_and_saveexec_b32 s4, s3
	s_cbranch_execz .LBB118_69
; %bb.68:
	ds_read2_b64 v[13:16], v25 offset1:7
	ds_read2_b64 v[27:30], v25 offset0:1 offset1:2
	ds_read2_b64 v[36:39], v25 offset0:3 offset1:4
	;; [unrolled: 1-line block ×3, first 2 shown]
	s_waitcnt lgkmcnt(2)
	v_add_f32_e32 v3, v27, v13
	v_add_f32_e32 v6, v28, v14
	v_add_f32_e32 v3, v29, v3
	v_add_f32_e32 v6, v30, v6
	s_waitcnt lgkmcnt(1)
	v_add_f32_e32 v3, v3, v36
	v_add_f32_e32 v6, v6, v37
	v_add_f32_e32 v3, v3, v38
	v_add_f32_e32 v6, v6, v39
	;; [unrolled: 5-line block ×3, first 2 shown]
	v_add_f32_e32 v36, v3, v15
	v_add_f32_e32 v37, v6, v16
.LBB118_69:
	s_or_b32 exec_lo, exec_lo, s4
	s_lshl_b64 s[4:5], s[14:15], 3
	v_cmp_ne_u32_e32 vcc_lo, 1, v10
	v_sub_co_u32 v22, s4, v11, s4
	v_subrev_co_ci_u32_e64 v23, null, s5, v12, s4
	s_barrier
	buffer_gl0_inv
	s_cbranch_vccnz .LBB118_74
; %bb.70:
	s_lshl_b64 s[4:5], s[16:17], 6
	global_load_dwordx2 v[12:13], v[22:23], off
	v_add_co_u32 v9, vcc_lo, v22, s4
	v_add_co_ci_u32_e64 v10, null, s5, v23, vcc_lo
	v_mul_u32_u24_e32 v6, 0x108, v7
	v_add_co_u32 v14, vcc_lo, v9, s4
	v_add_co_ci_u32_e64 v15, null, s5, v10, vcc_lo
	v_add_co_u32 v16, vcc_lo, v14, s4
	v_add_co_ci_u32_e64 v17, null, s5, v15, vcc_lo
	s_movk_i32 s4, 0x840
	s_clause 0x2
	global_load_dwordx2 v[27:28], v[9:10], off
	global_load_dwordx2 v[14:15], v[14:15], off
	;; [unrolled: 1-line block ×3, first 2 shown]
	v_mad_u32_u24 v9, 0x108, v7, v8
	v_mad_u32_u24 v11, 0x108, v7, s4
	s_movk_i32 s4, 0x18c0
	s_movk_i32 s5, 0x1080
	v_add_nc_u32_e32 v10, 16, v7
	v_mad_u32_u24 v3, 0x108, v7, s5
	v_add_nc_u32_e32 v29, v8, v11
	v_add_nc_u32_e32 v30, v8, v3
	s_waitcnt vmcnt(3)
	ds_write_b64 v9, v[12:13]
	v_mad_u32_u24 v13, 0x108, v7, s4
	v_add_nc_u32_e32 v9, 8, v7
	v_add_nc_u32_e32 v12, 24, v7
	s_waitcnt vmcnt(2)
	ds_write_b64 v29, v[27:28]
	s_waitcnt vmcnt(1)
	ds_write_b64 v30, v[14:15]
	v_add_nc_u32_e32 v31, v8, v13
	s_waitcnt vmcnt(0)
	ds_write_b64 v31, v[16:17]
	s_cbranch_execz .LBB118_75
	s_branch .LBB118_92
.LBB118_71:
	ds_read_b64 v[13:14], v3
	v_lshl_add_u32 v15, v5, 3, v25
	s_waitcnt lgkmcnt(0)
	ds_write_b64 v15, v[13:14]
	s_or_b32 exec_lo, exec_lo, s9
	v_add_nc_u32_e32 v6, v8, v6
	s_and_saveexec_b32 s3, s4
	s_cbranch_execz .LBB118_64
.LBB118_72:
	ds_read_b64 v[13:14], v6
	v_lshl_add_u32 v15, v5, 3, v25
	s_waitcnt lgkmcnt(0)
	ds_write_b64 v15, v[13:14] offset:8
	s_or_b32 exec_lo, exec_lo, s3
	s_and_saveexec_b32 s3, s5
	s_cbranch_execz .LBB118_65
.LBB118_73:
	ds_read_b64 v[13:14], v6 offset:264
	v_lshl_add_u32 v15, v5, 3, v25
	s_waitcnt lgkmcnt(0)
	ds_write_b64 v15, v[13:14] offset:16
	s_or_b32 exec_lo, exec_lo, s3
	s_and_saveexec_b32 s3, s8
	s_cbranch_execnz .LBB118_66
	s_branch .LBB118_67
.LBB118_74:
                                        ; implicit-def: $vgpr6
                                        ; implicit-def: $vgpr9
                                        ; implicit-def: $vgpr11
                                        ; implicit-def: $vgpr10
                                        ; implicit-def: $vgpr3
                                        ; implicit-def: $vgpr12
                                        ; implicit-def: $vgpr13
.LBB118_75:
	v_lshlrev_b32_e32 v11, 3, v2
	s_ashr_i32 s23, s22, 31
	v_or_b32_e32 v2, 32, v2
	s_lshl_b64 s[8:9], s[22:23], 3
	v_cmp_le_i32_e64 s4, s22, v7
	v_sub_co_u32 v3, vcc_lo, v22, v11
	v_subrev_co_ci_u32_e64 v6, null, 0, v23, vcc_lo
	v_add_co_u32 v3, vcc_lo, v3, s8
	v_add_co_ci_u32_e64 v6, null, s9, v6, vcc_lo
	v_add_co_u32 v9, vcc_lo, 0xfffffef8, v3
	v_add_co_ci_u32_e64 v3, null, -1, v6, vcc_lo
	v_cmp_gt_i32_e32 vcc_lo, s22, v2
	v_mul_u32_u24_e32 v6, 0x108, v7
	v_cndmask_b32_e32 v3, v3, v23, vcc_lo
	v_cndmask_b32_e32 v2, v9, v22, vcc_lo
	s_and_saveexec_b32 s5, s4
	s_xor_b32 s4, exec_lo, s5
	s_cbranch_execz .LBB118_77
; %bb.76:
	v_mov_b32_e32 v9, 0
	v_add_nc_u32_e32 v12, v8, v6
	v_mov_b32_e32 v10, v9
	ds_write_b64 v12, v[9:10]
.LBB118_77:
	s_andn2_saveexec_b32 s4, s4
	s_cbranch_execz .LBB118_79
; %bb.78:
	global_load_dwordx2 v[9:10], v[2:3], off
	v_add_nc_u32_e32 v12, v8, v6
	s_waitcnt vmcnt(0)
	ds_write_b64 v12, v[9:10]
.LBB118_79:
	s_or_b32 exec_lo, exec_lo, s4
	v_add_nc_u32_e32 v9, 8, v7
	v_cmp_le_i32_e64 s4, s22, v9
	s_and_saveexec_b32 s5, s4
	s_xor_b32 s4, exec_lo, s5
	s_cbranch_execz .LBB118_81
; %bb.80:
	v_mov_b32_e32 v12, 0
	v_add_nc_u32_e32 v10, v6, v8
	v_mov_b32_e32 v13, v12
	ds_write_b64 v10, v[12:13] offset:2112
.LBB118_81:
	s_andn2_saveexec_b32 s5, s4
	s_cbranch_execz .LBB118_83
; %bb.82:
	s_lshl_b64 s[14:15], s[16:17], 6
	v_add_nc_u32_e32 v10, v6, v8
	v_add_co_u32 v12, s4, v2, s14
	v_add_co_ci_u32_e64 v13, null, s15, v3, s4
	global_load_dwordx2 v[12:13], v[12:13], off
	s_waitcnt vmcnt(0)
	ds_write_b64 v10, v[12:13] offset:2112
.LBB118_83:
	s_or_b32 exec_lo, exec_lo, s5
	v_add_nc_u32_e32 v10, 16, v7
	v_cmp_le_i32_e64 s4, s22, v10
	s_and_saveexec_b32 s5, s4
	s_xor_b32 s4, exec_lo, s5
	s_cbranch_execz .LBB118_85
; %bb.84:
	v_mov_b32_e32 v12, 0
	v_add_nc_u32_e32 v14, v6, v8
	v_mov_b32_e32 v13, v12
	ds_write_b64 v14, v[12:13] offset:4224
.LBB118_85:
	s_andn2_saveexec_b32 s5, s4
	s_cbranch_execz .LBB118_87
; %bb.86:
	s_lshl_b64 s[14:15], s[16:17], 7
	v_add_nc_u32_e32 v14, v6, v8
	v_add_co_u32 v12, s4, v2, s14
	v_add_co_ci_u32_e64 v13, null, s15, v3, s4
	global_load_dwordx2 v[12:13], v[12:13], off
	s_waitcnt vmcnt(0)
	ds_write_b64 v14, v[12:13] offset:4224
.LBB118_87:
	s_or_b32 exec_lo, exec_lo, s5
	v_add_nc_u32_e32 v12, 24, v7
                                        ; implicit-def: $vgpr13
	v_cmp_le_i32_e64 s4, s22, v12
	s_and_saveexec_b32 s5, s4
	s_xor_b32 s4, exec_lo, s5
	s_cbranch_execz .LBB118_89
; %bb.88:
	v_add_nc_u32_e32 v13, 0x18c0, v6
	v_mov_b32_e32 v14, 0
	v_add_nc_u32_e32 v16, v8, v13
	v_mov_b32_e32 v15, v14
	ds_write_b64 v16, v[14:15]
.LBB118_89:
	s_andn2_saveexec_b32 s4, s4
	s_cbranch_execz .LBB118_91
; %bb.90:
	v_mad_u64_u32 v[13:14], null, 0xc0, s16, v[2:3]
	v_mad_u64_u32 v[14:15], null, 0xc0, s17, v[14:15]
	global_load_dwordx2 v[14:15], v[13:14], off
	v_add_nc_u32_e32 v13, 0x18c0, v6
	v_add_nc_u32_e32 v16, v8, v13
	s_waitcnt vmcnt(0)
	ds_write_b64 v16, v[14:15]
.LBB118_91:
	s_or_b32 exec_lo, exec_lo, s4
	v_add_co_u32 v2, s4, v2, v11
	v_add_co_ci_u32_e64 v3, null, 0, v3, s4
	v_add_nc_u32_e32 v11, 0x840, v6
	v_sub_co_u32 v2, s4, v2, s8
	v_subrev_co_ci_u32_e64 v3, null, s9, v3, s4
	v_add_co_u32 v2, s4, 0x108, v2
	v_add_co_ci_u32_e64 v3, null, 0, v3, s4
	v_cndmask_b32_e32 v22, v2, v22, vcc_lo
	v_cndmask_b32_e32 v23, v3, v23, vcc_lo
	v_add_nc_u32_e32 v3, 0x1080, v6
.LBB118_92:
	v_add_nc_u32_e32 v2, v8, v6
	v_lshlrev_b32_e32 v6, 3, v7
	v_add_nc_u32_e32 v7, v8, v11
	v_lshlrev_b32_e32 v9, 3, v9
	v_add_nc_u32_e32 v3, v8, v3
	s_waitcnt lgkmcnt(0)
	s_barrier
	buffer_gl0_inv
	v_lshlrev_b32_e32 v10, 3, v10
	v_add_nc_u32_e32 v8, v8, v13
	v_lshlrev_b32_e32 v11, 3, v12
	ds_read_b64 v[27:28], v2
	ds_read_b64 v[29:30], v6 offset:9088
	ds_read_b64 v[31:32], v7
	ds_read_b64 v[38:39], v9 offset:9088
	;; [unrolled: 2-line block ×3, first 2 shown]
	ds_read2_b32 v[44:45], v8 offset1:1
	ds_read_b64 v[46:47], v11 offset:9088
	v_lshl_add_u32 v6, v5, 3, v25
	ds_read_b128 v[10:13], v4 offset:256
	ds_read_b128 v[2:5], v4 offset:272
	ds_read2_b64 v[14:17], v6 offset1:1
	ds_read2_b64 v[6:9], v6 offset0:2 offset1:3
	s_waitcnt lgkmcnt(0)
	s_barrier
	buffer_gl0_inv
	v_mul_f32_e32 v33, v30, v28
	v_mul_f32_e32 v28, v29, v28
	;; [unrolled: 1-line block ×5, first 2 shown]
	v_fma_f32 v29, v29, v27, -v33
	v_fmac_f32_e32 v28, v30, v27
	v_mul_f32_e32 v27, v42, v41
	v_fma_f32 v30, v38, v31, -v48
	v_fmac_f32_e32 v32, v39, v31
	v_add_f32_e32 v29, 0, v29
	v_add_f32_e32 v28, 0, v28
	v_mul_f32_e32 v50, v47, v45
	v_mul_f32_e32 v31, v46, v45
	v_fma_f32 v33, v42, v40, -v49
	v_fmac_f32_e32 v27, v43, v40
	v_add_f32_e32 v29, v29, v30
	v_add_f32_e32 v28, v28, v32
	v_fma_f32 v30, v46, v44, -v50
	v_fmac_f32_e32 v31, v47, v44
	v_add_f32_e32 v29, v29, v33
	v_add_f32_e32 v28, v28, v27
	;; [unrolled: 1-line block ×4, first 2 shown]
	ds_write_b64 v26, v[27:28]
	s_waitcnt lgkmcnt(0)
	s_barrier
	buffer_gl0_inv
	s_and_saveexec_b32 s4, s3
	s_cbranch_execz .LBB118_94
; %bb.93:
	ds_read2_b64 v[27:30], v25 offset1:1
	ds_read2_b64 v[38:41], v25 offset0:2 offset1:3
	ds_read2_b64 v[42:45], v25 offset0:4 offset1:5
	s_waitcnt lgkmcnt(2)
	v_add_f32_e32 v27, v36, v27
	v_add_f32_e32 v28, v37, v28
	;; [unrolled: 1-line block ×4, first 2 shown]
	ds_read2_b64 v[27:30], v25 offset0:6 offset1:7
	s_waitcnt lgkmcnt(2)
	v_add_f32_e32 v31, v31, v38
	v_add_f32_e32 v32, v32, v39
	v_add_f32_e32 v31, v31, v40
	v_add_f32_e32 v32, v32, v41
	s_waitcnt lgkmcnt(1)
	v_add_f32_e32 v31, v31, v42
	v_add_f32_e32 v32, v32, v43
	v_add_f32_e32 v31, v31, v44
	v_add_f32_e32 v32, v32, v45
	;; [unrolled: 5-line block ×3, first 2 shown]
.LBB118_94:
	s_or_b32 exec_lo, exec_lo, s4
	v_mul_f32_e32 v27, v11, v15
	v_mul_f32_e32 v15, v10, v15
	v_mul_f32_e32 v28, v13, v17
	v_mul_f32_e32 v17, v12, v17
	v_mul_f32_e32 v29, v3, v7
	v_fma_f32 v10, v10, v14, -v27
	v_fmac_f32_e32 v15, v11, v14
	v_mul_f32_e32 v7, v2, v7
	v_fma_f32 v12, v12, v16, -v28
	v_fmac_f32_e32 v17, v13, v16
	v_add_f32_e32 v10, 0, v10
	v_add_f32_e32 v13, 0, v15
	v_mul_f32_e32 v11, v5, v9
	v_mul_f32_e32 v9, v4, v9
	v_fma_f32 v2, v2, v6, -v29
	v_add_f32_e32 v10, v10, v12
	v_fmac_f32_e32 v7, v3, v6
	v_add_f32_e32 v3, v13, v17
	v_fma_f32 v4, v4, v8, -v11
	v_fmac_f32_e32 v9, v5, v8
	v_add_f32_e32 v2, v10, v2
	v_add_f32_e32 v3, v3, v7
	s_barrier
	buffer_gl0_inv
	v_add_f32_e32 v2, v2, v4
	v_add_f32_e32 v3, v3, v9
	ds_write_b64 v26, v[2:3]
	s_waitcnt lgkmcnt(0)
	s_barrier
	buffer_gl0_inv
	s_and_saveexec_b32 s3, s2
	s_cbranch_execz .LBB118_96
; %bb.95:
	ds_read2_b64 v[2:5], v25 offset1:1
	ds_read2_b64 v[6:9], v25 offset0:2 offset1:3
	ds_read2_b64 v[10:13], v25 offset0:4 offset1:5
	s_waitcnt lgkmcnt(2)
	v_add_f32_e32 v2, v36, v2
	v_add_f32_e32 v3, v37, v3
	;; [unrolled: 1-line block ×4, first 2 shown]
	ds_read2_b64 v[2:5], v25 offset0:6 offset1:7
	s_waitcnt lgkmcnt(2)
	v_add_f32_e32 v6, v14, v6
	v_add_f32_e32 v7, v15, v7
	v_add_f32_e32 v6, v6, v8
	v_add_f32_e32 v7, v7, v9
	s_waitcnt lgkmcnt(1)
	v_add_f32_e32 v6, v6, v10
	v_add_f32_e32 v7, v7, v11
	v_add_f32_e32 v6, v6, v12
	v_add_f32_e32 v7, v7, v13
	;; [unrolled: 5-line block ×3, first 2 shown]
.LBB118_96:
	s_or_b32 exec_lo, exec_lo, s3
	s_mul_hi_u32 s2, s26, s7
	s_mul_i32 s28, s28, s7
	s_mul_i32 s3, s26, s7
	s_add_i32 s2, s2, s28
	s_mul_hi_u32 s5, s3, s27
	s_mul_i32 s4, s2, s27
	s_mul_i32 s2, s3, s27
	s_add_i32 s3, s5, s4
	s_mul_i32 s4, s26, s6
	s_lshl_b64 s[2:3], s[2:3], 3
	v_cmp_le_i32_e32 vcc_lo, s22, v0
	s_add_u32 s7, s34, s2
	s_addc_u32 s8, s35, s3
	s_ashr_i32 s5, s4, 31
	v_lshlrev_b32_e32 v74, 3, v0
	s_lshl_b64 s[2:3], s[4:5], 3
	s_add_u32 s7, s7, s2
	s_addc_u32 s19, s8, s3
	s_and_b32 vcc_lo, s18, vcc_lo
	s_cmp_lt_i32 s6, 1
	s_barrier
	buffer_gl0_inv
	s_cbranch_scc1 .LBB118_103
; %bb.97:
	v_lshlrev_b32_e32 v4, 2, v1
	v_sub_co_u32 v6, s2, v22, s12
	v_subrev_co_ci_u32_e64 v7, null, s13, v23, s2
	v_mad_u64_u32 v[2:3], null, s16, v4, 0
	v_sub_co_u32 v6, s2, v6, v20
	v_sub_co_ci_u32_e64 v7, null, v7, v21, s2
	s_ashr_i32 s23, s22, 31
	s_mul_i32 s3, s24, s21
	v_mad_u64_u32 v[3:4], null, s17, v4, v[3:4]
	s_lshl_b64 s[8:9], s[22:23], 3
	s_mul_hi_u32 s5, s24, s20
	s_mul_i32 s14, s25, s20
	s_add_i32 s3, s5, s3
	v_lshrrev_b32_e32 v4, 4, v24
	s_add_i32 s5, s3, s14
	v_lshlrev_b64 v[2:3], 3, v[2:3]
	s_mul_i32 s3, s17, 24
	s_mul_hi_u32 s14, s16, 24
	v_and_b32_e32 v5, 15, v0
	s_add_i32 s18, s14, s3
	s_mul_i32 s3, s17, 0x90
	v_add_co_u32 v2, s2, v6, v2
	v_add_co_ci_u32_e64 v3, null, v7, v3, s2
	s_mul_hi_u32 s14, s16, 0x90
	v_add_co_u32 v6, s2, v2, s8
	v_add_co_ci_u32_e64 v7, null, s9, v3, s2
	v_add_co_u32 v2, s2, v2, v74
	v_add_co_ci_u32_e64 v3, null, 0, v3, s2
	v_add_co_u32 v6, s2, 0xfffffef8, v6
	v_add_co_ci_u32_e64 v7, null, -1, v7, s2
	v_add_co_u32 v2, s2, 0xffffff00, v2
	v_add_co_ci_u32_e64 v3, null, -1, v3, s2
	s_add_i32 s21, s14, s3
	s_mul_i32 s3, s17, 0x98
	s_mul_hi_u32 s14, s16, 0x98
	v_cndmask_b32_e32 v41, v3, v7, vcc_lo
	s_add_i32 s23, s14, s3
	s_mul_i32 s3, s17, 0x110
	s_mul_hi_u32 s14, s16, 0x110
	v_cndmask_b32_e32 v40, v2, v6, vcc_lo
	s_add_i32 s27, s14, s3
	s_mul_i32 s3, s17, 0x118
	s_mul_hi_u32 s14, s16, 0x118
	v_and_b32_e32 v2, 48, v0
	v_lshlrev_b32_e32 v3, 5, v4
	s_add_i32 s29, s14, s3
	s_mul_i32 s3, s17, 0x190
	s_mul_hi_u32 s14, s16, 0x190
	s_mul_i32 s4, s24, s20
	s_add_i32 s31, s14, s3
	s_mul_i32 s3, s17, 0x198
	s_mul_hi_u32 s14, s16, 0x198
	v_lshlrev_b32_e32 v2, 3, v2
	v_or_b32_e32 v6, 0x78, v74
	v_mad_u32_u24 v81, 0x218, v5, v3
	v_mul_i32_i24_e32 v3, 0xffffffe8, v4
	s_add_i32 s34, s14, s3
	s_mul_i32 s3, s17, 0x188
	s_mul_hi_u32 s14, s16, 0x188
	s_lshl_b64 s[4:5], s[4:5], 3
	s_add_i32 s36, s14, s3
	s_mul_i32 s3, s17, 0x180
	s_mul_hi_u32 s14, s16, 0x180
	v_sub_co_u32 v75, s2, v18, s4
	s_add_i32 s38, s14, s3
	s_mul_i32 s3, s17, 0x108
	s_mul_hi_u32 s14, s16, 0x108
	v_mov_b32_e32 v39, 0
	v_subrev_co_ci_u32_e64 v76, null, s5, v19, s2
	v_add_nc_u32_e32 v77, 0x2180, v74
	v_lshl_add_u32 v78, v1, 5, 0x2180
	v_add_nc_u32_e32 v79, 0x2380, v74
	v_mad_u32_u24 v80, 0x860, v1, v74
	v_cmp_gt_u32_e64 s2, 64, v24
	v_mad_u32_u24 v82, 0x218, v5, v2
	v_mad_u32_u24 v83, 0x218, v5, v6
	v_add_nc_u32_e32 v84, v81, v3
	s_add_i32 s40, s14, s3
	s_mul_i32 s3, s17, 0x88
	s_mul_hi_u32 s14, s16, 0x88
	s_lshl_b64 s[4:5], s[16:17], 3
	s_lshl_b64 s[8:9], s[16:17], 9
	;; [unrolled: 1-line block ×3, first 2 shown]
	s_mul_i32 s20, s16, 24
	s_mul_i32 s22, s16, 0x90
	;; [unrolled: 1-line block ×10, first 2 shown]
	s_add_i32 s42, s14, s3
	s_mul_i32 s43, s16, 0x88
	s_lshl_b64 s[14:15], s[16:17], 7
	s_mov_b32 s16, 0
	s_branch .LBB118_99
.LBB118_98:                             ;   in Loop: Header=BB118_99 Depth=1
	s_or_b32 exec_lo, exec_lo, s17
	v_mul_f32_e32 v38, v7, v43
	v_mul_f32_e32 v7, v7, v42
	;; [unrolled: 1-line block ×5, first 2 shown]
	v_fma_f32 v38, v6, v42, -v38
	v_fmac_f32_e32 v7, v6, v43
	v_fma_f32 v48, v8, v48, -v85
	v_mul_f32_e32 v3, v3, v46
	v_mul_f32_e32 v42, v5, v45
	v_add_f32_e32 v36, v36, v38
	v_fma_f32 v6, v2, v46, -v86
	v_fmac_f32_e32 v9, v8, v49
	v_add_f32_e32 v7, v37, v7
	v_mul_f32_e32 v5, v5, v44
	v_add_f32_e32 v36, v36, v48
	v_mul_f32_e32 v38, v15, v57
	v_fma_f32 v8, v4, v44, -v42
	v_fmac_f32_e32 v3, v2, v47
	v_add_f32_e32 v2, v7, v9
	v_add_f32_e32 v6, v36, v6
	v_mul_f32_e32 v15, v15, v56
	v_mul_f32_e32 v43, v17, v55
	v_fma_f32 v7, v14, v56, -v38
	v_fmac_f32_e32 v5, v4, v45
	v_add_f32_e32 v6, v6, v8
	v_add_f32_e32 v2, v2, v3
	v_mul_f32_e32 v17, v17, v54
	v_mul_f32_e32 v8, v11, v53
	v_fma_f32 v3, v16, v54, -v43
	v_add_f32_e32 v4, v6, v7
	v_fmac_f32_e32 v15, v14, v57
	v_add_f32_e32 v2, v2, v5
	v_mul_f32_e32 v6, v13, v51
	v_fma_f32 v5, v10, v52, -v8
	v_add_f32_e32 v3, v4, v3
	v_mul_f32_e32 v4, v11, v52
	v_fmac_f32_e32 v17, v16, v55
	v_add_f32_e32 v2, v2, v15
	v_fma_f32 v6, v12, v50, -v6
	v_add_f32_e32 v3, v3, v5
	v_mul_f32_e32 v5, v23, v65
	v_fmac_f32_e32 v4, v10, v53
	v_add_f32_e32 v2, v2, v17
	v_mul_f32_e32 v7, v13, v50
	v_add_f32_e32 v3, v3, v6
	v_fma_f32 v5, v22, v64, -v5
	v_mul_f32_e32 v6, v25, v63
	v_add_f32_e32 v2, v2, v4
	v_fmac_f32_e32 v7, v12, v51
	v_mul_f32_e32 v4, v23, v64
	v_add_f32_e32 v3, v3, v5
	v_fma_f32 v5, v24, v62, -v6
	v_mul_f32_e32 v6, v19, v61
	v_add_f32_e32 v2, v2, v7
	v_fmac_f32_e32 v4, v22, v65
	;; [unrolled: 6-line block ×4, first 2 shown]
	v_mul_f32_e32 v7, v21, v58
	v_add_f32_e32 v3, v3, v5
	v_mul_f32_e32 v5, v33, v71
	v_mul_f32_e32 v8, v29, v66
	v_add_f32_e32 v2, v2, v4
	v_fma_f32 v4, v30, v72, -v6
	v_fmac_f32_e32 v7, v20, v59
	v_mul_f32_e32 v6, v31, v72
	v_fmac_f32_e32 v8, v28, v67
	v_add_co_u32 v40, s3, v40, s8
	v_add_f32_e32 v3, v3, v4
	v_fma_f32 v4, v32, v70, -v5
	v_add_f32_e32 v2, v2, v7
	v_mul_f32_e32 v5, v33, v70
	v_fmac_f32_e32 v6, v30, v73
	v_mul_f32_e32 v7, v27, v69
	v_add_f32_e32 v3, v3, v4
	v_mul_f32_e32 v4, v27, v68
	v_fmac_f32_e32 v5, v32, v71
	v_add_f32_e32 v2, v2, v6
	v_fma_f32 v6, v26, v68, -v7
	v_mul_f32_e32 v7, v29, v67
	v_fmac_f32_e32 v4, v26, v69
	v_add_co_ci_u32_e64 v41, null, s9, v41, s3
	v_add_f32_e32 v2, v2, v5
	v_add_f32_e32 v3, v3, v6
	v_fma_f32 v5, v28, v66, -v7
	s_add_i32 s6, s6, -1
	s_add_i32 s16, s16, 64
	v_add_f32_e32 v2, v2, v4
	s_cmp_eq_u32 s6, 0
	v_add_f32_e32 v36, v3, v5
	s_waitcnt_vscnt null, 0x0
	s_barrier
	v_add_f32_e32 v37, v2, v8
	buffer_gl0_inv
	s_cbranch_scc1 .LBB118_103
.LBB118_99:                             ; =>This Inner Loop Header: Depth=1
	s_and_saveexec_b32 s17, s1
	s_cbranch_execz .LBB118_101
; %bb.100:                              ;   in Loop: Header=BB118_99 Depth=1
	s_mul_i32 s3, s25, s16
	s_mul_hi_u32 s45, s24, s16
	s_mul_i32 s44, s24, s16
	s_add_i32 s45, s45, s3
	s_lshl_b64 s[44:45], s[44:45], 3
	v_add_co_u32 v2, s3, v75, s44
	v_add_co_ci_u32_e64 v3, null, s45, v76, s3
	global_load_dwordx2 v[2:3], v[2:3], off
	s_waitcnt vmcnt(0)
	ds_write_b64 v77, v[2:3]
.LBB118_101:                            ;   in Loop: Header=BB118_99 Depth=1
	s_or_b32 exec_lo, exec_lo, s17
	v_add_co_u32 v2, s3, v40, s4
	v_add_co_ci_u32_e64 v3, null, s5, v41, s3
	v_add_co_u32 v4, s3, v40, s12
	v_add_co_ci_u32_e64 v5, null, s13, v41, s3
	;; [unrolled: 2-line block ×3, first 2 shown]
	s_waitcnt lgkmcnt(0)
	s_barrier
	buffer_gl0_inv
	s_clause 0x3
	global_load_dwordx2 v[42:43], v[40:41], off
	global_load_dwordx2 v[48:49], v[2:3], off
	;; [unrolled: 1-line block ×4, first 2 shown]
	ds_read_b64 v[10:11], v79
	ds_read_b128 v[6:9], v78
	ds_read_b128 v[2:5], v78 offset:16
	v_add_co_u32 v12, s3, v40, s14
	v_add_co_ci_u32_e64 v13, null, s15, v41, s3
	v_add_co_u32 v16, s3, v40, s43
	v_add_co_ci_u32_e64 v17, null, s42, v41, s3
	s_waitcnt vmcnt(2) lgkmcnt(2)
	v_mul_f32_e32 v18, v11, v49
	v_mul_f32_e32 v14, v11, v43
	v_mul_f32_e32 v15, v11, v42
	v_mul_f32_e32 v19, v11, v48
	s_waitcnt vmcnt(1)
	v_mul_f32_e32 v20, v11, v47
	v_mul_f32_e32 v21, v11, v46
	s_waitcnt vmcnt(0)
	v_mul_f32_e32 v22, v11, v45
	v_mul_f32_e32 v23, v10, v45
	v_fma_f32 v14, v10, v42, -v14
	v_fmac_f32_e32 v15, v10, v43
	v_fma_f32 v18, v10, v48, -v18
	v_fmac_f32_e32 v19, v10, v49
	;; [unrolled: 2-line block ×4, first 2 shown]
	v_add_co_u32 v10, s3, v40, s22
	v_add_co_ci_u32_e64 v11, null, s21, v41, s3
	ds_write2_b64 v80, v[14:15], v[18:19] offset1:67
	ds_write2_b64 v80, v[20:21], v[22:23] offset0:134 offset1:201
	s_waitcnt lgkmcnt(0)
	s_barrier
	buffer_gl0_inv
	ds_read2_b64 v[85:88], v81 offset1:1
	ds_read2_b64 v[89:92], v81 offset0:2 offset1:3
	s_waitcnt lgkmcnt(0)
	s_barrier
	buffer_gl0_inv
	global_load_dwordx2 v[56:57], v[12:13], off
	v_add_co_u32 v12, s3, v40, s26
	v_add_co_ci_u32_e64 v13, null, s23, v41, s3
	s_clause 0x2
	global_load_dwordx2 v[54:55], v[16:17], off
	global_load_dwordx2 v[52:53], v[10:11], off
	;; [unrolled: 1-line block ×3, first 2 shown]
	ds_read_b64 v[10:11], v79
	v_add_co_u32 v18, s3, v40, s10
	v_add_co_ci_u32_e64 v19, null, s11, v41, s3
	v_add_co_u32 v20, s3, v40, s41
	v_add_co_ci_u32_e64 v21, null, s40, v41, s3
	;; [unrolled: 2-line block ×4, first 2 shown]
	v_add_f32_e32 v38, 0, v85
	v_add_f32_e32 v85, 0, v86
	;; [unrolled: 1-line block ×8, first 2 shown]
	s_waitcnt vmcnt(3) lgkmcnt(0)
	v_mul_f32_e32 v12, v11, v57
	v_mul_f32_e32 v25, v11, v56
	s_waitcnt vmcnt(2)
	v_mul_f32_e32 v13, v11, v55
	v_mul_f32_e32 v27, v11, v54
	s_waitcnt vmcnt(1)
	;; [unrolled: 3-line block ×3, first 2 shown]
	v_mul_f32_e32 v15, v11, v51
	v_mul_f32_e32 v31, v10, v51
	v_fma_f32 v24, v10, v56, -v12
	v_fmac_f32_e32 v25, v10, v57
	v_fma_f32 v26, v10, v54, -v13
	v_fmac_f32_e32 v27, v10, v55
	;; [unrolled: 2-line block ×4, first 2 shown]
	ds_read_b128 v[14:17], v78 offset:128
	ds_read_b128 v[10:13], v78 offset:144
	ds_write2_b64 v80, v[24:25], v[26:27] offset1:67
	ds_write2_b64 v80, v[28:29], v[30:31] offset0:134 offset1:201
	s_waitcnt lgkmcnt(0)
	s_barrier
	buffer_gl0_inv
	ds_read2_b64 v[93:96], v81 offset1:1
	ds_read2_b64 v[97:100], v81 offset0:2 offset1:3
	s_waitcnt lgkmcnt(0)
	s_barrier
	buffer_gl0_inv
	s_clause 0x3
	global_load_dwordx2 v[64:65], v[18:19], off
	global_load_dwordx2 v[62:63], v[20:21], off
	;; [unrolled: 1-line block ×4, first 2 shown]
	ds_read_b64 v[18:19], v79
	v_add_co_u32 v26, s3, v40, s39
	v_add_co_ci_u32_e64 v27, null, s38, v41, s3
	v_add_co_u32 v28, s3, v40, s37
	v_add_co_ci_u32_e64 v29, null, s36, v41, s3
	v_add_co_u32 v109, s3, v40, s33
	v_add_co_ci_u32_e64 v110, null, s31, v41, s3
	v_add_f32_e32 v93, 0, v93
	v_add_f32_e32 v94, 0, v94
	;; [unrolled: 1-line block ×7, first 2 shown]
	s_waitcnt vmcnt(3) lgkmcnt(0)
	v_mul_f32_e32 v20, v19, v65
	v_mul_f32_e32 v31, v19, v64
	s_waitcnt vmcnt(2)
	v_mul_f32_e32 v21, v19, v63
	v_mul_f32_e32 v33, v19, v62
	s_waitcnt vmcnt(1)
	v_mul_f32_e32 v22, v19, v61
	s_waitcnt vmcnt(0)
	v_mul_f32_e32 v23, v19, v59
	v_mul_f32_e32 v67, v19, v60
	;; [unrolled: 1-line block ×3, first 2 shown]
	v_fma_f32 v30, v18, v64, -v20
	v_fma_f32 v32, v18, v62, -v21
	v_fmac_f32_e32 v31, v18, v65
	v_fmac_f32_e32 v33, v18, v63
	v_fma_f32 v66, v18, v60, -v22
	v_fma_f32 v68, v18, v58, -v23
	v_fmac_f32_e32 v67, v18, v61
	v_fmac_f32_e32 v69, v19, v58
	ds_read_b128 v[22:25], v78 offset:256
	ds_read_b128 v[18:21], v78 offset:272
	ds_write2_b64 v80, v[30:31], v[32:33] offset1:67
	ds_write2_b64 v80, v[66:67], v[68:69] offset0:134 offset1:201
	s_waitcnt lgkmcnt(0)
	s_barrier
	buffer_gl0_inv
	ds_read2_b64 v[101:104], v81 offset1:1
	ds_read2_b64 v[105:108], v81 offset0:2 offset1:3
	s_waitcnt lgkmcnt(0)
	s_barrier
	buffer_gl0_inv
	global_load_dwordx2 v[72:73], v[26:27], off
	v_add_co_u32 v26, s3, v40, s35
	v_add_co_ci_u32_e64 v27, null, s34, v41, s3
	s_clause 0x2
	global_load_dwordx2 v[70:71], v[28:29], off
	global_load_dwordx2 v[68:69], v[109:110], off
	;; [unrolled: 1-line block ×3, first 2 shown]
	ds_read_b64 v[26:27], v79
	v_add_f32_e32 v92, 0, v101
	v_add_f32_e32 v93, 0, v102
	;; [unrolled: 1-line block ×7, first 2 shown]
	s_waitcnt vmcnt(3) lgkmcnt(0)
	v_mul_f32_e32 v28, v27, v73
	v_mul_f32_e32 v110, v27, v72
	s_waitcnt vmcnt(2)
	v_mul_f32_e32 v29, v27, v71
	v_mul_f32_e32 v112, v27, v70
	s_waitcnt vmcnt(1)
	;; [unrolled: 3-line block ×3, first 2 shown]
	v_mul_f32_e32 v31, v27, v67
	v_mul_f32_e32 v116, v26, v67
	v_fma_f32 v109, v26, v72, -v28
	v_fma_f32 v111, v26, v70, -v29
	v_fmac_f32_e32 v110, v26, v73
	v_fmac_f32_e32 v112, v26, v71
	v_fma_f32 v113, v26, v68, -v30
	v_fma_f32 v115, v26, v66, -v31
	v_fmac_f32_e32 v114, v26, v69
	v_fmac_f32_e32 v116, v27, v66
	ds_read_b128 v[30:33], v78 offset:384
	ds_read_b128 v[26:29], v78 offset:400
	ds_write2_b64 v80, v[109:110], v[111:112] offset1:67
	ds_write2_b64 v80, v[113:114], v[115:116] offset0:134 offset1:201
	s_waitcnt lgkmcnt(0)
	s_barrier
	buffer_gl0_inv
	ds_read2_b64 v[109:112], v81 offset1:1
	ds_read2_b64 v[85:88], v81 offset0:2 offset1:3
	s_waitcnt lgkmcnt(0)
	s_barrier
	buffer_gl0_inv
	v_add_f32_e32 v94, 0, v109
	v_add_f32_e32 v95, 0, v110
	v_add_f32_e32 v94, v94, v111
	v_add_f32_e32 v95, v95, v112
	v_add_f32_e32 v94, v94, v85
	v_add_f32_e32 v95, v95, v86
	v_add_f32_e32 v85, v96, v107
	v_add_f32_e32 v86, v93, v108
	v_add_f32_e32 v87, v94, v87
	v_add_f32_e32 v88, v95, v88
	ds_write2_b64 v84, v[89:90], v[91:92] offset1:16
	ds_write2_b64 v84, v[85:86], v[87:88] offset0:32 offset1:48
	s_waitcnt lgkmcnt(0)
	s_barrier
	buffer_gl0_inv
	s_and_saveexec_b32 s17, s2
	s_cbranch_execz .LBB118_98
; %bb.102:                              ;   in Loop: Header=BB118_99 Depth=1
	ds_read_b64 v[97:98], v82
	ds_read2_b64 v[85:88], v82 offset0:1 offset1:2
	ds_read2_b64 v[89:92], v82 offset0:3 offset1:4
	;; [unrolled: 1-line block ×3, first 2 shown]
	s_waitcnt lgkmcnt(2)
	v_add_f32_e32 v38, v85, v97
	v_add_f32_e32 v85, v86, v98
	v_add_f32_e32 v38, v87, v38
	v_add_f32_e32 v97, v88, v85
	ds_read2_b64 v[85:88], v82 offset0:7 offset1:8
	s_waitcnt lgkmcnt(2)
	v_add_f32_e32 v38, v38, v89
	v_add_f32_e32 v89, v97, v90
	v_add_f32_e32 v38, v38, v91
	v_add_f32_e32 v97, v89, v92
	ds_read2_b64 v[89:92], v82 offset0:9 offset1:10
	;; [unrolled: 6-line block ×4, first 2 shown]
	s_waitcnt lgkmcnt(2)
	v_add_f32_e32 v38, v38, v89
	v_add_f32_e32 v89, v97, v90
	;; [unrolled: 1-line block ×4, first 2 shown]
	ds_read_b64 v[89:90], v83
	s_waitcnt lgkmcnt(2)
	v_add_f32_e32 v38, v38, v93
	v_add_f32_e32 v91, v91, v94
	;; [unrolled: 1-line block ×4, first 2 shown]
	s_waitcnt lgkmcnt(1)
	v_add_f32_e32 v85, v38, v85
	v_add_f32_e32 v86, v91, v86
	v_add_nc_u32_e32 v38, s16, v0
	v_add_f32_e32 v87, v85, v87
	v_add_f32_e32 v88, v86, v88
	v_lshlrev_b64 v[85:86], 3, v[38:39]
	s_waitcnt lgkmcnt(0)
	v_add_f32_e32 v87, v87, v89
	v_add_f32_e32 v88, v88, v90
	v_add_co_u32 v85, s3, s7, v85
	v_add_co_ci_u32_e64 v86, null, s19, v86, s3
	global_store_dwordx2 v[85:86], v[87:88], off
	s_branch .LBB118_98
.LBB118_103:
	v_mad_u32_u24 v0, 0x218, v1, v74
	s_nor_b32 s0, s0, vcc_lo
	ds_write_b64 v0, v[36:37]
	s_waitcnt lgkmcnt(0)
	s_barrier
	buffer_gl0_inv
	s_and_saveexec_b32 s1, s0
	s_cbranch_execz .LBB118_105
; %bb.104:
	ds_read2_b64 v[0:3], v74 offset1:67
	ds_read2_b64 v[4:7], v74 offset0:134 offset1:201
	s_waitcnt lgkmcnt(1)
	v_add_f32_e32 v0, v2, v0
	v_add_f32_e32 v1, v3, v1
	s_waitcnt lgkmcnt(0)
	v_add_f32_e32 v2, v4, v0
	v_add_f32_e32 v3, v5, v1
	v_lshlrev_b64 v[0:1], 3, v[34:35]
	v_add_f32_e32 v2, v2, v6
	v_add_f32_e32 v3, v3, v7
	v_add_co_u32 v0, vcc_lo, s7, v0
	v_add_co_ci_u32_e64 v1, null, s19, v1, vcc_lo
	global_store_dwordx2 v[0:1], v[2:3], off
.LBB118_105:
	s_endpgm
	.section	.rodata,"a",@progbits
	.p2align	6, 0x0
	.amdhsa_kernel _ZL26rocblas_hemvn_kernel_lowerILb0ELi64ELi4ELi33ELi32ELi16ElPK19rocblas_complex_numIfES3_PS1_EviT6_lT7_lT5_lS6_lS7_lS5_lT8_i
		.amdhsa_group_segment_fixed_size 9600
		.amdhsa_private_segment_fixed_size 0
		.amdhsa_kernarg_size 376
		.amdhsa_user_sgpr_count 6
		.amdhsa_user_sgpr_private_segment_buffer 1
		.amdhsa_user_sgpr_dispatch_ptr 0
		.amdhsa_user_sgpr_queue_ptr 0
		.amdhsa_user_sgpr_kernarg_segment_ptr 1
		.amdhsa_user_sgpr_dispatch_id 0
		.amdhsa_user_sgpr_flat_scratch_init 0
		.amdhsa_user_sgpr_private_segment_size 0
		.amdhsa_wavefront_size32 1
		.amdhsa_uses_dynamic_stack 0
		.amdhsa_system_sgpr_private_segment_wavefront_offset 0
		.amdhsa_system_sgpr_workgroup_id_x 1
		.amdhsa_system_sgpr_workgroup_id_y 0
		.amdhsa_system_sgpr_workgroup_id_z 1
		.amdhsa_system_sgpr_workgroup_info 0
		.amdhsa_system_vgpr_workitem_id 1
		.amdhsa_next_free_vgpr 117
		.amdhsa_next_free_sgpr 46
		.amdhsa_reserve_vcc 1
		.amdhsa_reserve_flat_scratch 0
		.amdhsa_float_round_mode_32 0
		.amdhsa_float_round_mode_16_64 0
		.amdhsa_float_denorm_mode_32 3
		.amdhsa_float_denorm_mode_16_64 3
		.amdhsa_dx10_clamp 1
		.amdhsa_ieee_mode 1
		.amdhsa_fp16_overflow 0
		.amdhsa_workgroup_processor_mode 1
		.amdhsa_memory_ordered 1
		.amdhsa_forward_progress 1
		.amdhsa_shared_vgpr_count 0
		.amdhsa_exception_fp_ieee_invalid_op 0
		.amdhsa_exception_fp_denorm_src 0
		.amdhsa_exception_fp_ieee_div_zero 0
		.amdhsa_exception_fp_ieee_overflow 0
		.amdhsa_exception_fp_ieee_underflow 0
		.amdhsa_exception_fp_ieee_inexact 0
		.amdhsa_exception_int_div_zero 0
	.end_amdhsa_kernel
	.section	.text._ZL26rocblas_hemvn_kernel_lowerILb0ELi64ELi4ELi33ELi32ELi16ElPK19rocblas_complex_numIfES3_PS1_EviT6_lT7_lT5_lS6_lS7_lS5_lT8_i,"axG",@progbits,_ZL26rocblas_hemvn_kernel_lowerILb0ELi64ELi4ELi33ELi32ELi16ElPK19rocblas_complex_numIfES3_PS1_EviT6_lT7_lT5_lS6_lS7_lS5_lT8_i,comdat
.Lfunc_end118:
	.size	_ZL26rocblas_hemvn_kernel_lowerILb0ELi64ELi4ELi33ELi32ELi16ElPK19rocblas_complex_numIfES3_PS1_EviT6_lT7_lT5_lS6_lS7_lS5_lT8_i, .Lfunc_end118-_ZL26rocblas_hemvn_kernel_lowerILb0ELi64ELi4ELi33ELi32ELi16ElPK19rocblas_complex_numIfES3_PS1_EviT6_lT7_lT5_lS6_lS7_lS5_lT8_i
                                        ; -- End function
	.set _ZL26rocblas_hemvn_kernel_lowerILb0ELi64ELi4ELi33ELi32ELi16ElPK19rocblas_complex_numIfES3_PS1_EviT6_lT7_lT5_lS6_lS7_lS5_lT8_i.num_vgpr, 117
	.set _ZL26rocblas_hemvn_kernel_lowerILb0ELi64ELi4ELi33ELi32ELi16ElPK19rocblas_complex_numIfES3_PS1_EviT6_lT7_lT5_lS6_lS7_lS5_lT8_i.num_agpr, 0
	.set _ZL26rocblas_hemvn_kernel_lowerILb0ELi64ELi4ELi33ELi32ELi16ElPK19rocblas_complex_numIfES3_PS1_EviT6_lT7_lT5_lS6_lS7_lS5_lT8_i.numbered_sgpr, 46
	.set _ZL26rocblas_hemvn_kernel_lowerILb0ELi64ELi4ELi33ELi32ELi16ElPK19rocblas_complex_numIfES3_PS1_EviT6_lT7_lT5_lS6_lS7_lS5_lT8_i.num_named_barrier, 0
	.set _ZL26rocblas_hemvn_kernel_lowerILb0ELi64ELi4ELi33ELi32ELi16ElPK19rocblas_complex_numIfES3_PS1_EviT6_lT7_lT5_lS6_lS7_lS5_lT8_i.private_seg_size, 0
	.set _ZL26rocblas_hemvn_kernel_lowerILb0ELi64ELi4ELi33ELi32ELi16ElPK19rocblas_complex_numIfES3_PS1_EviT6_lT7_lT5_lS6_lS7_lS5_lT8_i.uses_vcc, 1
	.set _ZL26rocblas_hemvn_kernel_lowerILb0ELi64ELi4ELi33ELi32ELi16ElPK19rocblas_complex_numIfES3_PS1_EviT6_lT7_lT5_lS6_lS7_lS5_lT8_i.uses_flat_scratch, 0
	.set _ZL26rocblas_hemvn_kernel_lowerILb0ELi64ELi4ELi33ELi32ELi16ElPK19rocblas_complex_numIfES3_PS1_EviT6_lT7_lT5_lS6_lS7_lS5_lT8_i.has_dyn_sized_stack, 0
	.set _ZL26rocblas_hemvn_kernel_lowerILb0ELi64ELi4ELi33ELi32ELi16ElPK19rocblas_complex_numIfES3_PS1_EviT6_lT7_lT5_lS6_lS7_lS5_lT8_i.has_recursion, 0
	.set _ZL26rocblas_hemvn_kernel_lowerILb0ELi64ELi4ELi33ELi32ELi16ElPK19rocblas_complex_numIfES3_PS1_EviT6_lT7_lT5_lS6_lS7_lS5_lT8_i.has_indirect_call, 0
	.section	.AMDGPU.csdata,"",@progbits
; Kernel info:
; codeLenInByte = 7948
; TotalNumSgprs: 48
; NumVgprs: 117
; ScratchSize: 0
; MemoryBound: 1
; FloatMode: 240
; IeeeMode: 1
; LDSByteSize: 9600 bytes/workgroup (compile time only)
; SGPRBlocks: 0
; VGPRBlocks: 14
; NumSGPRsForWavesPerEU: 48
; NumVGPRsForWavesPerEU: 117
; Occupancy: 8
; WaveLimiterHint : 0
; COMPUTE_PGM_RSRC2:SCRATCH_EN: 0
; COMPUTE_PGM_RSRC2:USER_SGPR: 6
; COMPUTE_PGM_RSRC2:TRAP_HANDLER: 0
; COMPUTE_PGM_RSRC2:TGID_X_EN: 1
; COMPUTE_PGM_RSRC2:TGID_Y_EN: 0
; COMPUTE_PGM_RSRC2:TGID_Z_EN: 1
; COMPUTE_PGM_RSRC2:TIDIG_COMP_CNT: 1
	.section	.text._ZL26rocblas_hemvn_kernel_lowerILb0ELi64ELi4ELi33ELi32ELi16EiPK19rocblas_complex_numIfES3_PS1_EviT6_lT7_lT5_lS6_lS7_lS5_lT8_i,"axG",@progbits,_ZL26rocblas_hemvn_kernel_lowerILb0ELi64ELi4ELi33ELi32ELi16EiPK19rocblas_complex_numIfES3_PS1_EviT6_lT7_lT5_lS6_lS7_lS5_lT8_i,comdat
	.globl	_ZL26rocblas_hemvn_kernel_lowerILb0ELi64ELi4ELi33ELi32ELi16EiPK19rocblas_complex_numIfES3_PS1_EviT6_lT7_lT5_lS6_lS7_lS5_lT8_i ; -- Begin function _ZL26rocblas_hemvn_kernel_lowerILb0ELi64ELi4ELi33ELi32ELi16EiPK19rocblas_complex_numIfES3_PS1_EviT6_lT7_lT5_lS6_lS7_lS5_lT8_i
	.p2align	8
	.type	_ZL26rocblas_hemvn_kernel_lowerILb0ELi64ELi4ELi33ELi32ELi16EiPK19rocblas_complex_numIfES3_PS1_EviT6_lT7_lT5_lS6_lS7_lS5_lT8_i,@function
_ZL26rocblas_hemvn_kernel_lowerILb0ELi64ELi4ELi33ELi32ELi16EiPK19rocblas_complex_numIfES3_PS1_EviT6_lT7_lT5_lS6_lS7_lS5_lT8_i: ; @_ZL26rocblas_hemvn_kernel_lowerILb0ELi64ELi4ELi33ELi32ELi16EiPK19rocblas_complex_numIfES3_PS1_EviT6_lT7_lT5_lS6_lS7_lS5_lT8_i
; %bb.0:
	s_load_dwordx2 s[2:3], s[4:5], 0x84
	s_add_u32 s0, s4, 0x78
	s_addc_u32 s1, s5, 0
	s_waitcnt lgkmcnt(0)
	s_lshr_b32 s8, s2, 16
	s_and_b32 s2, s2, 0xffff
	s_and_b32 s3, s3, 0xffff
	s_mul_i32 s2, s8, s2
	s_mul_i32 s2, s2, s3
	s_cmpk_lg_i32 s2, 0x100
	s_cbranch_scc1 .LBB119_105
; %bb.1:
	s_load_dwordx8 s[12:19], s[4:5], 0x8
	v_mov_b32_e32 v2, v1
	s_waitcnt lgkmcnt(0)
	s_mul_i32 s2, s15, s7
	s_mul_hi_u32 s3, s14, s7
	s_add_i32 s3, s3, s2
	s_mul_i32 s2, s14, s7
	s_lshl_b64 s[2:3], s[2:3], 3
	s_add_u32 s2, s12, s2
	s_addc_u32 s3, s13, s3
	s_load_dwordx2 s[2:3], s[2:3], 0x0
	s_load_dwordx8 s[8:15], s[4:5], 0x50
	s_waitcnt lgkmcnt(0)
	s_or_b32 s2, s2, s3
	s_mov_b32 s3, -1
	s_bitset0_b32 s2, 31
	s_cmp_lg_u32 s2, 0
	s_cselect_b32 s2, -1, 0
	s_and_b32 vcc_lo, exec_lo, s2
	s_cbranch_vccnz .LBB119_3
; %bb.2:
	s_mul_i32 s3, s13, s7
	s_mul_hi_u32 s13, s12, s7
	s_mul_i32 s12, s12, s7
	s_add_i32 s13, s13, s3
	s_lshl_b64 s[12:13], s[12:13], 3
	s_add_u32 s10, s10, s12
	s_addc_u32 s11, s11, s13
	s_load_dwordx2 s[10:11], s[10:11], 0x0
	s_waitcnt lgkmcnt(0)
	v_cmp_neq_f32_e64 s3, s10, 1.0
	v_cmp_neq_f32_e64 s10, s11, 0
	s_or_b32 s3, s3, s10
.LBB119_3:
	s_andn2_b32 vcc_lo, exec_lo, s3
	s_cbranch_vccnz .LBB119_105
; %bb.4:
	s_andn2_b32 vcc_lo, exec_lo, s2
	s_cbranch_vccnz .LBB119_105
; %bb.5:
	s_clause 0x2
	s_load_dwordx4 s[20:23], s[4:5], 0x30
	s_load_dwordx2 s[2:3], s[4:5], 0x40
	s_load_dword s24, s[4:5], 0x48
	s_mul_i32 s9, s9, s7
	s_mul_hi_u32 s10, s8, s7
	s_mul_i32 s8, s8, s7
	s_add_i32 s9, s10, s9
	s_load_dword s25, s[4:5], 0x0
	s_lshl_b64 s[8:9], s[8:9], 3
	s_load_dword s26, s[0:1], 0x0
	s_waitcnt lgkmcnt(0)
	s_add_u32 s8, s22, s8
	s_addc_u32 s9, s23, s9
	s_lshl_b64 s[2:3], s[2:3], 3
	s_add_u32 s2, s8, s2
	s_addc_u32 s3, s9, s3
	s_lshl_b32 s12, s6, 6
	s_ashr_i32 s27, s25, 31
	v_add_nc_u32_e32 v35, s12, v0
	s_lshr_b32 s0, s27, 26
	s_add_i32 s8, s26, -1
	s_add_i32 s1, s25, s0
	v_cmp_ne_u32_e64 s0, 0, v2
	v_mul_lo_u32 v3, s24, v35
	s_andn2_b32 s1, s1, 63
	s_sub_i32 s9, s25, s1
	v_cmp_eq_u32_e64 s1, 0, v2
	s_cmp_eq_u32 s6, s8
	s_cselect_b32 s22, s9, 0
	v_ashrrev_i32_e32 v4, 31, v3
	v_lshlrev_b64 v[3:4], 3, v[3:4]
	v_add_co_u32 v19, vcc_lo, s2, v3
	v_add_co_ci_u32_e64 v20, null, s3, v4, vcc_lo
	s_mov_b32 s2, -1
	s_and_saveexec_b32 s3, s1
	s_cbranch_execz .LBB119_10
; %bb.6:
	v_cmp_le_i32_e32 vcc_lo, s22, v0
	s_cmp_lg_u32 s22, 0
	v_lshl_add_u32 v1, v0, 3, 0x2380
	s_cselect_b32 s8, -1, 0
	s_and_b32 s8, s8, vcc_lo
	s_and_saveexec_b32 s9, s8
	s_xor_b32 s8, exec_lo, s9
; %bb.7:
	v_mov_b32_e32 v3, 0
	v_mov_b32_e32 v4, v3
	ds_write_b64 v1, v[3:4]
                                        ; implicit-def: $vgpr1
; %bb.8:
	s_andn2_saveexec_b32 s8, s8
	s_cbranch_execz .LBB119_10
; %bb.9:
	global_load_dwordx2 v[3:4], v[19:20], off
	s_waitcnt vmcnt(0)
	ds_write_b64 v1, v[3:4]
.LBB119_10:
	s_or_b32 exec_lo, exec_lo, s3
	s_load_dword s10, s[4:5], 0x28
	v_lshl_add_u32 v25, v2, 6, v0
	v_and_b32_e32 v1, 31, v0
	s_mul_i32 s3, s21, s7
	s_mul_hi_u32 s5, s20, s7
	s_mul_i32 s4, s20, s7
	v_lshrrev_b32_e32 v7, 5, v25
	s_add_i32 s5, s5, s3
	s_lshl_b64 s[4:5], s[4:5], 3
	s_add_u32 s3, s16, s4
	s_addc_u32 s8, s17, s5
	s_lshl_b64 s[4:5], s[18:19], 3
	s_add_u32 s3, s3, s4
	s_addc_u32 s8, s8, s5
	s_ashr_i32 s13, s12, 31
	s_lshl_b64 s[4:5], s[12:13], 3
	s_waitcnt lgkmcnt(0)
	v_mad_u64_u32 v[3:4], null, s10, v7, v[1:2]
	s_add_u32 s3, s3, s4
	s_mul_i32 s4, s10, s12
	s_addc_u32 s8, s8, s5
	s_ashr_i32 s5, s4, 31
	s_lshl_b64 s[16:17], s[4:5], 3
	v_ashrrev_i32_e32 v4, 31, v3
	s_cmp_lg_u32 s22, 0
	s_cselect_b32 s13, -1, 0
	s_cmp_eq_u32 s22, 0
	v_lshlrev_b64 v[21:22], 3, v[3:4]
	s_cselect_b32 s9, -1, 0
	v_add_co_u32 v3, vcc_lo, s3, v21
	v_add_co_ci_u32_e64 v4, null, s8, v22, vcc_lo
	v_add_co_u32 v3, vcc_lo, v3, s16
	v_add_co_ci_u32_e64 v4, null, s17, v4, vcc_lo
	s_and_b32 vcc_lo, exec_lo, s13
	s_cbranch_vccnz .LBB119_12
; %bb.11:
	s_lshl_b32 s2, s10, 3
	s_ashr_i32 s11, s10, 31
	s_ashr_i32 s3, s2, 31
	v_mul_u32_u24_e32 v14, 0x108, v7
	s_lshl_b64 s[2:3], s[2:3], 3
	v_add_co_u32 v5, vcc_lo, v3, s2
	v_add_co_ci_u32_e64 v6, null, s3, v4, vcc_lo
	s_lshl_b64 s[2:3], s[10:11], 6
	v_lshl_add_u32 v14, v1, 3, v14
	v_add_co_u32 v8, vcc_lo, v5, s2
	v_add_co_ci_u32_e64 v9, null, s3, v6, vcc_lo
	v_add_co_u32 v10, vcc_lo, v8, s2
	v_add_co_ci_u32_e64 v11, null, s3, v9, vcc_lo
	s_clause 0x3
	global_load_dwordx2 v[12:13], v[3:4], off
	global_load_dwordx2 v[5:6], v[5:6], off
	;; [unrolled: 1-line block ×4, first 2 shown]
	s_mov_b32 s2, 0
	s_waitcnt vmcnt(3)
	ds_write_b64 v14, v[12:13]
	s_waitcnt vmcnt(2)
	ds_write_b64 v14, v[5:6] offset:2112
	s_waitcnt vmcnt(1)
	ds_write_b64 v14, v[8:9] offset:4224
	;; [unrolled: 2-line block ×3, first 2 shown]
.LBB119_12:
	v_lshlrev_b32_e32 v8, 3, v1
	s_andn2_b32 vcc_lo, exec_lo, s2
	s_cbranch_vccnz .LBB119_30
; %bb.13:
	v_sub_co_u32 v5, vcc_lo, v3, v8
	s_ashr_i32 s23, s22, 31
	v_subrev_co_ci_u32_e64 v6, null, 0, v4, vcc_lo
	s_lshl_b64 s[4:5], s[22:23], 3
	v_cmp_le_i32_e64 s2, s22, v7
	v_add_co_u32 v5, vcc_lo, v5, s4
	v_add_co_ci_u32_e64 v6, null, s5, v6, vcc_lo
	v_mul_u32_u24_e32 v9, 0x108, v7
	v_add_co_u32 v5, vcc_lo, v5, -8
	v_add_co_ci_u32_e64 v6, null, -1, v6, vcc_lo
	v_cmp_gt_i32_e32 vcc_lo, s22, v1
	v_cndmask_b32_e32 v6, v6, v4, vcc_lo
	v_cndmask_b32_e32 v5, v5, v3, vcc_lo
	s_and_saveexec_b32 s3, s2
	s_xor_b32 s2, exec_lo, s3
	s_cbranch_execz .LBB119_15
; %bb.14:
	v_mov_b32_e32 v10, 0
	v_add_nc_u32_e32 v12, v8, v9
	v_mov_b32_e32 v11, v10
	ds_write_b64 v12, v[10:11]
.LBB119_15:
	s_andn2_saveexec_b32 s2, s2
	s_cbranch_execz .LBB119_17
; %bb.16:
	global_load_dwordx2 v[10:11], v[5:6], off
	v_add_nc_u32_e32 v12, v8, v9
	s_waitcnt vmcnt(0)
	ds_write_b64 v12, v[10:11]
.LBB119_17:
	s_or_b32 exec_lo, exec_lo, s2
	v_add_nc_u32_e32 v10, 8, v7
	v_cmp_le_i32_e64 s2, s22, v10
	s_and_saveexec_b32 s3, s2
	s_xor_b32 s2, exec_lo, s3
	s_cbranch_execz .LBB119_19
; %bb.18:
	v_mov_b32_e32 v10, 0
	v_add_nc_u32_e32 v12, v9, v8
	v_mov_b32_e32 v11, v10
	ds_write_b64 v12, v[10:11] offset:2112
.LBB119_19:
	s_andn2_saveexec_b32 s3, s2
	s_cbranch_execz .LBB119_21
; %bb.20:
	s_lshl_b32 s18, s10, 3
	v_add_nc_u32_e32 v12, v9, v8
	s_ashr_i32 s19, s18, 31
	s_lshl_b64 s[18:19], s[18:19], 3
	v_add_co_u32 v10, s2, v5, s18
	v_add_co_ci_u32_e64 v11, null, s19, v6, s2
	global_load_dwordx2 v[10:11], v[10:11], off
	s_waitcnt vmcnt(0)
	ds_write_b64 v12, v[10:11] offset:2112
.LBB119_21:
	s_or_b32 exec_lo, exec_lo, s3
	v_add_nc_u32_e32 v10, 16, v7
	v_cmp_le_i32_e64 s2, s22, v10
	s_and_saveexec_b32 s3, s2
	s_xor_b32 s2, exec_lo, s3
	s_cbranch_execz .LBB119_23
; %bb.22:
	v_mov_b32_e32 v10, 0
	v_add_nc_u32_e32 v12, v9, v8
	v_mov_b32_e32 v11, v10
	ds_write_b64 v12, v[10:11] offset:4224
.LBB119_23:
	s_andn2_saveexec_b32 s3, s2
	s_cbranch_execz .LBB119_25
; %bb.24:
	s_lshl_b32 s18, s10, 4
	v_add_nc_u32_e32 v12, v9, v8
	s_ashr_i32 s19, s18, 31
	s_lshl_b64 s[18:19], s[18:19], 3
	v_add_co_u32 v10, s2, v5, s18
	v_add_co_ci_u32_e64 v11, null, s19, v6, s2
	global_load_dwordx2 v[10:11], v[10:11], off
	s_waitcnt vmcnt(0)
	ds_write_b64 v12, v[10:11] offset:4224
.LBB119_25:
	s_or_b32 exec_lo, exec_lo, s3
	v_add_nc_u32_e32 v10, 24, v7
	v_cmp_le_i32_e64 s2, s22, v10
	s_and_saveexec_b32 s3, s2
	s_xor_b32 s2, exec_lo, s3
	s_cbranch_execz .LBB119_27
; %bb.26:
	v_mov_b32_e32 v10, 0
	v_add_nc_u32_e32 v9, v9, v8
	v_mov_b32_e32 v11, v10
	ds_write_b64 v9, v[10:11] offset:6336
                                        ; implicit-def: $vgpr9
.LBB119_27:
	s_andn2_saveexec_b32 s3, s2
	s_cbranch_execz .LBB119_29
; %bb.28:
	s_mul_i32 s18, s10, 24
	v_add_nc_u32_e32 v9, v9, v8
	s_ashr_i32 s19, s18, 31
	s_lshl_b64 s[18:19], s[18:19], 3
	v_add_co_u32 v10, s2, v5, s18
	v_add_co_ci_u32_e64 v11, null, s19, v6, s2
	global_load_dwordx2 v[10:11], v[10:11], off
	s_waitcnt vmcnt(0)
	ds_write_b64 v9, v[10:11] offset:6336
.LBB119_29:
	s_or_b32 exec_lo, exec_lo, s3
	v_add_co_u32 v5, s2, v5, v8
	v_add_co_ci_u32_e64 v6, null, 0, v6, s2
	v_sub_co_u32 v5, s2, v5, s4
	v_subrev_co_ci_u32_e64 v6, null, s5, v6, s2
	v_add_co_u32 v5, s2, v5, 8
	v_add_co_ci_u32_e64 v6, null, 0, v6, s2
	v_cndmask_b32_e32 v3, v5, v3, vcc_lo
	v_cndmask_b32_e32 v4, v6, v4, vcc_lo
.LBB119_30:
	v_lshlrev_b32_e32 v5, 2, v7
	v_lshl_or_b32 v6, v1, 8, v8
	v_mad_u32_u24 v10, 0x420, v7, v8
	s_waitcnt lgkmcnt(0)
	s_barrier
	v_cmp_lt_u32_e64 s3, v5, v1
	buffer_gl0_inv
	s_and_saveexec_b32 s2, s3
	s_cbranch_execz .LBB119_32
; %bb.31:
	ds_read_b64 v[11:12], v10
	v_lshl_add_u32 v9, v5, 3, v6
	s_waitcnt lgkmcnt(0)
	ds_write_b64 v9, v[11:12]
.LBB119_32:
	s_or_b32 exec_lo, exec_lo, s2
	v_or_b32_e32 v9, 1, v5
	v_cmp_lt_u32_e64 s4, v9, v1
	v_mad_u32_u24 v11, 0x108, v9, v8
	s_and_saveexec_b32 s2, s4
	s_cbranch_execz .LBB119_34
; %bb.33:
	ds_read_b64 v[12:13], v11
	v_lshl_add_u32 v14, v5, 3, v6
	s_waitcnt lgkmcnt(0)
	ds_write_b64 v14, v[12:13] offset:8
.LBB119_34:
	s_or_b32 exec_lo, exec_lo, s2
	v_or_b32_e32 v12, 2, v5
	v_cmp_lt_u32_e64 s5, v12, v1
	s_and_saveexec_b32 s2, s5
	s_cbranch_execz .LBB119_36
; %bb.35:
	v_mad_u32_u24 v12, 0x108, v12, v8
	v_lshl_add_u32 v14, v5, 3, v6
	ds_read_b64 v[12:13], v12
	s_waitcnt lgkmcnt(0)
	ds_write_b64 v14, v[12:13] offset:16
.LBB119_36:
	s_or_b32 exec_lo, exec_lo, s2
	v_or_b32_e32 v13, 3, v5
	s_mov_b32 s2, exec_lo
                                        ; implicit-def: $vgpr12
	v_cmp_lt_u32_e64 s8, v13, v1
	v_cmpx_ge_u32_e64 v13, v1
	s_xor_b32 s2, exec_lo, s2
; %bb.37:
	v_mul_u32_u24_e32 v12, 0x108, v13
                                        ; implicit-def: $vgpr6
                                        ; implicit-def: $vgpr13
; %bb.38:
	s_andn2_saveexec_b32 s2, s2
	s_cbranch_execz .LBB119_40
; %bb.39:
	v_mad_u32_u24 v12, 0x108, v13, v8
	v_lshl_add_u32 v6, v5, 3, v6
	ds_read_b64 v[14:15], v12
	v_mul_u32_u24_e32 v12, 0x108, v13
	s_waitcnt lgkmcnt(0)
	ds_write_b64 v6, v[14:15] offset:24
.LBB119_40:
	s_or_b32 exec_lo, exec_lo, s2
	v_lshlrev_b32_e32 v6, 3, v5
	s_waitcnt lgkmcnt(0)
	s_barrier
	buffer_gl0_inv
	ds_read_b64 v[17:18], v10
	ds_read_b128 v[13:16], v6 offset:9088
	ds_read2_b64 v[26:29], v11 offset1:33
	v_add_nc_u32_e32 v10, v8, v12
	v_mul_u32_u24_e32 v23, 33, v1
	v_cmp_gt_u32_e64 s2, 32, v25
	ds_read_b128 v[30:33], v6 offset:9104
	ds_read_b64 v[11:12], v10
	v_mov_b32_e32 v37, 0
	s_waitcnt lgkmcnt(0)
	s_barrier
	buffer_gl0_inv
	v_mul_f32_e32 v24, v14, v18
	v_mul_f32_e32 v18, v13, v18
	;; [unrolled: 1-line block ×5, first 2 shown]
	v_fma_f32 v13, v13, v17, -v24
	v_fmac_f32_e32 v18, v14, v17
	v_mul_f32_e32 v29, v30, v29
	v_fma_f32 v15, v15, v26, -v34
	v_fmac_f32_e32 v27, v16, v26
	v_add_f32_e32 v13, 0, v13
	v_add_f32_e32 v16, 0, v18
	v_mul_f32_e32 v14, v33, v12
	v_mul_f32_e32 v12, v32, v12
	v_fma_f32 v17, v30, v28, -v36
	v_fmac_f32_e32 v29, v31, v28
	v_add_f32_e32 v13, v13, v15
	v_add_f32_e32 v15, v16, v27
	v_lshlrev_b32_e32 v26, 3, v23
	v_fma_f32 v14, v32, v11, -v14
	v_fmac_f32_e32 v12, v33, v11
	v_add_f32_e32 v11, v13, v17
	v_add_f32_e32 v13, v15, v29
	v_mov_b32_e32 v36, 0
	v_lshl_add_u32 v27, v7, 3, v26
	v_add_f32_e32 v11, v11, v14
	v_add_f32_e32 v12, v13, v12
	ds_write_b64 v27, v[11:12]
	s_waitcnt lgkmcnt(0)
	s_barrier
	buffer_gl0_inv
	s_and_saveexec_b32 s11, s2
	s_cbranch_execz .LBB119_42
; %bb.41:
	ds_read2_b64 v[11:14], v26 offset1:7
	ds_read2_b64 v[15:18], v26 offset0:1 offset1:2
	ds_read2_b64 v[28:31], v26 offset0:3 offset1:4
	ds_read2_b64 v[36:39], v26 offset0:5 offset1:6
	s_waitcnt lgkmcnt(2)
	v_add_f32_e32 v11, v15, v11
	v_add_f32_e32 v12, v16, v12
	v_add_f32_e32 v11, v17, v11
	v_add_f32_e32 v12, v18, v12
	s_waitcnt lgkmcnt(1)
	v_add_f32_e32 v11, v11, v28
	v_add_f32_e32 v12, v12, v29
	v_add_f32_e32 v11, v11, v30
	v_add_f32_e32 v12, v12, v31
	;; [unrolled: 5-line block ×3, first 2 shown]
	v_add_f32_e32 v36, v11, v13
	v_add_f32_e32 v37, v12, v14
.LBB119_42:
	s_or_b32 exec_lo, exec_lo, s11
	s_lshl_b32 s18, s10, 5
	v_cndmask_b32_e64 v11, 0, 1, s9
	s_ashr_i32 s19, s18, 31
	s_lshl_b64 s[18:19], s[18:19], 3
	s_barrier
	v_add_co_u32 v3, vcc_lo, v3, s18
	v_add_co_ci_u32_e64 v4, null, s19, v4, vcc_lo
	buffer_gl0_inv
	v_add_co_u32 v12, vcc_lo, 0x100, v3
	v_add_co_ci_u32_e64 v13, null, 0, v4, vcc_lo
	s_andn2_b32 vcc_lo, exec_lo, s9
	s_mov_b32 s9, -1
	s_cbranch_vccnz .LBB119_44
; %bb.43:
	s_lshl_b32 s20, s10, 3
	s_ashr_i32 s11, s10, 31
	s_ashr_i32 s21, s20, 31
	v_mad_u32_u24 v18, 0x108, v7, v8
	s_lshl_b64 s[20:21], s[20:21], 3
	s_mov_b32 s9, 0
	v_add_co_u32 v14, vcc_lo, v3, s20
	v_add_co_ci_u32_e64 v15, null, s21, v4, vcc_lo
	s_lshl_b64 s[20:21], s[10:11], 6
	v_add_co_u32 v16, vcc_lo, v14, s20
	v_add_co_ci_u32_e64 v17, null, s21, v15, vcc_lo
	v_add_co_u32 v23, vcc_lo, v16, s20
	v_add_co_ci_u32_e64 v24, null, s21, v17, vcc_lo
	s_clause 0x3
	global_load_dwordx2 v[28:29], v[3:4], off offset:256
	global_load_dwordx2 v[14:15], v[14:15], off offset:256
	;; [unrolled: 1-line block ×4, first 2 shown]
	s_waitcnt vmcnt(3)
	ds_write_b64 v18, v[28:29]
	s_waitcnt vmcnt(2)
	ds_write_b64 v18, v[14:15] offset:2112
	s_waitcnt vmcnt(1)
	ds_write_b64 v18, v[16:17] offset:4224
	;; [unrolled: 2-line block ×3, first 2 shown]
.LBB119_44:
	s_andn2_b32 vcc_lo, exec_lo, s9
	s_cbranch_vccnz .LBB119_62
; %bb.45:
	v_sub_co_u32 v3, vcc_lo, v3, v8
	s_ashr_i32 s23, s22, 31
	v_subrev_co_ci_u32_e64 v4, null, 0, v4, vcc_lo
	s_lshl_b64 s[20:21], s[22:23], 3
	v_or_b32_e32 v14, 32, v1
	v_add_co_u32 v3, vcc_lo, v3, s20
	v_add_co_ci_u32_e64 v4, null, s21, v4, vcc_lo
	s_sub_i32 s11, s22, 32
	v_add_co_u32 v3, vcc_lo, v3, -8
	v_add_co_ci_u32_e64 v4, null, -1, v4, vcc_lo
	v_cmp_gt_i32_e32 vcc_lo, s22, v14
	v_cmp_le_i32_e64 s9, s11, v7
	v_mul_u32_u24_e32 v14, 0x108, v7
	v_cndmask_b32_e32 v4, v4, v13, vcc_lo
	v_cndmask_b32_e32 v3, v3, v12, vcc_lo
	s_and_saveexec_b32 s23, s9
	s_xor_b32 s9, exec_lo, s23
	s_cbranch_execz .LBB119_47
; %bb.46:
	v_mov_b32_e32 v15, 0
	v_add_nc_u32_e32 v17, v8, v14
	v_mov_b32_e32 v16, v15
	ds_write_b64 v17, v[15:16]
.LBB119_47:
	s_andn2_saveexec_b32 s9, s9
	s_cbranch_execz .LBB119_49
; %bb.48:
	global_load_dwordx2 v[15:16], v[3:4], off
	v_add_nc_u32_e32 v17, v8, v14
	s_waitcnt vmcnt(0)
	ds_write_b64 v17, v[15:16]
.LBB119_49:
	s_or_b32 exec_lo, exec_lo, s9
	v_add_nc_u32_e32 v15, 8, v7
	v_cmp_le_i32_e64 s9, s11, v15
	s_and_saveexec_b32 s23, s9
	s_xor_b32 s9, exec_lo, s23
	s_cbranch_execz .LBB119_51
; %bb.50:
	v_mov_b32_e32 v15, 0
	v_add_nc_u32_e32 v17, v14, v8
	v_mov_b32_e32 v16, v15
	ds_write_b64 v17, v[15:16] offset:2112
.LBB119_51:
	s_andn2_saveexec_b32 s23, s9
	s_cbranch_execz .LBB119_53
; %bb.52:
	s_lshl_b32 s28, s10, 3
	v_add_nc_u32_e32 v17, v14, v8
	s_ashr_i32 s29, s28, 31
	s_lshl_b64 s[28:29], s[28:29], 3
	v_add_co_u32 v15, s9, v3, s28
	v_add_co_ci_u32_e64 v16, null, s29, v4, s9
	global_load_dwordx2 v[15:16], v[15:16], off
	s_waitcnt vmcnt(0)
	ds_write_b64 v17, v[15:16] offset:2112
.LBB119_53:
	s_or_b32 exec_lo, exec_lo, s23
	v_add_nc_u32_e32 v15, 16, v7
	v_cmp_le_i32_e64 s9, s11, v15
	s_and_saveexec_b32 s23, s9
	s_xor_b32 s9, exec_lo, s23
	s_cbranch_execz .LBB119_55
; %bb.54:
	v_mov_b32_e32 v15, 0
	v_add_nc_u32_e32 v17, v14, v8
	v_mov_b32_e32 v16, v15
	ds_write_b64 v17, v[15:16] offset:4224
.LBB119_55:
	s_andn2_saveexec_b32 s23, s9
	s_cbranch_execz .LBB119_57
; %bb.56:
	s_lshl_b32 s28, s10, 4
	v_add_nc_u32_e32 v17, v14, v8
	s_ashr_i32 s29, s28, 31
	s_lshl_b64 s[28:29], s[28:29], 3
	v_add_co_u32 v15, s9, v3, s28
	v_add_co_ci_u32_e64 v16, null, s29, v4, s9
	global_load_dwordx2 v[15:16], v[15:16], off
	s_waitcnt vmcnt(0)
	ds_write_b64 v17, v[15:16] offset:4224
.LBB119_57:
	s_or_b32 exec_lo, exec_lo, s23
	v_add_nc_u32_e32 v15, 24, v7
	v_cmp_le_i32_e64 s9, s11, v15
	s_and_saveexec_b32 s11, s9
	s_xor_b32 s9, exec_lo, s11
	s_cbranch_execz .LBB119_59
; %bb.58:
	v_mov_b32_e32 v15, 0
	v_add_nc_u32_e32 v14, v14, v8
	v_mov_b32_e32 v16, v15
	ds_write_b64 v14, v[15:16] offset:6336
                                        ; implicit-def: $vgpr14
.LBB119_59:
	s_andn2_saveexec_b32 s11, s9
	s_cbranch_execz .LBB119_61
; %bb.60:
	s_mul_i32 s28, s10, 24
	v_add_nc_u32_e32 v14, v14, v8
	s_ashr_i32 s29, s28, 31
	s_lshl_b64 s[28:29], s[28:29], 3
	v_add_co_u32 v15, s9, v3, s28
	v_add_co_ci_u32_e64 v16, null, s29, v4, s9
	global_load_dwordx2 v[15:16], v[15:16], off
	s_waitcnt vmcnt(0)
	ds_write_b64 v14, v[15:16] offset:6336
.LBB119_61:
	s_or_b32 exec_lo, exec_lo, s11
	v_add_co_u32 v3, s9, v3, v8
	v_add_co_ci_u32_e64 v4, null, 0, v4, s9
	v_sub_co_u32 v3, s9, v3, s20
	v_subrev_co_ci_u32_e64 v4, null, s21, v4, s9
	v_add_co_u32 v3, s9, 0x108, v3
	v_add_co_ci_u32_e64 v4, null, 0, v4, s9
	v_cndmask_b32_e32 v12, v3, v12, vcc_lo
	v_cndmask_b32_e32 v13, v4, v13, vcc_lo
.LBB119_62:
	v_mul_u32_u24_e32 v3, 0x420, v7
	v_add_nc_u32_e32 v6, 0x2380, v6
	v_mul_u32_u24_e32 v4, 0x108, v9
	s_waitcnt lgkmcnt(0)
	s_barrier
	v_add_nc_u32_e32 v3, v8, v3
	buffer_gl0_inv
	s_and_saveexec_b32 s9, s3
	s_cbranch_execnz .LBB119_71
; %bb.63:
	s_or_b32 exec_lo, exec_lo, s9
	v_add_nc_u32_e32 v4, v8, v4
	s_and_saveexec_b32 s3, s4
	s_cbranch_execnz .LBB119_72
.LBB119_64:
	s_or_b32 exec_lo, exec_lo, s3
	s_and_saveexec_b32 s3, s5
	s_cbranch_execnz .LBB119_73
.LBB119_65:
	s_or_b32 exec_lo, exec_lo, s3
	s_and_saveexec_b32 s3, s8
	s_cbranch_execz .LBB119_67
.LBB119_66:
	ds_read_b64 v[14:15], v10
	v_lshl_add_u32 v9, v5, 3, v26
	s_waitcnt lgkmcnt(0)
	ds_write_b64 v9, v[14:15] offset:24
.LBB119_67:
	s_or_b32 exec_lo, exec_lo, s3
	s_waitcnt lgkmcnt(0)
	s_barrier
	buffer_gl0_inv
	ds_read_b64 v[23:24], v3
	ds_read_b128 v[14:17], v6 offset:256
	ds_read2_b64 v[28:31], v4 offset1:33
	ds_read_b128 v[38:41], v6 offset:272
	ds_read_b64 v[3:4], v10
	v_cmp_eq_u32_e64 s3, 1, v7
	s_waitcnt lgkmcnt(0)
	s_barrier
	buffer_gl0_inv
	v_mul_f32_e32 v9, v15, v24
	v_mul_f32_e32 v10, v14, v24
	;; [unrolled: 1-line block ×5, first 2 shown]
	v_fma_f32 v9, v14, v23, -v9
	v_fmac_f32_e32 v10, v15, v23
	v_mul_f32_e32 v31, v38, v31
	v_fma_f32 v15, v16, v28, -v18
	v_fmac_f32_e32 v24, v17, v28
	v_add_f32_e32 v9, 0, v9
	v_add_f32_e32 v10, 0, v10
	v_mul_f32_e32 v14, v41, v4
	v_mul_f32_e32 v4, v40, v4
	v_fma_f32 v16, v38, v30, -v29
	v_fmac_f32_e32 v31, v39, v30
	v_add_f32_e32 v9, v9, v15
	v_add_f32_e32 v10, v10, v24
	v_fma_f32 v14, v40, v3, -v14
	v_fmac_f32_e32 v4, v41, v3
	v_add_f32_e32 v3, v9, v16
	v_add_f32_e32 v9, v10, v31
	;; [unrolled: 1-line block ×4, first 2 shown]
	ds_write_b64 v27, v[3:4]
	s_waitcnt lgkmcnt(0)
	s_barrier
	buffer_gl0_inv
	s_and_saveexec_b32 s4, s3
	s_cbranch_execz .LBB119_69
; %bb.68:
	ds_read2_b64 v[14:17], v26 offset1:7
	ds_read2_b64 v[28:31], v26 offset0:1 offset1:2
	ds_read2_b64 v[36:39], v26 offset0:3 offset1:4
	;; [unrolled: 1-line block ×3, first 2 shown]
	s_waitcnt lgkmcnt(2)
	v_add_f32_e32 v3, v28, v14
	v_add_f32_e32 v4, v29, v15
	v_add_f32_e32 v3, v30, v3
	v_add_f32_e32 v4, v31, v4
	s_waitcnt lgkmcnt(1)
	v_add_f32_e32 v3, v3, v36
	v_add_f32_e32 v4, v4, v37
	v_add_f32_e32 v3, v3, v38
	v_add_f32_e32 v4, v4, v39
	;; [unrolled: 5-line block ×3, first 2 shown]
	v_add_f32_e32 v36, v3, v16
	v_add_f32_e32 v37, v4, v17
.LBB119_69:
	s_or_b32 exec_lo, exec_lo, s4
	v_cmp_ne_u32_e32 vcc_lo, 1, v11
	v_sub_co_u32 v23, s4, v12, s18
	v_subrev_co_ci_u32_e64 v24, null, s19, v13, s4
	s_barrier
	buffer_gl0_inv
	s_cbranch_vccnz .LBB119_74
; %bb.70:
	s_lshl_b32 s4, s10, 3
	s_ashr_i32 s11, s10, 31
	s_ashr_i32 s5, s4, 31
	global_load_dwordx2 v[10:11], v[23:24], off
	s_lshl_b64 s[4:5], s[4:5], 3
	v_mul_u32_u24_e32 v9, 0x108, v7
	v_add_co_u32 v3, vcc_lo, v23, s4
	v_add_co_ci_u32_e64 v4, null, s5, v24, vcc_lo
	s_lshl_b64 s[4:5], s[10:11], 6
	v_add_co_u32 v12, vcc_lo, v3, s4
	v_add_co_ci_u32_e64 v13, null, s5, v4, vcc_lo
	v_add_co_u32 v14, vcc_lo, v12, s4
	v_add_co_ci_u32_e64 v15, null, s5, v13, vcc_lo
	s_clause 0x2
	global_load_dwordx2 v[16:17], v[3:4], off
	global_load_dwordx2 v[28:29], v[12:13], off
	;; [unrolled: 1-line block ×3, first 2 shown]
	s_movk_i32 s4, 0x840
	s_movk_i32 s5, 0x1080
	v_mad_u32_u24 v4, 0x108, v7, s4
	s_movk_i32 s4, 0x18c0
	v_mad_u32_u24 v12, 0x108, v7, v8
	v_mad_u32_u24 v13, 0x108, v7, s4
	;; [unrolled: 1-line block ×3, first 2 shown]
	v_add_nc_u32_e32 v18, v8, v4
	v_add_nc_u32_e32 v31, v8, v13
	;; [unrolled: 1-line block ×3, first 2 shown]
	s_waitcnt vmcnt(3)
	ds_write_b64 v12, v[10:11]
	v_add_nc_u32_e32 v10, 8, v7
	v_add_nc_u32_e32 v11, 16, v7
	;; [unrolled: 1-line block ×3, first 2 shown]
	s_waitcnt vmcnt(2)
	ds_write_b64 v18, v[16:17]
	s_waitcnt vmcnt(1)
	ds_write_b64 v30, v[28:29]
	;; [unrolled: 2-line block ×3, first 2 shown]
	s_cbranch_execz .LBB119_75
	s_branch .LBB119_92
.LBB119_71:
	ds_read_b64 v[14:15], v3
	v_lshl_add_u32 v9, v5, 3, v26
	s_waitcnt lgkmcnt(0)
	ds_write_b64 v9, v[14:15]
	s_or_b32 exec_lo, exec_lo, s9
	v_add_nc_u32_e32 v4, v8, v4
	s_and_saveexec_b32 s3, s4
	s_cbranch_execz .LBB119_64
.LBB119_72:
	ds_read_b64 v[14:15], v4
	v_lshl_add_u32 v9, v5, 3, v26
	s_waitcnt lgkmcnt(0)
	ds_write_b64 v9, v[14:15] offset:8
	s_or_b32 exec_lo, exec_lo, s3
	s_and_saveexec_b32 s3, s5
	s_cbranch_execz .LBB119_65
.LBB119_73:
	ds_read_b64 v[14:15], v4 offset:264
	v_lshl_add_u32 v9, v5, 3, v26
	s_waitcnt lgkmcnt(0)
	ds_write_b64 v9, v[14:15] offset:16
	s_or_b32 exec_lo, exec_lo, s3
	s_and_saveexec_b32 s3, s8
	s_cbranch_execnz .LBB119_66
	s_branch .LBB119_67
.LBB119_74:
                                        ; implicit-def: $vgpr9
                                        ; implicit-def: $vgpr10
                                        ; implicit-def: $vgpr4
                                        ; implicit-def: $vgpr11
                                        ; implicit-def: $vgpr3
                                        ; implicit-def: $vgpr12
                                        ; implicit-def: $vgpr13
.LBB119_75:
	v_sub_co_u32 v3, vcc_lo, v23, v8
	s_ashr_i32 s23, s22, 31
	v_subrev_co_ci_u32_e64 v4, null, 0, v24, vcc_lo
	s_lshl_b64 s[8:9], s[22:23], 3
	v_or_b32_e32 v1, 32, v1
	v_add_co_u32 v3, vcc_lo, v3, s8
	v_add_co_ci_u32_e64 v4, null, s9, v4, vcc_lo
	v_cmp_le_i32_e64 s4, s22, v7
	v_add_co_u32 v3, vcc_lo, 0xfffffef8, v3
	v_add_co_ci_u32_e64 v4, null, -1, v4, vcc_lo
	v_cmp_gt_i32_e32 vcc_lo, s22, v1
	v_mul_u32_u24_e32 v9, 0x108, v7
	v_cndmask_b32_e32 v4, v4, v24, vcc_lo
	v_cndmask_b32_e32 v3, v3, v23, vcc_lo
	s_and_saveexec_b32 s5, s4
	s_xor_b32 s4, exec_lo, s5
	s_cbranch_execz .LBB119_77
; %bb.76:
	v_mov_b32_e32 v10, 0
	v_add_nc_u32_e32 v1, v8, v9
	v_mov_b32_e32 v11, v10
	ds_write_b64 v1, v[10:11]
.LBB119_77:
	s_andn2_saveexec_b32 s4, s4
	s_cbranch_execz .LBB119_79
; %bb.78:
	global_load_dwordx2 v[10:11], v[3:4], off
	v_add_nc_u32_e32 v1, v8, v9
	s_waitcnt vmcnt(0)
	ds_write_b64 v1, v[10:11]
.LBB119_79:
	s_or_b32 exec_lo, exec_lo, s4
	v_add_nc_u32_e32 v10, 8, v7
	v_cmp_le_i32_e64 s4, s22, v10
	s_and_saveexec_b32 s5, s4
	s_xor_b32 s4, exec_lo, s5
	s_cbranch_execz .LBB119_81
; %bb.80:
	v_mov_b32_e32 v11, 0
	v_add_nc_u32_e32 v1, v9, v8
	v_mov_b32_e32 v12, v11
	ds_write_b64 v1, v[11:12] offset:2112
.LBB119_81:
	s_andn2_saveexec_b32 s5, s4
	s_cbranch_execz .LBB119_83
; %bb.82:
	s_lshl_b32 s18, s10, 3
	v_add_nc_u32_e32 v1, v9, v8
	s_ashr_i32 s19, s18, 31
	s_lshl_b64 s[18:19], s[18:19], 3
	v_add_co_u32 v11, s4, v3, s18
	v_add_co_ci_u32_e64 v12, null, s19, v4, s4
	global_load_dwordx2 v[11:12], v[11:12], off
	s_waitcnt vmcnt(0)
	ds_write_b64 v1, v[11:12] offset:2112
.LBB119_83:
	s_or_b32 exec_lo, exec_lo, s5
	v_add_nc_u32_e32 v11, 16, v7
	v_cmp_le_i32_e64 s4, s22, v11
	s_and_saveexec_b32 s5, s4
	s_xor_b32 s4, exec_lo, s5
	s_cbranch_execz .LBB119_85
; %bb.84:
	v_mov_b32_e32 v12, 0
	v_add_nc_u32_e32 v1, v9, v8
	v_mov_b32_e32 v13, v12
	ds_write_b64 v1, v[12:13] offset:4224
.LBB119_85:
	s_andn2_saveexec_b32 s5, s4
	s_cbranch_execz .LBB119_87
; %bb.86:
	s_lshl_b32 s18, s10, 4
	v_add_nc_u32_e32 v1, v9, v8
	s_ashr_i32 s19, s18, 31
	s_lshl_b64 s[18:19], s[18:19], 3
	v_add_co_u32 v12, s4, v3, s18
	v_add_co_ci_u32_e64 v13, null, s19, v4, s4
	global_load_dwordx2 v[12:13], v[12:13], off
	s_waitcnt vmcnt(0)
	ds_write_b64 v1, v[12:13] offset:4224
.LBB119_87:
	s_or_b32 exec_lo, exec_lo, s5
	v_add_nc_u32_e32 v12, 24, v7
                                        ; implicit-def: $vgpr13
	v_cmp_le_i32_e64 s4, s22, v12
	s_and_saveexec_b32 s5, s4
	s_xor_b32 s4, exec_lo, s5
	s_cbranch_execz .LBB119_89
; %bb.88:
	v_add_nc_u32_e32 v13, 0x18c0, v9
	v_mov_b32_e32 v14, 0
	v_add_nc_u32_e32 v1, v8, v13
	v_mov_b32_e32 v15, v14
	ds_write_b64 v1, v[14:15]
.LBB119_89:
	s_andn2_saveexec_b32 s5, s4
	s_cbranch_execz .LBB119_91
; %bb.90:
	s_mul_i32 s18, s10, 24
	s_ashr_i32 s19, s18, 31
	s_lshl_b64 s[18:19], s[18:19], 3
	v_add_co_u32 v13, s4, v3, s18
	v_add_co_ci_u32_e64 v14, null, s19, v4, s4
	global_load_dwordx2 v[14:15], v[13:14], off
	v_add_nc_u32_e32 v13, 0x18c0, v9
	v_add_nc_u32_e32 v1, v8, v13
	s_waitcnt vmcnt(0)
	ds_write_b64 v1, v[14:15]
.LBB119_91:
	s_or_b32 exec_lo, exec_lo, s5
	v_add_co_u32 v1, s4, v3, v8
	v_add_co_ci_u32_e64 v3, null, 0, v4, s4
	v_add_nc_u32_e32 v4, 0x840, v9
	v_sub_co_u32 v1, s4, v1, s8
	v_subrev_co_ci_u32_e64 v3, null, s9, v3, s4
	v_add_co_u32 v1, s4, 0x108, v1
	v_add_co_ci_u32_e64 v3, null, 0, v3, s4
	v_cndmask_b32_e32 v23, v1, v23, vcc_lo
	v_cndmask_b32_e32 v24, v3, v24, vcc_lo
	v_add_nc_u32_e32 v3, 0x1080, v9
.LBB119_92:
	v_add_nc_u32_e32 v1, v8, v9
	v_lshlrev_b32_e32 v7, 3, v7
	v_add_nc_u32_e32 v4, v8, v4
	v_lshlrev_b32_e32 v9, 3, v10
	v_add_nc_u32_e32 v3, v8, v3
	s_waitcnt lgkmcnt(0)
	s_barrier
	buffer_gl0_inv
	v_lshlrev_b32_e32 v10, 3, v11
	v_add_nc_u32_e32 v8, v8, v13
	v_lshlrev_b32_e32 v11, 3, v12
	ds_read_b64 v[28:29], v1
	ds_read_b64 v[30:31], v7 offset:9088
	ds_read_b64 v[32:33], v4
	ds_read_b64 v[38:39], v9 offset:9088
	;; [unrolled: 2-line block ×3, first 2 shown]
	ds_read2_b32 v[44:45], v8 offset1:1
	ds_read_b64 v[46:47], v11 offset:9088
	v_lshl_add_u32 v1, v5, 3, v26
	ds_read_b128 v[11:14], v6 offset:256
	ds_read_b128 v[3:6], v6 offset:272
	ds_read2_b64 v[15:18], v1 offset1:1
	ds_read2_b64 v[7:10], v1 offset0:2 offset1:3
	s_waitcnt lgkmcnt(0)
	s_barrier
	buffer_gl0_inv
	v_mul_f32_e32 v1, v31, v29
	v_mul_f32_e32 v29, v30, v29
	;; [unrolled: 1-line block ×5, first 2 shown]
	v_fma_f32 v1, v30, v28, -v1
	v_fmac_f32_e32 v29, v31, v28
	v_mul_f32_e32 v28, v42, v41
	v_fma_f32 v30, v38, v32, -v34
	v_fmac_f32_e32 v33, v39, v32
	v_add_f32_e32 v1, 0, v1
	v_add_f32_e32 v29, 0, v29
	v_mul_f32_e32 v49, v47, v45
	v_mul_f32_e32 v31, v46, v45
	v_fma_f32 v32, v42, v40, -v48
	v_fmac_f32_e32 v28, v43, v40
	v_add_f32_e32 v1, v1, v30
	v_add_f32_e32 v29, v29, v33
	v_fma_f32 v30, v46, v44, -v49
	v_fmac_f32_e32 v31, v47, v44
	v_add_f32_e32 v1, v1, v32
	v_add_f32_e32 v29, v29, v28
	;; [unrolled: 1-line block ×4, first 2 shown]
	ds_write_b64 v27, v[28:29]
	s_waitcnt lgkmcnt(0)
	s_barrier
	buffer_gl0_inv
	s_and_saveexec_b32 s4, s3
	s_cbranch_execz .LBB119_94
; %bb.93:
	ds_read2_b64 v[28:31], v26 offset1:1
	ds_read2_b64 v[38:41], v26 offset0:2 offset1:3
	ds_read2_b64 v[42:45], v26 offset0:4 offset1:5
	s_waitcnt lgkmcnt(2)
	v_add_f32_e32 v1, v36, v28
	v_add_f32_e32 v28, v37, v29
	;; [unrolled: 1-line block ×4, first 2 shown]
	ds_read2_b64 v[28:31], v26 offset0:6 offset1:7
	s_waitcnt lgkmcnt(2)
	v_add_f32_e32 v1, v1, v38
	v_add_f32_e32 v32, v32, v39
	v_add_f32_e32 v1, v1, v40
	v_add_f32_e32 v32, v32, v41
	s_waitcnt lgkmcnt(1)
	v_add_f32_e32 v1, v1, v42
	v_add_f32_e32 v32, v32, v43
	v_add_f32_e32 v1, v1, v44
	v_add_f32_e32 v32, v32, v45
	;; [unrolled: 5-line block ×3, first 2 shown]
.LBB119_94:
	s_or_b32 exec_lo, exec_lo, s4
	v_mul_f32_e32 v1, v12, v16
	v_mul_f32_e32 v16, v11, v16
	;; [unrolled: 1-line block ×5, first 2 shown]
	v_fma_f32 v1, v11, v15, -v1
	v_fmac_f32_e32 v16, v12, v15
	v_mul_f32_e32 v8, v3, v8
	v_fma_f32 v12, v13, v17, -v28
	v_fmac_f32_e32 v18, v14, v17
	v_add_f32_e32 v1, 0, v1
	v_add_f32_e32 v13, 0, v16
	v_mul_f32_e32 v11, v6, v10
	v_mul_f32_e32 v10, v5, v10
	v_fma_f32 v3, v3, v7, -v29
	v_add_f32_e32 v1, v1, v12
	v_fmac_f32_e32 v8, v4, v7
	v_add_f32_e32 v4, v13, v18
	v_fma_f32 v5, v5, v9, -v11
	v_fmac_f32_e32 v10, v6, v9
	v_add_f32_e32 v1, v1, v3
	v_add_f32_e32 v4, v4, v8
	s_barrier
	buffer_gl0_inv
	v_add_f32_e32 v3, v1, v5
	v_add_f32_e32 v4, v4, v10
	ds_write_b64 v27, v[3:4]
	s_waitcnt lgkmcnt(0)
	s_barrier
	buffer_gl0_inv
	s_and_saveexec_b32 s3, s2
	s_cbranch_execz .LBB119_96
; %bb.95:
	ds_read2_b64 v[3:6], v26 offset1:1
	ds_read2_b64 v[7:10], v26 offset0:2 offset1:3
	ds_read2_b64 v[11:14], v26 offset0:4 offset1:5
	s_waitcnt lgkmcnt(2)
	v_add_f32_e32 v1, v36, v3
	v_add_f32_e32 v3, v37, v4
	;; [unrolled: 1-line block ×4, first 2 shown]
	ds_read2_b64 v[3:6], v26 offset0:6 offset1:7
	s_waitcnt lgkmcnt(2)
	v_add_f32_e32 v1, v1, v7
	v_add_f32_e32 v7, v15, v8
	v_add_f32_e32 v1, v1, v9
	v_add_f32_e32 v7, v7, v10
	s_waitcnt lgkmcnt(1)
	v_add_f32_e32 v1, v1, v11
	v_add_f32_e32 v7, v7, v12
	v_add_f32_e32 v1, v1, v13
	v_add_f32_e32 v7, v7, v14
	s_waitcnt lgkmcnt(0)
	v_add_f32_e32 v1, v1, v3
	v_add_f32_e32 v3, v7, v4
	v_add_f32_e32 v36, v1, v5
	v_add_f32_e32 v37, v3, v6
.LBB119_96:
	s_or_b32 exec_lo, exec_lo, s3
	s_mul_hi_u32 s2, s25, s7
	s_mul_i32 s27, s27, s7
	s_mul_i32 s3, s25, s7
	s_add_i32 s2, s2, s27
	s_mul_hi_u32 s5, s3, s26
	s_mul_i32 s4, s2, s26
	s_mul_i32 s2, s3, s26
	s_add_i32 s3, s5, s4
	s_mul_i32 s4, s25, s6
	s_lshl_b64 s[2:3], s[2:3], 3
	v_cmp_le_i32_e32 vcc_lo, s22, v0
	s_add_u32 s7, s14, s2
	s_addc_u32 s8, s15, s3
	s_ashr_i32 s5, s4, 31
	v_lshlrev_b32_e32 v72, 3, v0
	s_lshl_b64 s[2:3], s[4:5], 3
	s_add_u32 s7, s7, s2
	s_addc_u32 s18, s8, s3
	s_and_b32 vcc_lo, s13, vcc_lo
	s_cmp_lt_i32 s6, 1
	s_barrier
	buffer_gl0_inv
	s_cbranch_scc1 .LBB119_103
; %bb.97:
	v_mul_lo_u32 v1, v2, s10
	v_sub_co_u32 v7, s2, v23, s16
	v_subrev_co_ci_u32_e64 v8, null, s17, v24, s2
	s_ashr_i32 s23, s22, 31
	v_sub_co_u32 v7, s2, v7, v21
	v_lshl_add_u32 v3, v1, 2, v0
	v_sub_co_ci_u32_e64 v8, null, v8, v22, s2
	s_lshl_b64 s[8:9], s[22:23], 3
	v_lshrrev_b32_e32 v5, 4, v25
	v_ashrrev_i32_e32 v4, 31, v3
	v_and_b32_e32 v6, 15, v0
	s_mul_i32 s4, s24, s12
	v_mov_b32_e32 v1, 0
	s_ashr_i32 s5, s4, 31
	v_lshlrev_b64 v[3:4], 3, v[3:4]
	s_lshl_b64 s[4:5], s[4:5], 3
	v_add_nc_u32_e32 v75, 0x2180, v72
	v_lshl_add_u32 v76, v2, 5, 0x2180
	v_add_nc_u32_e32 v77, 0x2380, v72
	v_mad_u32_u24 v78, 0x860, v2, v72
	v_add_co_u32 v3, s2, v7, v3
	v_add_co_ci_u32_e64 v4, null, v8, v4, s2
	s_ashr_i32 s11, s10, 31
	v_sub_co_u32 v7, s2, v3, v72
	v_subrev_co_ci_u32_e64 v8, null, 0, v4, s2
	s_lshl_b32 s19, s24, 6
	v_add_co_u32 v7, s2, v7, s8
	v_add_co_ci_u32_e64 v8, null, s9, v8, s2
	v_add_co_u32 v3, s2, 0xffffff00, v3
	v_add_co_ci_u32_e64 v4, null, -1, v4, s2
	v_add_co_u32 v7, s2, 0xfffffef8, v7
	v_add_co_ci_u32_e64 v8, null, -1, v8, s2
	v_sub_co_u32 v73, s2, v19, s4
	v_cndmask_b32_e32 v38, v3, v7, vcc_lo
	v_cndmask_b32_e32 v39, v4, v8, vcc_lo
	v_and_b32_e32 v3, 48, v0
	v_lshlrev_b32_e32 v4, 5, v5
	v_mul_i32_i24_e32 v5, 0xffffffe8, v5
	v_subrev_co_ci_u32_e64 v74, null, s5, v20, s2
	v_lshlrev_b32_e32 v3, 3, v3
	v_mad_u32_u24 v79, 0x218, v6, v4
	v_or_b32_e32 v4, 0x78, v72
	v_cmp_gt_u32_e64 s2, 64, v25
	s_lshl_b64 s[4:5], s[10:11], 3
	v_mad_u32_u24 v80, 0x218, v6, v3
	v_add_nc_u32_e32 v82, v79, v5
	v_mad_u32_u24 v81, 0x218, v6, v4
	s_lshl_b64 s[8:9], s[10:11], 9
	s_lshl_b64 s[12:13], s[10:11], 4
	s_mul_hi_i32 s20, s10, 24
	s_mul_i32 s21, s10, 24
	s_mul_hi_i32 s22, s10, 0x90
	s_mul_i32 s23, s10, 0x90
	;; [unrolled: 2-line block ×10, first 2 shown]
	s_lshl_b64 s[14:15], s[10:11], 8
	s_mul_hi_i32 s41, s10, 0x88
	s_mul_i32 s42, s10, 0x88
	s_lshl_b64 s[10:11], s[10:11], 7
	s_mov_b32 s16, 0
	s_branch .LBB119_99
.LBB119_98:                             ;   in Loop: Header=BB119_99 Depth=1
	s_or_b32 exec_lo, exec_lo, s17
	v_mul_f32_e32 v83, v8, v41
	v_mul_f32_e32 v8, v8, v40
	;; [unrolled: 1-line block ×5, first 2 shown]
	v_fma_f32 v40, v7, v40, -v83
	v_fmac_f32_e32 v8, v7, v41
	v_fma_f32 v46, v9, v46, -v84
	v_mul_f32_e32 v4, v4, v44
	v_mul_f32_e32 v83, v6, v43
	v_add_f32_e32 v36, v36, v40
	v_fma_f32 v7, v3, v44, -v85
	v_fmac_f32_e32 v10, v9, v47
	v_add_f32_e32 v8, v37, v8
	v_mul_f32_e32 v6, v6, v42
	v_add_f32_e32 v36, v36, v46
	v_mul_f32_e32 v40, v16, v55
	v_fma_f32 v9, v5, v42, -v83
	v_fmac_f32_e32 v4, v3, v45
	v_add_f32_e32 v3, v8, v10
	v_add_f32_e32 v7, v36, v7
	v_mul_f32_e32 v16, v16, v54
	v_mul_f32_e32 v41, v18, v53
	v_fma_f32 v8, v15, v54, -v40
	v_fmac_f32_e32 v6, v5, v43
	v_add_f32_e32 v7, v7, v9
	v_add_f32_e32 v3, v3, v4
	v_mul_f32_e32 v18, v18, v52
	v_mul_f32_e32 v9, v12, v51
	v_fma_f32 v4, v17, v52, -v41
	v_add_f32_e32 v5, v7, v8
	v_fmac_f32_e32 v16, v15, v55
	v_add_f32_e32 v3, v3, v6
	v_mul_f32_e32 v7, v14, v49
	v_fma_f32 v6, v11, v50, -v9
	v_add_f32_e32 v4, v5, v4
	v_mul_f32_e32 v5, v12, v50
	v_fmac_f32_e32 v18, v17, v53
	v_add_f32_e32 v3, v3, v16
	v_fma_f32 v7, v13, v48, -v7
	v_add_f32_e32 v4, v4, v6
	v_mul_f32_e32 v6, v24, v63
	v_fmac_f32_e32 v5, v11, v51
	v_add_f32_e32 v3, v3, v18
	v_mul_f32_e32 v8, v14, v48
	v_add_f32_e32 v4, v4, v7
	v_fma_f32 v6, v23, v62, -v6
	v_mul_f32_e32 v7, v26, v61
	v_add_f32_e32 v3, v3, v5
	v_fmac_f32_e32 v8, v13, v49
	v_mul_f32_e32 v5, v24, v62
	v_add_f32_e32 v4, v4, v6
	v_fma_f32 v6, v25, v60, -v7
	v_mul_f32_e32 v7, v20, v59
	v_add_f32_e32 v3, v3, v8
	v_fmac_f32_e32 v5, v23, v63
	;; [unrolled: 6-line block ×4, first 2 shown]
	v_mul_f32_e32 v8, v22, v56
	v_add_f32_e32 v4, v4, v6
	v_mul_f32_e32 v6, v34, v69
	v_mul_f32_e32 v9, v30, v64
	v_add_f32_e32 v3, v3, v5
	v_fma_f32 v5, v31, v70, -v7
	v_fmac_f32_e32 v8, v21, v57
	v_mul_f32_e32 v7, v32, v70
	v_fmac_f32_e32 v9, v29, v65
	v_add_co_u32 v38, s3, v38, s8
	v_add_f32_e32 v4, v4, v5
	v_fma_f32 v5, v33, v68, -v6
	v_add_f32_e32 v3, v3, v8
	v_mul_f32_e32 v6, v34, v68
	v_fmac_f32_e32 v7, v31, v71
	v_mul_f32_e32 v8, v28, v67
	v_add_f32_e32 v4, v4, v5
	v_mul_f32_e32 v5, v28, v66
	v_fmac_f32_e32 v6, v33, v69
	v_add_f32_e32 v3, v3, v7
	v_fma_f32 v7, v27, v66, -v8
	v_mul_f32_e32 v8, v30, v65
	v_fmac_f32_e32 v5, v27, v67
	v_add_co_ci_u32_e64 v39, null, s9, v39, s3
	v_add_f32_e32 v3, v3, v6
	v_add_f32_e32 v4, v4, v7
	v_fma_f32 v6, v29, v64, -v8
	v_add_nc_u32_e32 v0, 64, v0
	s_add_i32 s6, s6, -1
	v_add_f32_e32 v3, v3, v5
	s_add_i32 s16, s16, s19
	v_add_f32_e32 v36, v4, v6
	s_cmp_eq_u32 s6, 0
	s_waitcnt_vscnt null, 0x0
	v_add_f32_e32 v37, v3, v9
	s_barrier
	buffer_gl0_inv
	s_cbranch_scc1 .LBB119_103
.LBB119_99:                             ; =>This Inner Loop Header: Depth=1
	s_and_saveexec_b32 s43, s1
	s_cbranch_execz .LBB119_101
; %bb.100:                              ;   in Loop: Header=BB119_99 Depth=1
	s_ashr_i32 s17, s16, 31
	s_lshl_b64 s[44:45], s[16:17], 3
	v_add_co_u32 v3, s3, v73, s44
	v_add_co_ci_u32_e64 v4, null, s45, v74, s3
	global_load_dwordx2 v[3:4], v[3:4], off
	s_waitcnt vmcnt(0)
	ds_write_b64 v75, v[3:4]
.LBB119_101:                            ;   in Loop: Header=BB119_99 Depth=1
	s_or_b32 exec_lo, exec_lo, s43
	v_add_co_u32 v3, s3, v38, s4
	v_add_co_ci_u32_e64 v4, null, s5, v39, s3
	v_add_co_u32 v5, s3, v38, s12
	v_add_co_ci_u32_e64 v6, null, s13, v39, s3
	;; [unrolled: 2-line block ×3, first 2 shown]
	s_waitcnt lgkmcnt(0)
	s_barrier
	buffer_gl0_inv
	s_clause 0x3
	global_load_dwordx2 v[40:41], v[38:39], off
	global_load_dwordx2 v[46:47], v[3:4], off
	;; [unrolled: 1-line block ×4, first 2 shown]
	ds_read_b64 v[11:12], v77
	ds_read_b128 v[7:10], v76
	ds_read_b128 v[3:6], v76 offset:16
	v_add_co_u32 v13, s3, v38, s10
	v_add_co_ci_u32_e64 v14, null, s11, v39, s3
	v_add_co_u32 v17, s3, v38, s42
	v_add_co_ci_u32_e64 v18, null, s41, v39, s3
	s_waitcnt vmcnt(2) lgkmcnt(2)
	v_mul_f32_e32 v19, v12, v47
	v_mul_f32_e32 v15, v12, v41
	v_mul_f32_e32 v16, v12, v40
	v_mul_f32_e32 v20, v12, v46
	s_waitcnt vmcnt(1)
	v_mul_f32_e32 v21, v12, v45
	v_mul_f32_e32 v22, v12, v44
	s_waitcnt vmcnt(0)
	v_mul_f32_e32 v23, v12, v43
	v_mul_f32_e32 v24, v11, v43
	v_fma_f32 v15, v11, v40, -v15
	v_fmac_f32_e32 v16, v11, v41
	v_fma_f32 v19, v11, v46, -v19
	v_fmac_f32_e32 v20, v11, v47
	;; [unrolled: 2-line block ×4, first 2 shown]
	v_add_co_u32 v11, s3, v38, s23
	v_add_co_ci_u32_e64 v12, null, s22, v39, s3
	ds_write2_b64 v78, v[15:16], v[19:20] offset1:67
	ds_write2_b64 v78, v[21:22], v[23:24] offset0:134 offset1:201
	s_waitcnt lgkmcnt(0)
	s_barrier
	buffer_gl0_inv
	ds_read2_b64 v[83:86], v79 offset1:1
	ds_read2_b64 v[87:90], v79 offset0:2 offset1:3
	s_waitcnt lgkmcnt(0)
	s_barrier
	buffer_gl0_inv
	global_load_dwordx2 v[54:55], v[13:14], off
	v_add_co_u32 v13, s3, v38, s25
	v_add_co_ci_u32_e64 v14, null, s24, v39, s3
	s_clause 0x2
	global_load_dwordx2 v[52:53], v[17:18], off
	global_load_dwordx2 v[50:51], v[11:12], off
	;; [unrolled: 1-line block ×3, first 2 shown]
	ds_read_b64 v[11:12], v77
	v_add_co_u32 v19, s3, v38, s14
	v_add_co_ci_u32_e64 v20, null, s15, v39, s3
	v_add_co_u32 v21, s3, v38, s40
	v_add_co_ci_u32_e64 v22, null, s39, v39, s3
	;; [unrolled: 2-line block ×4, first 2 shown]
	v_add_f32_e32 v83, 0, v83
	v_add_f32_e32 v84, 0, v84
	v_add_f32_e32 v83, v83, v85
	v_add_f32_e32 v84, v84, v86
	v_add_f32_e32 v87, v83, v87
	v_add_f32_e32 v88, v84, v88
	v_add_f32_e32 v87, v87, v89
	v_add_f32_e32 v88, v88, v90
	s_waitcnt vmcnt(3) lgkmcnt(0)
	v_mul_f32_e32 v13, v12, v55
	v_mul_f32_e32 v26, v12, v54
	s_waitcnt vmcnt(2)
	v_mul_f32_e32 v14, v12, v53
	v_mul_f32_e32 v28, v12, v52
	s_waitcnt vmcnt(1)
	;; [unrolled: 3-line block ×3, first 2 shown]
	v_mul_f32_e32 v16, v12, v49
	v_mul_f32_e32 v32, v11, v49
	v_fma_f32 v25, v11, v54, -v13
	v_fmac_f32_e32 v26, v11, v55
	v_fma_f32 v27, v11, v52, -v14
	v_fmac_f32_e32 v28, v11, v53
	;; [unrolled: 2-line block ×4, first 2 shown]
	ds_read_b128 v[15:18], v76 offset:128
	ds_read_b128 v[11:14], v76 offset:144
	ds_write2_b64 v78, v[25:26], v[27:28] offset1:67
	ds_write2_b64 v78, v[29:30], v[31:32] offset0:134 offset1:201
	s_waitcnt lgkmcnt(0)
	s_barrier
	buffer_gl0_inv
	ds_read2_b64 v[91:94], v79 offset1:1
	ds_read2_b64 v[95:98], v79 offset0:2 offset1:3
	s_waitcnt lgkmcnt(0)
	s_barrier
	buffer_gl0_inv
	s_clause 0x3
	global_load_dwordx2 v[62:63], v[19:20], off
	global_load_dwordx2 v[60:61], v[21:22], off
	;; [unrolled: 1-line block ×4, first 2 shown]
	ds_read_b64 v[19:20], v77
	v_add_co_u32 v27, s3, v38, s38
	v_add_co_ci_u32_e64 v28, null, s37, v39, s3
	v_add_co_u32 v29, s3, v38, s36
	v_add_co_ci_u32_e64 v30, null, s35, v39, s3
	;; [unrolled: 2-line block ×3, first 2 shown]
	v_add_f32_e32 v91, 0, v91
	v_add_f32_e32 v92, 0, v92
	;; [unrolled: 1-line block ×8, first 2 shown]
	s_waitcnt vmcnt(3) lgkmcnt(0)
	v_mul_f32_e32 v21, v20, v63
	v_mul_f32_e32 v32, v20, v62
	s_waitcnt vmcnt(2)
	v_mul_f32_e32 v22, v20, v61
	v_mul_f32_e32 v34, v20, v60
	s_waitcnt vmcnt(1)
	v_mul_f32_e32 v23, v20, v59
	s_waitcnt vmcnt(0)
	v_mul_f32_e32 v24, v20, v57
	v_mul_f32_e32 v65, v20, v58
	;; [unrolled: 1-line block ×3, first 2 shown]
	v_fma_f32 v31, v19, v62, -v21
	v_fma_f32 v33, v19, v60, -v22
	v_fmac_f32_e32 v32, v19, v63
	v_fmac_f32_e32 v34, v19, v61
	v_fma_f32 v64, v19, v58, -v23
	v_fma_f32 v66, v19, v56, -v24
	v_fmac_f32_e32 v65, v19, v59
	v_fmac_f32_e32 v67, v20, v56
	ds_read_b128 v[23:26], v76 offset:256
	ds_read_b128 v[19:22], v76 offset:272
	ds_write2_b64 v78, v[31:32], v[33:34] offset1:67
	ds_write2_b64 v78, v[64:65], v[66:67] offset0:134 offset1:201
	s_waitcnt lgkmcnt(0)
	s_barrier
	buffer_gl0_inv
	ds_read2_b64 v[99:102], v79 offset1:1
	ds_read2_b64 v[103:106], v79 offset0:2 offset1:3
	s_waitcnt lgkmcnt(0)
	s_barrier
	buffer_gl0_inv
	global_load_dwordx2 v[70:71], v[27:28], off
	v_add_co_u32 v27, s3, v38, s34
	v_add_co_ci_u32_e64 v28, null, s33, v39, s3
	s_clause 0x2
	global_load_dwordx2 v[68:69], v[29:30], off
	global_load_dwordx2 v[66:67], v[107:108], off
	global_load_dwordx2 v[64:65], v[27:28], off
	ds_read_b64 v[27:28], v77
	v_add_f32_e32 v91, 0, v99
	v_add_f32_e32 v92, 0, v100
	;; [unrolled: 1-line block ×6, first 2 shown]
	s_waitcnt vmcnt(3) lgkmcnt(0)
	v_mul_f32_e32 v29, v28, v71
	v_mul_f32_e32 v108, v28, v70
	s_waitcnt vmcnt(2)
	v_mul_f32_e32 v30, v28, v69
	v_mul_f32_e32 v110, v28, v68
	s_waitcnt vmcnt(1)
	;; [unrolled: 3-line block ×3, first 2 shown]
	v_mul_f32_e32 v32, v28, v65
	v_mul_f32_e32 v114, v27, v65
	v_fma_f32 v107, v27, v70, -v29
	v_fma_f32 v109, v27, v68, -v30
	v_fmac_f32_e32 v108, v27, v71
	v_fmac_f32_e32 v110, v27, v69
	v_fma_f32 v111, v27, v66, -v31
	v_fma_f32 v113, v27, v64, -v32
	v_fmac_f32_e32 v112, v27, v67
	v_fmac_f32_e32 v114, v28, v64
	ds_read_b128 v[31:34], v76 offset:384
	ds_read_b128 v[27:30], v76 offset:400
	ds_write2_b64 v78, v[107:108], v[109:110] offset1:67
	ds_write2_b64 v78, v[111:112], v[113:114] offset0:134 offset1:201
	s_waitcnt lgkmcnt(0)
	s_barrier
	buffer_gl0_inv
	ds_read2_b64 v[107:110], v79 offset1:1
	ds_read2_b64 v[83:86], v79 offset0:2 offset1:3
	s_waitcnt lgkmcnt(0)
	s_barrier
	buffer_gl0_inv
	v_add_f32_e32 v93, 0, v107
	v_add_f32_e32 v94, 0, v108
	;; [unrolled: 1-line block ×10, first 2 shown]
	ds_write2_b64 v82, v[87:88], v[89:90] offset1:16
	ds_write2_b64 v82, v[83:84], v[85:86] offset0:32 offset1:48
	s_waitcnt lgkmcnt(0)
	s_barrier
	buffer_gl0_inv
	s_and_saveexec_b32 s17, s2
	s_cbranch_execz .LBB119_98
; %bb.102:                              ;   in Loop: Header=BB119_99 Depth=1
	ds_read_b64 v[95:96], v80
	ds_read2_b64 v[83:86], v80 offset0:1 offset1:2
	ds_read2_b64 v[87:90], v80 offset0:3 offset1:4
	;; [unrolled: 1-line block ×3, first 2 shown]
	s_waitcnt lgkmcnt(2)
	v_add_f32_e32 v83, v83, v95
	v_add_f32_e32 v84, v84, v96
	v_add_f32_e32 v95, v85, v83
	v_add_f32_e32 v96, v86, v84
	ds_read2_b64 v[83:86], v80 offset0:7 offset1:8
	s_waitcnt lgkmcnt(2)
	v_add_f32_e32 v87, v95, v87
	v_add_f32_e32 v88, v96, v88
	v_add_f32_e32 v95, v87, v89
	v_add_f32_e32 v96, v88, v90
	ds_read2_b64 v[87:90], v80 offset0:9 offset1:10
	;; [unrolled: 6-line block ×4, first 2 shown]
	s_waitcnt lgkmcnt(2)
	v_add_f32_e32 v87, v95, v87
	v_add_f32_e32 v88, v96, v88
	;; [unrolled: 1-line block ×4, first 2 shown]
	ds_read_b64 v[87:88], v81
	s_waitcnt lgkmcnt(2)
	v_add_f32_e32 v89, v89, v91
	v_add_f32_e32 v90, v90, v92
	;; [unrolled: 1-line block ×4, first 2 shown]
	s_waitcnt lgkmcnt(1)
	v_add_f32_e32 v83, v89, v83
	v_add_f32_e32 v84, v90, v84
	;; [unrolled: 1-line block ×4, first 2 shown]
	v_lshlrev_b64 v[83:84], 3, v[0:1]
	s_waitcnt lgkmcnt(0)
	v_add_f32_e32 v85, v85, v87
	v_add_f32_e32 v86, v86, v88
	v_add_co_u32 v83, s3, s7, v83
	v_add_co_ci_u32_e64 v84, null, s18, v84, s3
	global_store_dwordx2 v[83:84], v[85:86], off
	s_branch .LBB119_98
.LBB119_103:
	v_mad_u32_u24 v0, 0x218, v2, v72
	s_nor_b32 s0, s0, vcc_lo
	ds_write_b64 v0, v[36:37]
	s_waitcnt lgkmcnt(0)
	s_barrier
	buffer_gl0_inv
	s_and_saveexec_b32 s1, s0
	s_cbranch_execz .LBB119_105
; %bb.104:
	ds_read2_b64 v[0:3], v72 offset1:67
	ds_read2_b64 v[4:7], v72 offset0:134 offset1:201
	v_ashrrev_i32_e32 v36, 31, v35
	s_waitcnt lgkmcnt(1)
	v_add_f32_e32 v0, v2, v0
	v_add_f32_e32 v1, v3, v1
	s_waitcnt lgkmcnt(0)
	v_add_f32_e32 v2, v4, v0
	v_add_f32_e32 v3, v5, v1
	v_lshlrev_b64 v[0:1], 3, v[35:36]
	v_add_f32_e32 v2, v2, v6
	v_add_f32_e32 v3, v3, v7
	v_add_co_u32 v0, vcc_lo, s7, v0
	v_add_co_ci_u32_e64 v1, null, s18, v1, vcc_lo
	global_store_dwordx2 v[0:1], v[2:3], off
.LBB119_105:
	s_endpgm
	.section	.rodata,"a",@progbits
	.p2align	6, 0x0
	.amdhsa_kernel _ZL26rocblas_hemvn_kernel_lowerILb0ELi64ELi4ELi33ELi32ELi16EiPK19rocblas_complex_numIfES3_PS1_EviT6_lT7_lT5_lS6_lS7_lS5_lT8_i
		.amdhsa_group_segment_fixed_size 9600
		.amdhsa_private_segment_fixed_size 0
		.amdhsa_kernarg_size 376
		.amdhsa_user_sgpr_count 6
		.amdhsa_user_sgpr_private_segment_buffer 1
		.amdhsa_user_sgpr_dispatch_ptr 0
		.amdhsa_user_sgpr_queue_ptr 0
		.amdhsa_user_sgpr_kernarg_segment_ptr 1
		.amdhsa_user_sgpr_dispatch_id 0
		.amdhsa_user_sgpr_flat_scratch_init 0
		.amdhsa_user_sgpr_private_segment_size 0
		.amdhsa_wavefront_size32 1
		.amdhsa_uses_dynamic_stack 0
		.amdhsa_system_sgpr_private_segment_wavefront_offset 0
		.amdhsa_system_sgpr_workgroup_id_x 1
		.amdhsa_system_sgpr_workgroup_id_y 0
		.amdhsa_system_sgpr_workgroup_id_z 1
		.amdhsa_system_sgpr_workgroup_info 0
		.amdhsa_system_vgpr_workitem_id 1
		.amdhsa_next_free_vgpr 115
		.amdhsa_next_free_sgpr 46
		.amdhsa_reserve_vcc 1
		.amdhsa_reserve_flat_scratch 0
		.amdhsa_float_round_mode_32 0
		.amdhsa_float_round_mode_16_64 0
		.amdhsa_float_denorm_mode_32 3
		.amdhsa_float_denorm_mode_16_64 3
		.amdhsa_dx10_clamp 1
		.amdhsa_ieee_mode 1
		.amdhsa_fp16_overflow 0
		.amdhsa_workgroup_processor_mode 1
		.amdhsa_memory_ordered 1
		.amdhsa_forward_progress 1
		.amdhsa_shared_vgpr_count 0
		.amdhsa_exception_fp_ieee_invalid_op 0
		.amdhsa_exception_fp_denorm_src 0
		.amdhsa_exception_fp_ieee_div_zero 0
		.amdhsa_exception_fp_ieee_overflow 0
		.amdhsa_exception_fp_ieee_underflow 0
		.amdhsa_exception_fp_ieee_inexact 0
		.amdhsa_exception_int_div_zero 0
	.end_amdhsa_kernel
	.section	.text._ZL26rocblas_hemvn_kernel_lowerILb0ELi64ELi4ELi33ELi32ELi16EiPK19rocblas_complex_numIfES3_PS1_EviT6_lT7_lT5_lS6_lS7_lS5_lT8_i,"axG",@progbits,_ZL26rocblas_hemvn_kernel_lowerILb0ELi64ELi4ELi33ELi32ELi16EiPK19rocblas_complex_numIfES3_PS1_EviT6_lT7_lT5_lS6_lS7_lS5_lT8_i,comdat
.Lfunc_end119:
	.size	_ZL26rocblas_hemvn_kernel_lowerILb0ELi64ELi4ELi33ELi32ELi16EiPK19rocblas_complex_numIfES3_PS1_EviT6_lT7_lT5_lS6_lS7_lS5_lT8_i, .Lfunc_end119-_ZL26rocblas_hemvn_kernel_lowerILb0ELi64ELi4ELi33ELi32ELi16EiPK19rocblas_complex_numIfES3_PS1_EviT6_lT7_lT5_lS6_lS7_lS5_lT8_i
                                        ; -- End function
	.set _ZL26rocblas_hemvn_kernel_lowerILb0ELi64ELi4ELi33ELi32ELi16EiPK19rocblas_complex_numIfES3_PS1_EviT6_lT7_lT5_lS6_lS7_lS5_lT8_i.num_vgpr, 115
	.set _ZL26rocblas_hemvn_kernel_lowerILb0ELi64ELi4ELi33ELi32ELi16EiPK19rocblas_complex_numIfES3_PS1_EviT6_lT7_lT5_lS6_lS7_lS5_lT8_i.num_agpr, 0
	.set _ZL26rocblas_hemvn_kernel_lowerILb0ELi64ELi4ELi33ELi32ELi16EiPK19rocblas_complex_numIfES3_PS1_EviT6_lT7_lT5_lS6_lS7_lS5_lT8_i.numbered_sgpr, 46
	.set _ZL26rocblas_hemvn_kernel_lowerILb0ELi64ELi4ELi33ELi32ELi16EiPK19rocblas_complex_numIfES3_PS1_EviT6_lT7_lT5_lS6_lS7_lS5_lT8_i.num_named_barrier, 0
	.set _ZL26rocblas_hemvn_kernel_lowerILb0ELi64ELi4ELi33ELi32ELi16EiPK19rocblas_complex_numIfES3_PS1_EviT6_lT7_lT5_lS6_lS7_lS5_lT8_i.private_seg_size, 0
	.set _ZL26rocblas_hemvn_kernel_lowerILb0ELi64ELi4ELi33ELi32ELi16EiPK19rocblas_complex_numIfES3_PS1_EviT6_lT7_lT5_lS6_lS7_lS5_lT8_i.uses_vcc, 1
	.set _ZL26rocblas_hemvn_kernel_lowerILb0ELi64ELi4ELi33ELi32ELi16EiPK19rocblas_complex_numIfES3_PS1_EviT6_lT7_lT5_lS6_lS7_lS5_lT8_i.uses_flat_scratch, 0
	.set _ZL26rocblas_hemvn_kernel_lowerILb0ELi64ELi4ELi33ELi32ELi16EiPK19rocblas_complex_numIfES3_PS1_EviT6_lT7_lT5_lS6_lS7_lS5_lT8_i.has_dyn_sized_stack, 0
	.set _ZL26rocblas_hemvn_kernel_lowerILb0ELi64ELi4ELi33ELi32ELi16EiPK19rocblas_complex_numIfES3_PS1_EviT6_lT7_lT5_lS6_lS7_lS5_lT8_i.has_recursion, 0
	.set _ZL26rocblas_hemvn_kernel_lowerILb0ELi64ELi4ELi33ELi32ELi16EiPK19rocblas_complex_numIfES3_PS1_EviT6_lT7_lT5_lS6_lS7_lS5_lT8_i.has_indirect_call, 0
	.section	.AMDGPU.csdata,"",@progbits
; Kernel info:
; codeLenInByte = 7884
; TotalNumSgprs: 48
; NumVgprs: 115
; ScratchSize: 0
; MemoryBound: 1
; FloatMode: 240
; IeeeMode: 1
; LDSByteSize: 9600 bytes/workgroup (compile time only)
; SGPRBlocks: 0
; VGPRBlocks: 14
; NumSGPRsForWavesPerEU: 48
; NumVGPRsForWavesPerEU: 115
; Occupancy: 8
; WaveLimiterHint : 1
; COMPUTE_PGM_RSRC2:SCRATCH_EN: 0
; COMPUTE_PGM_RSRC2:USER_SGPR: 6
; COMPUTE_PGM_RSRC2:TRAP_HANDLER: 0
; COMPUTE_PGM_RSRC2:TGID_X_EN: 1
; COMPUTE_PGM_RSRC2:TGID_Y_EN: 0
; COMPUTE_PGM_RSRC2:TGID_Z_EN: 1
; COMPUTE_PGM_RSRC2:TIDIG_COMP_CNT: 1
	.section	.text._ZL26rocblas_hemvn_kernel_lowerILb0ELi64ELi4ELi33ELi32ELi16El19rocblas_complex_numIfEPKS1_PS1_EviT6_lT7_lT5_lS6_lS7_lS5_lT8_i,"axG",@progbits,_ZL26rocblas_hemvn_kernel_lowerILb0ELi64ELi4ELi33ELi32ELi16El19rocblas_complex_numIfEPKS1_PS1_EviT6_lT7_lT5_lS6_lS7_lS5_lT8_i,comdat
	.globl	_ZL26rocblas_hemvn_kernel_lowerILb0ELi64ELi4ELi33ELi32ELi16El19rocblas_complex_numIfEPKS1_PS1_EviT6_lT7_lT5_lS6_lS7_lS5_lT8_i ; -- Begin function _ZL26rocblas_hemvn_kernel_lowerILb0ELi64ELi4ELi33ELi32ELi16El19rocblas_complex_numIfEPKS1_PS1_EviT6_lT7_lT5_lS6_lS7_lS5_lT8_i
	.p2align	8
	.type	_ZL26rocblas_hemvn_kernel_lowerILb0ELi64ELi4ELi33ELi32ELi16El19rocblas_complex_numIfEPKS1_PS1_EviT6_lT7_lT5_lS6_lS7_lS5_lT8_i,@function
_ZL26rocblas_hemvn_kernel_lowerILb0ELi64ELi4ELi33ELi32ELi16El19rocblas_complex_numIfEPKS1_PS1_EviT6_lT7_lT5_lS6_lS7_lS5_lT8_i: ; @_ZL26rocblas_hemvn_kernel_lowerILb0ELi64ELi4ELi33ELi32ELi16El19rocblas_complex_numIfEPKS1_PS1_EviT6_lT7_lT5_lS6_lS7_lS5_lT8_i
; %bb.0:
	s_load_dwordx2 s[2:3], s[4:5], 0x84
	s_add_u32 s0, s4, 0x78
	s_addc_u32 s1, s5, 0
	s_waitcnt lgkmcnt(0)
	s_lshr_b32 s8, s2, 16
	s_and_b32 s2, s2, 0xffff
	s_and_b32 s3, s3, 0xffff
	s_mul_i32 s2, s8, s2
	s_mul_i32 s2, s2, s3
	s_cmpk_lg_i32 s2, 0x100
	s_cbranch_scc1 .LBB120_105
; %bb.1:
	s_load_dwordx2 s[2:3], s[4:5], 0x4
	s_waitcnt lgkmcnt(0)
	s_or_b32 s2, s2, s3
	s_mov_b32 s3, -1
	s_bitset0_b32 s2, 31
	s_cmp_lg_u32 s2, 0
	s_cselect_b32 s2, -1, 0
	s_and_b32 vcc_lo, exec_lo, s2
	s_cbranch_vccnz .LBB120_3
; %bb.2:
	s_load_dwordx2 s[8:9], s[4:5], 0x58
	s_waitcnt lgkmcnt(0)
	v_cmp_neq_f32_e64 s3, s8, 1.0
	v_cmp_neq_f32_e64 s8, s9, 0
	s_or_b32 s3, s3, s8
.LBB120_3:
	s_andn2_b32 vcc_lo, exec_lo, s3
	s_cbranch_vccnz .LBB120_105
; %bb.4:
	s_andn2_b32 vcc_lo, exec_lo, s2
	s_cbranch_vccnz .LBB120_105
; %bb.5:
	s_clause 0x1
	s_load_dwordx16 s[8:23], s[4:5], 0x18
	s_load_dword s26, s[4:5], 0x0
	s_load_dword s27, s[0:1], 0x0
	s_waitcnt lgkmcnt(0)
	s_mul_i32 s3, s23, s7
	s_mul_hi_u32 s23, s22, s7
	s_mul_i32 s2, s22, s7
	s_add_i32 s3, s23, s3
	s_lshl_b64 s[2:3], s[2:3], 3
	s_add_u32 s16, s16, s2
	s_addc_u32 s17, s17, s3
	s_lshl_b64 s[2:3], s[18:19], 3
	s_add_u32 s2, s16, s2
	s_addc_u32 s3, s17, s3
	s_lshl_b32 s16, s6, 6
	s_ashr_i32 s28, s26, 31
	v_add_nc_u32_e32 v34, s16, v0
	s_lshr_b32 s0, s28, 26
	s_add_i32 s17, s27, -1
	s_add_i32 s1, s26, s0
	v_cmp_ne_u32_e64 s0, 0, v1
	v_ashrrev_i32_e32 v35, 31, v34
	v_mul_lo_u32 v4, s21, v34
	v_mad_u64_u32 v[2:3], null, s20, v34, 0
	s_andn2_b32 s1, s1, 63
	v_mul_lo_u32 v5, s20, v35
	s_sub_i32 s18, s26, s1
	v_cmp_eq_u32_e64 s1, 0, v1
	s_cmp_eq_u32 s6, s17
	s_cselect_b32 s18, s18, 0
	v_add3_u32 v3, v3, v5, v4
	v_lshlrev_b64 v[2:3], 3, v[2:3]
	v_add_co_u32 v18, vcc_lo, s2, v2
	v_add_co_ci_u32_e64 v19, null, s3, v3, vcc_lo
	s_mov_b32 s2, -1
	s_and_saveexec_b32 s3, s1
	s_cbranch_execz .LBB120_10
; %bb.6:
	v_cmp_le_i32_e32 vcc_lo, s18, v0
	s_cmp_lg_u32 s18, 0
	v_lshl_add_u32 v2, v0, 3, 0x2380
	s_cselect_b32 s17, -1, 0
	s_and_b32 s17, s17, vcc_lo
	s_and_saveexec_b32 s19, s17
	s_xor_b32 s17, exec_lo, s19
; %bb.7:
	v_mov_b32_e32 v3, 0
	v_mov_b32_e32 v4, v3
	ds_write_b64 v2, v[3:4]
                                        ; implicit-def: $vgpr2
; %bb.8:
	s_andn2_saveexec_b32 s17, s17
	s_cbranch_execz .LBB120_10
; %bb.9:
	global_load_dwordx2 v[3:4], v[18:19], off
	s_waitcnt vmcnt(0)
	ds_write_b64 v2, v[3:4]
.LBB120_10:
	s_or_b32 exec_lo, exec_lo, s3
	v_lshl_add_u32 v24, v1, 6, v0
	v_and_b32_e32 v2, 31, v0
	v_mov_b32_e32 v3, 0
	s_mul_i32 s3, s15, s7
	s_mul_hi_u32 s15, s14, s7
	v_lshrrev_b32_e32 v7, 5, v24
	s_mul_i32 s14, s14, s7
	s_add_i32 s15, s15, s3
	s_lshl_b64 s[14:15], s[14:15], 3
	v_mad_u64_u32 v[3:4], null, s12, v7, v[2:3]
	s_add_u32 s3, s8, s14
	s_addc_u32 s14, s9, s15
	s_lshl_b64 s[8:9], s[10:11], 3
	s_mul_hi_u32 s10, s12, s16
	s_add_u32 s3, s3, s8
	s_addc_u32 s11, s14, s9
	v_mad_u64_u32 v[4:5], null, s13, v7, v[4:5]
	s_ashr_i32 s17, s16, 31
	s_mul_i32 s14, s13, s16
	s_lshl_b64 s[8:9], s[16:17], 3
	s_mul_i32 s15, s12, s17
	s_add_u32 s3, s3, s8
	s_addc_u32 s11, s11, s9
	v_lshlrev_b64 v[20:21], 3, v[3:4]
	s_add_i32 s9, s10, s15
	s_mul_i32 s8, s12, s16
	s_add_i32 s9, s9, s14
	s_lshl_b64 s[22:23], s[8:9], 3
	v_add_co_u32 v3, vcc_lo, s3, v20
	v_add_co_ci_u32_e64 v4, null, s11, v21, vcc_lo
	s_cmp_lg_u32 s18, 0
	v_add_co_u32 v3, vcc_lo, v3, s22
	v_add_co_ci_u32_e64 v4, null, s23, v4, vcc_lo
	s_cselect_b32 s29, -1, 0
	s_cmp_eq_u32 s18, 0
	s_cselect_b32 s11, -1, 0
	s_and_b32 vcc_lo, exec_lo, s29
	s_cbranch_vccnz .LBB120_12
; %bb.11:
	s_lshl_b64 s[2:3], s[12:13], 6
	v_mul_u32_u24_e32 v14, 0x108, v7
	v_add_co_u32 v5, vcc_lo, v3, s2
	v_add_co_ci_u32_e64 v6, null, s3, v4, vcc_lo
	v_lshl_add_u32 v14, v2, 3, v14
	v_add_co_u32 v8, vcc_lo, v5, s2
	v_add_co_ci_u32_e64 v9, null, s3, v6, vcc_lo
	v_add_co_u32 v10, vcc_lo, v8, s2
	v_add_co_ci_u32_e64 v11, null, s3, v9, vcc_lo
	s_clause 0x3
	global_load_dwordx2 v[12:13], v[3:4], off
	global_load_dwordx2 v[5:6], v[5:6], off
	;; [unrolled: 1-line block ×4, first 2 shown]
	s_mov_b32 s2, 0
	s_waitcnt vmcnt(3)
	ds_write_b64 v14, v[12:13]
	s_waitcnt vmcnt(2)
	ds_write_b64 v14, v[5:6] offset:2112
	s_waitcnt vmcnt(1)
	ds_write_b64 v14, v[8:9] offset:4224
	;; [unrolled: 2-line block ×3, first 2 shown]
.LBB120_12:
	v_lshlrev_b32_e32 v8, 3, v2
	s_andn2_b32 vcc_lo, exec_lo, s2
	s_cbranch_vccnz .LBB120_30
; %bb.13:
	v_lshlrev_b32_e32 v9, 3, v2
	s_ashr_i32 s19, s18, 31
	v_cmp_le_i32_e64 s2, s18, v7
	s_lshl_b64 s[8:9], s[18:19], 3
	v_mul_u32_u24_e32 v10, 0x108, v7
	v_sub_co_u32 v5, vcc_lo, v3, v9
	v_subrev_co_ci_u32_e64 v6, null, 0, v4, vcc_lo
	v_add_co_u32 v5, vcc_lo, v5, s8
	v_add_co_ci_u32_e64 v6, null, s9, v6, vcc_lo
	v_add_co_u32 v5, vcc_lo, v5, -8
	v_add_co_ci_u32_e64 v6, null, -1, v6, vcc_lo
	v_cmp_gt_i32_e32 vcc_lo, s18, v2
	v_cndmask_b32_e32 v6, v6, v4, vcc_lo
	v_cndmask_b32_e32 v5, v5, v3, vcc_lo
	s_and_saveexec_b32 s3, s2
	s_xor_b32 s2, exec_lo, s3
	s_cbranch_execz .LBB120_15
; %bb.14:
	v_mov_b32_e32 v11, 0
	v_add_nc_u32_e32 v13, v8, v10
	v_mov_b32_e32 v12, v11
	ds_write_b64 v13, v[11:12]
.LBB120_15:
	s_andn2_saveexec_b32 s2, s2
	s_cbranch_execz .LBB120_17
; %bb.16:
	global_load_dwordx2 v[11:12], v[5:6], off
	v_add_nc_u32_e32 v13, v8, v10
	s_waitcnt vmcnt(0)
	ds_write_b64 v13, v[11:12]
.LBB120_17:
	s_or_b32 exec_lo, exec_lo, s2
	v_add_nc_u32_e32 v11, 8, v7
	v_cmp_le_i32_e64 s2, s18, v11
	s_and_saveexec_b32 s3, s2
	s_xor_b32 s2, exec_lo, s3
	s_cbranch_execz .LBB120_19
; %bb.18:
	v_mov_b32_e32 v11, 0
	v_add_nc_u32_e32 v13, v10, v8
	v_mov_b32_e32 v12, v11
	ds_write_b64 v13, v[11:12] offset:2112
.LBB120_19:
	s_andn2_saveexec_b32 s3, s2
	s_cbranch_execz .LBB120_21
; %bb.20:
	s_lshl_b64 s[14:15], s[12:13], 6
	v_add_nc_u32_e32 v13, v10, v8
	v_add_co_u32 v11, s2, v5, s14
	v_add_co_ci_u32_e64 v12, null, s15, v6, s2
	global_load_dwordx2 v[11:12], v[11:12], off
	s_waitcnt vmcnt(0)
	ds_write_b64 v13, v[11:12] offset:2112
.LBB120_21:
	s_or_b32 exec_lo, exec_lo, s3
	v_add_nc_u32_e32 v11, 16, v7
	v_cmp_le_i32_e64 s2, s18, v11
	s_and_saveexec_b32 s3, s2
	s_xor_b32 s2, exec_lo, s3
	s_cbranch_execz .LBB120_23
; %bb.22:
	v_mov_b32_e32 v11, 0
	v_add_nc_u32_e32 v13, v10, v8
	v_mov_b32_e32 v12, v11
	ds_write_b64 v13, v[11:12] offset:4224
.LBB120_23:
	s_andn2_saveexec_b32 s3, s2
	s_cbranch_execz .LBB120_25
; %bb.24:
	s_lshl_b64 s[14:15], s[12:13], 7
	v_add_nc_u32_e32 v13, v10, v8
	v_add_co_u32 v11, s2, v5, s14
	v_add_co_ci_u32_e64 v12, null, s15, v6, s2
	global_load_dwordx2 v[11:12], v[11:12], off
	s_waitcnt vmcnt(0)
	ds_write_b64 v13, v[11:12] offset:4224
.LBB120_25:
	s_or_b32 exec_lo, exec_lo, s3
	v_add_nc_u32_e32 v11, 24, v7
	v_cmp_le_i32_e64 s2, s18, v11
	s_and_saveexec_b32 s3, s2
	s_xor_b32 s2, exec_lo, s3
	s_cbranch_execz .LBB120_27
; %bb.26:
	v_mov_b32_e32 v11, 0
	v_add_nc_u32_e32 v10, v10, v8
	v_mov_b32_e32 v12, v11
	ds_write_b64 v10, v[11:12] offset:6336
                                        ; implicit-def: $vgpr10
.LBB120_27:
	s_andn2_saveexec_b32 s2, s2
	s_cbranch_execz .LBB120_29
; %bb.28:
	v_mad_u64_u32 v[11:12], null, 0xc0, s12, v[5:6]
	v_add_nc_u32_e32 v10, v10, v8
	v_mad_u64_u32 v[12:13], null, 0xc0, s13, v[12:13]
	global_load_dwordx2 v[11:12], v[11:12], off
	s_waitcnt vmcnt(0)
	ds_write_b64 v10, v[11:12] offset:6336
.LBB120_29:
	s_or_b32 exec_lo, exec_lo, s2
	v_add_co_u32 v5, s2, v5, v9
	v_add_co_ci_u32_e64 v6, null, 0, v6, s2
	v_sub_co_u32 v5, s2, v5, s8
	v_subrev_co_ci_u32_e64 v6, null, s9, v6, s2
	v_add_co_u32 v5, s2, v5, 8
	v_add_co_ci_u32_e64 v6, null, 0, v6, s2
	v_cndmask_b32_e32 v3, v5, v3, vcc_lo
	v_cndmask_b32_e32 v4, v6, v4, vcc_lo
.LBB120_30:
	v_lshlrev_b32_e32 v5, 2, v7
	v_lshl_or_b32 v11, v2, 8, v8
	v_mad_u32_u24 v9, 0x420, v7, v8
	s_waitcnt lgkmcnt(0)
	s_barrier
	v_cmp_lt_u32_e64 s3, v5, v2
	buffer_gl0_inv
	s_and_saveexec_b32 s2, s3
	s_cbranch_execz .LBB120_32
; %bb.31:
	ds_read_b64 v[12:13], v9
	v_lshl_add_u32 v6, v5, 3, v11
	s_waitcnt lgkmcnt(0)
	ds_write_b64 v6, v[12:13]
.LBB120_32:
	s_or_b32 exec_lo, exec_lo, s2
	v_or_b32_e32 v6, 1, v5
	v_cmp_lt_u32_e64 s8, v6, v2
	v_mad_u32_u24 v10, 0x108, v6, v8
	s_and_saveexec_b32 s2, s8
	s_cbranch_execz .LBB120_34
; %bb.33:
	ds_read_b64 v[12:13], v10
	v_lshl_add_u32 v14, v5, 3, v11
	s_waitcnt lgkmcnt(0)
	ds_write_b64 v14, v[12:13] offset:8
.LBB120_34:
	s_or_b32 exec_lo, exec_lo, s2
	v_or_b32_e32 v12, 2, v5
	v_cmp_lt_u32_e64 s9, v12, v2
	s_and_saveexec_b32 s2, s9
	s_cbranch_execz .LBB120_36
; %bb.35:
	v_mad_u32_u24 v12, 0x108, v12, v8
	v_lshl_add_u32 v14, v5, 3, v11
	ds_read_b64 v[12:13], v12
	s_waitcnt lgkmcnt(0)
	ds_write_b64 v14, v[12:13] offset:16
.LBB120_36:
	s_or_b32 exec_lo, exec_lo, s2
	v_or_b32_e32 v13, 3, v5
	s_mov_b32 s2, exec_lo
                                        ; implicit-def: $vgpr12
	v_cmp_lt_u32_e64 s10, v13, v2
	v_cmpx_ge_u32_e64 v13, v2
	s_xor_b32 s2, exec_lo, s2
; %bb.37:
	v_mul_u32_u24_e32 v12, 0x108, v13
                                        ; implicit-def: $vgpr11
                                        ; implicit-def: $vgpr13
; %bb.38:
	s_andn2_saveexec_b32 s2, s2
	s_cbranch_execz .LBB120_40
; %bb.39:
	v_mad_u32_u24 v12, 0x108, v13, v8
	v_lshl_add_u32 v11, v5, 3, v11
	ds_read_b64 v[14:15], v12
	v_mul_u32_u24_e32 v12, 0x108, v13
	s_waitcnt lgkmcnt(0)
	ds_write_b64 v11, v[14:15] offset:24
.LBB120_40:
	s_or_b32 exec_lo, exec_lo, s2
	v_lshlrev_b32_e32 v13, 3, v5
	s_waitcnt lgkmcnt(0)
	s_barrier
	buffer_gl0_inv
	ds_read_b64 v[22:23], v9
	ds_read_b128 v[14:17], v13 offset:9088
	ds_read2_b64 v[25:28], v10 offset1:33
	v_add_nc_u32_e32 v9, v8, v12
	v_mul_u32_u24_e32 v12, 33, v2
	v_cmp_gt_u32_e64 s2, 32, v24
	ds_read_b128 v[29:32], v13 offset:9104
	ds_read_b64 v[10:11], v9
	s_waitcnt lgkmcnt(0)
	s_barrier
	buffer_gl0_inv
	v_mul_f32_e32 v33, v15, v23
	v_mul_f32_e32 v23, v14, v23
	;; [unrolled: 1-line block ×5, first 2 shown]
	v_fma_f32 v14, v14, v22, -v33
	v_fmac_f32_e32 v23, v15, v22
	v_mul_f32_e32 v28, v29, v28
	v_fma_f32 v16, v16, v25, -v36
	v_fmac_f32_e32 v26, v17, v25
	v_add_f32_e32 v14, 0, v14
	v_add_f32_e32 v17, 0, v23
	v_mul_f32_e32 v15, v32, v11
	v_mul_f32_e32 v11, v31, v11
	v_fma_f32 v22, v29, v27, -v37
	v_fmac_f32_e32 v28, v30, v27
	v_add_f32_e32 v14, v14, v16
	v_add_f32_e32 v16, v17, v26
	v_lshlrev_b32_e32 v25, 3, v12
	v_fma_f32 v12, v31, v10, -v15
	v_fmac_f32_e32 v11, v32, v10
	v_add_f32_e32 v10, v14, v22
	v_add_f32_e32 v14, v16, v28
	v_mov_b32_e32 v36, 0
	v_lshl_add_u32 v26, v7, 3, v25
	v_mov_b32_e32 v37, 0
	v_add_f32_e32 v10, v10, v12
	v_add_f32_e32 v11, v14, v11
	ds_write_b64 v26, v[10:11]
	s_waitcnt lgkmcnt(0)
	s_barrier
	buffer_gl0_inv
	s_and_saveexec_b32 s14, s2
	s_cbranch_execz .LBB120_42
; %bb.41:
	ds_read2_b64 v[14:17], v25 offset1:7
	ds_read2_b64 v[27:30], v25 offset0:1 offset1:2
	ds_read2_b64 v[36:39], v25 offset0:3 offset1:4
	ds_read2_b64 v[40:43], v25 offset0:5 offset1:6
	s_waitcnt lgkmcnt(2)
	v_add_f32_e32 v10, v27, v14
	v_add_f32_e32 v11, v28, v15
	v_add_f32_e32 v10, v29, v10
	v_add_f32_e32 v11, v30, v11
	s_waitcnt lgkmcnt(1)
	v_add_f32_e32 v10, v10, v36
	v_add_f32_e32 v11, v11, v37
	v_add_f32_e32 v10, v10, v38
	v_add_f32_e32 v11, v11, v39
	;; [unrolled: 5-line block ×3, first 2 shown]
	v_add_f32_e32 v36, v10, v16
	v_add_f32_e32 v37, v11, v17
.LBB120_42:
	s_or_b32 exec_lo, exec_lo, s14
	s_lshl_b64 s[14:15], s[12:13], 8
	v_cndmask_b32_e64 v10, 0, 1, s11
	v_add_co_u32 v3, vcc_lo, v3, s14
	v_add_co_ci_u32_e64 v4, null, s15, v4, vcc_lo
	v_add_co_u32 v11, vcc_lo, 0x100, v3
	v_add_co_ci_u32_e64 v12, null, 0, v4, vcc_lo
	s_andn2_b32 vcc_lo, exec_lo, s11
	s_mov_b32 s11, -1
	s_barrier
	buffer_gl0_inv
	s_cbranch_vccnz .LBB120_44
; %bb.43:
	s_lshl_b64 s[24:25], s[12:13], 6
	v_mad_u32_u24 v29, 0x108, v7, v8
	v_add_co_u32 v14, vcc_lo, v3, s24
	v_add_co_ci_u32_e64 v15, null, s25, v4, vcc_lo
	s_mov_b32 s11, 0
	v_add_co_u32 v16, vcc_lo, v14, s24
	v_add_co_ci_u32_e64 v17, null, s25, v15, vcc_lo
	v_add_co_u32 v22, vcc_lo, v16, s24
	v_add_co_ci_u32_e64 v23, null, s25, v17, vcc_lo
	s_clause 0x3
	global_load_dwordx2 v[27:28], v[3:4], off offset:256
	global_load_dwordx2 v[14:15], v[14:15], off offset:256
	;; [unrolled: 1-line block ×4, first 2 shown]
	s_waitcnt vmcnt(3)
	ds_write_b64 v29, v[27:28]
	s_waitcnt vmcnt(2)
	ds_write_b64 v29, v[14:15] offset:2112
	s_waitcnt vmcnt(1)
	ds_write_b64 v29, v[16:17] offset:4224
	;; [unrolled: 2-line block ×3, first 2 shown]
.LBB120_44:
	s_andn2_b32 vcc_lo, exec_lo, s11
	s_cbranch_vccnz .LBB120_62
; %bb.45:
	v_lshlrev_b32_e32 v14, 3, v2
	s_ashr_i32 s19, s18, 31
	v_or_b32_e32 v15, 32, v2
	s_lshl_b64 s[24:25], s[18:19], 3
	s_sub_i32 s19, s18, 32
	v_sub_co_u32 v3, vcc_lo, v3, v14
	v_subrev_co_ci_u32_e64 v4, null, 0, v4, vcc_lo
	v_cmp_le_i32_e64 s11, s19, v7
	v_add_co_u32 v3, vcc_lo, v3, s24
	v_add_co_ci_u32_e64 v4, null, s25, v4, vcc_lo
	v_add_co_u32 v3, vcc_lo, v3, -8
	v_add_co_ci_u32_e64 v4, null, -1, v4, vcc_lo
	v_cmp_gt_i32_e32 vcc_lo, s18, v15
	v_mul_u32_u24_e32 v15, 0x108, v7
	v_cndmask_b32_e32 v4, v4, v12, vcc_lo
	v_cndmask_b32_e32 v3, v3, v11, vcc_lo
	s_and_saveexec_b32 s30, s11
	s_xor_b32 s11, exec_lo, s30
	s_cbranch_execz .LBB120_47
; %bb.46:
	v_mov_b32_e32 v16, 0
	v_add_nc_u32_e32 v22, v8, v15
	v_mov_b32_e32 v17, v16
	ds_write_b64 v22, v[16:17]
.LBB120_47:
	s_andn2_saveexec_b32 s11, s11
	s_cbranch_execz .LBB120_49
; %bb.48:
	global_load_dwordx2 v[16:17], v[3:4], off
	v_add_nc_u32_e32 v22, v8, v15
	s_waitcnt vmcnt(0)
	ds_write_b64 v22, v[16:17]
.LBB120_49:
	s_or_b32 exec_lo, exec_lo, s11
	v_add_nc_u32_e32 v16, 8, v7
	v_cmp_le_i32_e64 s11, s19, v16
	s_and_saveexec_b32 s30, s11
	s_xor_b32 s11, exec_lo, s30
	s_cbranch_execz .LBB120_51
; %bb.50:
	v_mov_b32_e32 v16, 0
	v_add_nc_u32_e32 v22, v15, v8
	v_mov_b32_e32 v17, v16
	ds_write_b64 v22, v[16:17] offset:2112
.LBB120_51:
	s_andn2_saveexec_b32 s30, s11
	s_cbranch_execz .LBB120_53
; %bb.52:
	s_lshl_b64 s[34:35], s[12:13], 6
	v_add_nc_u32_e32 v22, v15, v8
	v_add_co_u32 v16, s11, v3, s34
	v_add_co_ci_u32_e64 v17, null, s35, v4, s11
	global_load_dwordx2 v[16:17], v[16:17], off
	s_waitcnt vmcnt(0)
	ds_write_b64 v22, v[16:17] offset:2112
.LBB120_53:
	s_or_b32 exec_lo, exec_lo, s30
	v_add_nc_u32_e32 v16, 16, v7
	v_cmp_le_i32_e64 s11, s19, v16
	s_and_saveexec_b32 s30, s11
	s_xor_b32 s11, exec_lo, s30
	s_cbranch_execz .LBB120_55
; %bb.54:
	v_mov_b32_e32 v16, 0
	v_add_nc_u32_e32 v22, v15, v8
	v_mov_b32_e32 v17, v16
	ds_write_b64 v22, v[16:17] offset:4224
.LBB120_55:
	s_andn2_saveexec_b32 s30, s11
	s_cbranch_execz .LBB120_57
; %bb.56:
	s_lshl_b64 s[34:35], s[12:13], 7
	v_add_nc_u32_e32 v22, v15, v8
	v_add_co_u32 v16, s11, v3, s34
	v_add_co_ci_u32_e64 v17, null, s35, v4, s11
	global_load_dwordx2 v[16:17], v[16:17], off
	s_waitcnt vmcnt(0)
	ds_write_b64 v22, v[16:17] offset:4224
.LBB120_57:
	s_or_b32 exec_lo, exec_lo, s30
	v_add_nc_u32_e32 v16, 24, v7
	v_cmp_le_i32_e64 s11, s19, v16
	s_and_saveexec_b32 s19, s11
	s_xor_b32 s11, exec_lo, s19
	s_cbranch_execz .LBB120_59
; %bb.58:
	v_mov_b32_e32 v16, 0
	v_add_nc_u32_e32 v15, v15, v8
	v_mov_b32_e32 v17, v16
	ds_write_b64 v15, v[16:17] offset:6336
                                        ; implicit-def: $vgpr15
.LBB120_59:
	s_andn2_saveexec_b32 s11, s11
	s_cbranch_execz .LBB120_61
; %bb.60:
	v_mad_u64_u32 v[16:17], null, 0xc0, s12, v[3:4]
	v_add_nc_u32_e32 v15, v15, v8
	v_mad_u64_u32 v[22:23], null, 0xc0, s13, v[17:18]
	v_mov_b32_e32 v17, v22
	global_load_dwordx2 v[16:17], v[16:17], off
	s_waitcnt vmcnt(0)
	ds_write_b64 v15, v[16:17] offset:6336
.LBB120_61:
	s_or_b32 exec_lo, exec_lo, s11
	v_add_co_u32 v3, s11, v3, v14
	v_add_co_ci_u32_e64 v4, null, 0, v4, s11
	v_sub_co_u32 v3, s11, v3, s24
	v_subrev_co_ci_u32_e64 v4, null, s25, v4, s11
	v_add_co_u32 v3, s11, 0x108, v3
	v_add_co_ci_u32_e64 v4, null, 0, v4, s11
	v_cndmask_b32_e32 v11, v3, v11, vcc_lo
	v_cndmask_b32_e32 v12, v4, v12, vcc_lo
.LBB120_62:
	v_mul_u32_u24_e32 v3, 0x420, v7
	v_add_nc_u32_e32 v4, 0x2380, v13
	v_mul_u32_u24_e32 v6, 0x108, v6
	s_lshl_b64 s[24:25], s[12:13], 5
	s_waitcnt lgkmcnt(0)
	v_add_nc_u32_e32 v3, v8, v3
	s_barrier
	buffer_gl0_inv
	s_and_saveexec_b32 s11, s3
	s_cbranch_execnz .LBB120_71
; %bb.63:
	s_or_b32 exec_lo, exec_lo, s11
	v_add_nc_u32_e32 v6, v8, v6
	s_and_saveexec_b32 s3, s8
	s_cbranch_execnz .LBB120_72
.LBB120_64:
	s_or_b32 exec_lo, exec_lo, s3
	s_and_saveexec_b32 s3, s9
	s_cbranch_execnz .LBB120_73
.LBB120_65:
	s_or_b32 exec_lo, exec_lo, s3
	s_and_saveexec_b32 s3, s10
	s_cbranch_execz .LBB120_67
.LBB120_66:
	ds_read_b64 v[13:14], v9
	v_lshl_add_u32 v15, v5, 3, v25
	s_waitcnt lgkmcnt(0)
	ds_write_b64 v15, v[13:14] offset:24
.LBB120_67:
	s_or_b32 exec_lo, exec_lo, s3
	s_waitcnt lgkmcnt(0)
	s_barrier
	buffer_gl0_inv
	ds_read_b64 v[22:23], v3
	ds_read_b128 v[13:16], v4 offset:256
	ds_read2_b64 v[27:30], v6 offset1:33
	ds_read_b128 v[38:41], v4 offset:272
	ds_read_b64 v[31:32], v9
	v_cmp_eq_u32_e64 s3, 1, v7
	s_waitcnt lgkmcnt(0)
	s_barrier
	buffer_gl0_inv
	v_mul_f32_e32 v3, v14, v23
	v_mul_f32_e32 v6, v13, v23
	;; [unrolled: 1-line block ×5, first 2 shown]
	v_fma_f32 v3, v13, v22, -v3
	v_fmac_f32_e32 v6, v14, v22
	v_mul_f32_e32 v28, v38, v30
	v_fma_f32 v9, v15, v27, -v9
	v_fmac_f32_e32 v17, v16, v27
	v_add_f32_e32 v3, 0, v3
	v_add_f32_e32 v6, 0, v6
	v_mul_f32_e32 v13, v41, v32
	v_mul_f32_e32 v14, v40, v32
	v_fma_f32 v15, v38, v29, -v23
	v_fmac_f32_e32 v28, v39, v29
	v_add_f32_e32 v3, v3, v9
	v_add_f32_e32 v6, v6, v17
	v_fma_f32 v9, v40, v31, -v13
	v_fmac_f32_e32 v14, v41, v31
	v_add_f32_e32 v3, v3, v15
	v_add_f32_e32 v6, v6, v28
	;; [unrolled: 1-line block ×4, first 2 shown]
	ds_write_b64 v26, v[13:14]
	s_waitcnt lgkmcnt(0)
	s_barrier
	buffer_gl0_inv
	s_and_saveexec_b32 s8, s3
	s_cbranch_execz .LBB120_69
; %bb.68:
	ds_read2_b64 v[13:16], v25 offset1:7
	ds_read2_b64 v[27:30], v25 offset0:1 offset1:2
	ds_read2_b64 v[36:39], v25 offset0:3 offset1:4
	ds_read2_b64 v[40:43], v25 offset0:5 offset1:6
	s_waitcnt lgkmcnt(2)
	v_add_f32_e32 v3, v27, v13
	v_add_f32_e32 v6, v28, v14
	v_add_f32_e32 v3, v29, v3
	v_add_f32_e32 v6, v30, v6
	s_waitcnt lgkmcnt(1)
	v_add_f32_e32 v3, v3, v36
	v_add_f32_e32 v6, v6, v37
	v_add_f32_e32 v3, v3, v38
	v_add_f32_e32 v6, v6, v39
	;; [unrolled: 5-line block ×3, first 2 shown]
	v_add_f32_e32 v36, v3, v15
	v_add_f32_e32 v37, v6, v16
.LBB120_69:
	s_or_b32 exec_lo, exec_lo, s8
	s_lshl_b64 s[8:9], s[24:25], 3
	v_cmp_ne_u32_e32 vcc_lo, 1, v10
	v_sub_co_u32 v22, s8, v11, s8
	v_subrev_co_ci_u32_e64 v23, null, s9, v12, s8
	s_barrier
	buffer_gl0_inv
	s_cbranch_vccnz .LBB120_74
; %bb.70:
	s_lshl_b64 s[8:9], s[12:13], 6
	global_load_dwordx2 v[12:13], v[22:23], off
	v_add_co_u32 v9, vcc_lo, v22, s8
	v_add_co_ci_u32_e64 v10, null, s9, v23, vcc_lo
	v_mul_u32_u24_e32 v6, 0x108, v7
	v_add_co_u32 v14, vcc_lo, v9, s8
	v_add_co_ci_u32_e64 v15, null, s9, v10, vcc_lo
	v_add_co_u32 v16, vcc_lo, v14, s8
	v_add_co_ci_u32_e64 v17, null, s9, v15, vcc_lo
	s_movk_i32 s8, 0x840
	s_clause 0x2
	global_load_dwordx2 v[27:28], v[9:10], off
	global_load_dwordx2 v[14:15], v[14:15], off
	global_load_dwordx2 v[16:17], v[16:17], off
	v_mad_u32_u24 v9, 0x108, v7, v8
	v_mad_u32_u24 v11, 0x108, v7, s8
	s_movk_i32 s8, 0x18c0
	s_movk_i32 s9, 0x1080
	v_add_nc_u32_e32 v10, 16, v7
	v_mad_u32_u24 v3, 0x108, v7, s9
	v_add_nc_u32_e32 v29, v8, v11
	v_add_nc_u32_e32 v30, v8, v3
	s_waitcnt vmcnt(3)
	ds_write_b64 v9, v[12:13]
	v_mad_u32_u24 v13, 0x108, v7, s8
	v_add_nc_u32_e32 v9, 8, v7
	v_add_nc_u32_e32 v12, 24, v7
	s_waitcnt vmcnt(2)
	ds_write_b64 v29, v[27:28]
	s_waitcnt vmcnt(1)
	ds_write_b64 v30, v[14:15]
	v_add_nc_u32_e32 v31, v8, v13
	s_waitcnt vmcnt(0)
	ds_write_b64 v31, v[16:17]
	s_cbranch_execz .LBB120_75
	s_branch .LBB120_92
.LBB120_71:
	ds_read_b64 v[13:14], v3
	v_lshl_add_u32 v15, v5, 3, v25
	s_waitcnt lgkmcnt(0)
	ds_write_b64 v15, v[13:14]
	s_or_b32 exec_lo, exec_lo, s11
	v_add_nc_u32_e32 v6, v8, v6
	s_and_saveexec_b32 s3, s8
	s_cbranch_execz .LBB120_64
.LBB120_72:
	ds_read_b64 v[13:14], v6
	v_lshl_add_u32 v15, v5, 3, v25
	s_waitcnt lgkmcnt(0)
	ds_write_b64 v15, v[13:14] offset:8
	s_or_b32 exec_lo, exec_lo, s3
	s_and_saveexec_b32 s3, s9
	s_cbranch_execz .LBB120_65
.LBB120_73:
	ds_read_b64 v[13:14], v6 offset:264
	v_lshl_add_u32 v15, v5, 3, v25
	s_waitcnt lgkmcnt(0)
	ds_write_b64 v15, v[13:14] offset:16
	s_or_b32 exec_lo, exec_lo, s3
	s_and_saveexec_b32 s3, s10
	s_cbranch_execnz .LBB120_66
	s_branch .LBB120_67
.LBB120_74:
                                        ; implicit-def: $vgpr6
                                        ; implicit-def: $vgpr9
                                        ; implicit-def: $vgpr11
                                        ; implicit-def: $vgpr10
                                        ; implicit-def: $vgpr3
                                        ; implicit-def: $vgpr12
                                        ; implicit-def: $vgpr13
.LBB120_75:
	v_lshlrev_b32_e32 v11, 3, v2
	s_ashr_i32 s19, s18, 31
	v_or_b32_e32 v2, 32, v2
	s_lshl_b64 s[10:11], s[18:19], 3
	v_cmp_le_i32_e64 s8, s18, v7
	v_sub_co_u32 v3, vcc_lo, v22, v11
	v_subrev_co_ci_u32_e64 v6, null, 0, v23, vcc_lo
	v_add_co_u32 v3, vcc_lo, v3, s10
	v_add_co_ci_u32_e64 v6, null, s11, v6, vcc_lo
	v_add_co_u32 v9, vcc_lo, 0xfffffef8, v3
	v_add_co_ci_u32_e64 v3, null, -1, v6, vcc_lo
	v_cmp_gt_i32_e32 vcc_lo, s18, v2
	v_mul_u32_u24_e32 v6, 0x108, v7
	v_cndmask_b32_e32 v3, v3, v23, vcc_lo
	v_cndmask_b32_e32 v2, v9, v22, vcc_lo
	s_and_saveexec_b32 s9, s8
	s_xor_b32 s8, exec_lo, s9
	s_cbranch_execz .LBB120_77
; %bb.76:
	v_mov_b32_e32 v9, 0
	v_add_nc_u32_e32 v12, v8, v6
	v_mov_b32_e32 v10, v9
	ds_write_b64 v12, v[9:10]
.LBB120_77:
	s_andn2_saveexec_b32 s8, s8
	s_cbranch_execz .LBB120_79
; %bb.78:
	global_load_dwordx2 v[9:10], v[2:3], off
	v_add_nc_u32_e32 v12, v8, v6
	s_waitcnt vmcnt(0)
	ds_write_b64 v12, v[9:10]
.LBB120_79:
	s_or_b32 exec_lo, exec_lo, s8
	v_add_nc_u32_e32 v9, 8, v7
	v_cmp_le_i32_e64 s8, s18, v9
	s_and_saveexec_b32 s9, s8
	s_xor_b32 s8, exec_lo, s9
	s_cbranch_execz .LBB120_81
; %bb.80:
	v_mov_b32_e32 v12, 0
	v_add_nc_u32_e32 v10, v6, v8
	v_mov_b32_e32 v13, v12
	ds_write_b64 v10, v[12:13] offset:2112
.LBB120_81:
	s_andn2_saveexec_b32 s9, s8
	s_cbranch_execz .LBB120_83
; %bb.82:
	s_lshl_b64 s[24:25], s[12:13], 6
	v_add_nc_u32_e32 v10, v6, v8
	v_add_co_u32 v12, s8, v2, s24
	v_add_co_ci_u32_e64 v13, null, s25, v3, s8
	global_load_dwordx2 v[12:13], v[12:13], off
	s_waitcnt vmcnt(0)
	ds_write_b64 v10, v[12:13] offset:2112
.LBB120_83:
	s_or_b32 exec_lo, exec_lo, s9
	v_add_nc_u32_e32 v10, 16, v7
	v_cmp_le_i32_e64 s8, s18, v10
	s_and_saveexec_b32 s9, s8
	s_xor_b32 s8, exec_lo, s9
	s_cbranch_execz .LBB120_85
; %bb.84:
	v_mov_b32_e32 v12, 0
	v_add_nc_u32_e32 v14, v6, v8
	v_mov_b32_e32 v13, v12
	ds_write_b64 v14, v[12:13] offset:4224
.LBB120_85:
	s_andn2_saveexec_b32 s9, s8
	s_cbranch_execz .LBB120_87
; %bb.86:
	s_lshl_b64 s[24:25], s[12:13], 7
	v_add_nc_u32_e32 v14, v6, v8
	v_add_co_u32 v12, s8, v2, s24
	v_add_co_ci_u32_e64 v13, null, s25, v3, s8
	global_load_dwordx2 v[12:13], v[12:13], off
	s_waitcnt vmcnt(0)
	ds_write_b64 v14, v[12:13] offset:4224
.LBB120_87:
	s_or_b32 exec_lo, exec_lo, s9
	v_add_nc_u32_e32 v12, 24, v7
                                        ; implicit-def: $vgpr13
	v_cmp_le_i32_e64 s8, s18, v12
	s_and_saveexec_b32 s9, s8
	s_xor_b32 s8, exec_lo, s9
	s_cbranch_execz .LBB120_89
; %bb.88:
	v_add_nc_u32_e32 v13, 0x18c0, v6
	v_mov_b32_e32 v14, 0
	v_add_nc_u32_e32 v16, v8, v13
	v_mov_b32_e32 v15, v14
	ds_write_b64 v16, v[14:15]
.LBB120_89:
	s_andn2_saveexec_b32 s8, s8
	s_cbranch_execz .LBB120_91
; %bb.90:
	v_mad_u64_u32 v[13:14], null, 0xc0, s12, v[2:3]
	v_mad_u64_u32 v[14:15], null, 0xc0, s13, v[14:15]
	global_load_dwordx2 v[14:15], v[13:14], off
	v_add_nc_u32_e32 v13, 0x18c0, v6
	v_add_nc_u32_e32 v16, v8, v13
	s_waitcnt vmcnt(0)
	ds_write_b64 v16, v[14:15]
.LBB120_91:
	s_or_b32 exec_lo, exec_lo, s8
	v_add_co_u32 v2, s8, v2, v11
	v_add_co_ci_u32_e64 v3, null, 0, v3, s8
	v_add_nc_u32_e32 v11, 0x840, v6
	v_sub_co_u32 v2, s8, v2, s10
	v_subrev_co_ci_u32_e64 v3, null, s11, v3, s8
	v_add_co_u32 v2, s8, 0x108, v2
	v_add_co_ci_u32_e64 v3, null, 0, v3, s8
	v_cndmask_b32_e32 v22, v2, v22, vcc_lo
	v_cndmask_b32_e32 v23, v3, v23, vcc_lo
	v_add_nc_u32_e32 v3, 0x1080, v6
.LBB120_92:
	v_add_nc_u32_e32 v2, v8, v6
	v_lshlrev_b32_e32 v6, 3, v7
	v_add_nc_u32_e32 v7, v8, v11
	v_lshlrev_b32_e32 v9, 3, v9
	v_add_nc_u32_e32 v3, v8, v3
	s_waitcnt lgkmcnt(0)
	s_barrier
	buffer_gl0_inv
	v_lshlrev_b32_e32 v10, 3, v10
	v_add_nc_u32_e32 v8, v8, v13
	v_lshlrev_b32_e32 v11, 3, v12
	ds_read_b64 v[27:28], v2
	ds_read_b64 v[29:30], v6 offset:9088
	ds_read_b64 v[31:32], v7
	ds_read_b64 v[38:39], v9 offset:9088
	;; [unrolled: 2-line block ×3, first 2 shown]
	ds_read2_b32 v[44:45], v8 offset1:1
	ds_read_b64 v[46:47], v11 offset:9088
	v_lshl_add_u32 v6, v5, 3, v25
	ds_read_b128 v[10:13], v4 offset:256
	ds_read_b128 v[2:5], v4 offset:272
	ds_read2_b64 v[14:17], v6 offset1:1
	ds_read2_b64 v[6:9], v6 offset0:2 offset1:3
	s_waitcnt lgkmcnt(0)
	s_barrier
	buffer_gl0_inv
	v_mul_f32_e32 v33, v30, v28
	v_mul_f32_e32 v28, v29, v28
	;; [unrolled: 1-line block ×5, first 2 shown]
	v_fma_f32 v29, v29, v27, -v33
	v_fmac_f32_e32 v28, v30, v27
	v_mul_f32_e32 v27, v42, v41
	v_fma_f32 v30, v38, v31, -v48
	v_fmac_f32_e32 v32, v39, v31
	v_add_f32_e32 v29, 0, v29
	v_add_f32_e32 v28, 0, v28
	v_mul_f32_e32 v50, v47, v45
	v_mul_f32_e32 v31, v46, v45
	v_fma_f32 v33, v42, v40, -v49
	v_fmac_f32_e32 v27, v43, v40
	v_add_f32_e32 v29, v29, v30
	v_add_f32_e32 v28, v28, v32
	v_fma_f32 v30, v46, v44, -v50
	v_fmac_f32_e32 v31, v47, v44
	v_add_f32_e32 v29, v29, v33
	v_add_f32_e32 v28, v28, v27
	;; [unrolled: 1-line block ×4, first 2 shown]
	ds_write_b64 v26, v[27:28]
	s_waitcnt lgkmcnt(0)
	s_barrier
	buffer_gl0_inv
	s_and_saveexec_b32 s8, s3
	s_cbranch_execz .LBB120_94
; %bb.93:
	ds_read2_b64 v[27:30], v25 offset1:1
	ds_read2_b64 v[38:41], v25 offset0:2 offset1:3
	ds_read2_b64 v[42:45], v25 offset0:4 offset1:5
	s_waitcnt lgkmcnt(2)
	v_add_f32_e32 v27, v36, v27
	v_add_f32_e32 v28, v37, v28
	;; [unrolled: 1-line block ×4, first 2 shown]
	ds_read2_b64 v[27:30], v25 offset0:6 offset1:7
	s_waitcnt lgkmcnt(2)
	v_add_f32_e32 v31, v31, v38
	v_add_f32_e32 v32, v32, v39
	v_add_f32_e32 v31, v31, v40
	v_add_f32_e32 v32, v32, v41
	s_waitcnt lgkmcnt(1)
	v_add_f32_e32 v31, v31, v42
	v_add_f32_e32 v32, v32, v43
	v_add_f32_e32 v31, v31, v44
	v_add_f32_e32 v32, v32, v45
	s_waitcnt lgkmcnt(0)
	v_add_f32_e32 v27, v31, v27
	v_add_f32_e32 v28, v32, v28
	v_add_f32_e32 v36, v27, v29
	v_add_f32_e32 v37, v28, v30
.LBB120_94:
	s_or_b32 exec_lo, exec_lo, s8
	v_mul_f32_e32 v27, v11, v15
	v_mul_f32_e32 v15, v10, v15
	v_mul_f32_e32 v28, v13, v17
	v_mul_f32_e32 v17, v12, v17
	v_mul_f32_e32 v29, v3, v7
	v_fma_f32 v10, v10, v14, -v27
	v_fmac_f32_e32 v15, v11, v14
	v_mul_f32_e32 v7, v2, v7
	v_fma_f32 v12, v12, v16, -v28
	v_fmac_f32_e32 v17, v13, v16
	v_add_f32_e32 v10, 0, v10
	v_add_f32_e32 v13, 0, v15
	v_mul_f32_e32 v11, v5, v9
	v_mul_f32_e32 v9, v4, v9
	v_fma_f32 v2, v2, v6, -v29
	v_add_f32_e32 v10, v10, v12
	v_fmac_f32_e32 v7, v3, v6
	v_add_f32_e32 v3, v13, v17
	v_fma_f32 v4, v4, v8, -v11
	v_fmac_f32_e32 v9, v5, v8
	v_add_f32_e32 v2, v10, v2
	v_add_f32_e32 v3, v3, v7
	s_barrier
	buffer_gl0_inv
	v_add_f32_e32 v2, v2, v4
	v_add_f32_e32 v3, v3, v9
	ds_write_b64 v26, v[2:3]
	s_waitcnt lgkmcnt(0)
	s_barrier
	buffer_gl0_inv
	s_and_saveexec_b32 s3, s2
	s_cbranch_execz .LBB120_96
; %bb.95:
	ds_read2_b64 v[2:5], v25 offset1:1
	ds_read2_b64 v[6:9], v25 offset0:2 offset1:3
	ds_read2_b64 v[10:13], v25 offset0:4 offset1:5
	s_waitcnt lgkmcnt(2)
	v_add_f32_e32 v2, v36, v2
	v_add_f32_e32 v3, v37, v3
	;; [unrolled: 1-line block ×4, first 2 shown]
	ds_read2_b64 v[2:5], v25 offset0:6 offset1:7
	s_waitcnt lgkmcnt(2)
	v_add_f32_e32 v6, v14, v6
	v_add_f32_e32 v7, v15, v7
	v_add_f32_e32 v6, v6, v8
	v_add_f32_e32 v7, v7, v9
	s_waitcnt lgkmcnt(1)
	v_add_f32_e32 v6, v6, v10
	v_add_f32_e32 v7, v7, v11
	v_add_f32_e32 v6, v6, v12
	v_add_f32_e32 v7, v7, v13
	;; [unrolled: 5-line block ×3, first 2 shown]
.LBB120_96:
	s_or_b32 exec_lo, exec_lo, s3
	s_load_dwordx2 s[2:3], s[4:5], 0x68
	s_mul_hi_u32 s4, s26, s7
	s_mul_i32 s28, s28, s7
	s_mul_i32 s5, s26, s7
	s_add_i32 s4, s4, s28
	s_mul_hi_u32 s7, s5, s27
	s_mul_i32 s8, s4, s27
	s_mul_i32 s4, s5, s27
	s_add_i32 s5, s7, s8
	s_mul_i32 s8, s26, s6
	s_lshl_b64 s[4:5], s[4:5], 3
	v_cmp_le_i32_e32 vcc_lo, s18, v0
	v_lshlrev_b32_e32 v74, 3, v0
	s_waitcnt lgkmcnt(0)
	s_barrier
	buffer_gl0_inv
	s_add_u32 s4, s2, s4
	s_addc_u32 s5, s3, s5
	s_ashr_i32 s9, s8, 31
	s_lshl_b64 s[2:3], s[8:9], 3
	s_add_u32 s7, s4, s2
	s_addc_u32 s24, s5, s3
	s_and_b32 vcc_lo, s29, vcc_lo
	s_cmp_lt_i32 s6, 1
	s_cbranch_scc1 .LBB120_103
; %bb.97:
	v_lshlrev_b32_e32 v4, 2, v1
	v_sub_co_u32 v6, s2, v22, s22
	v_subrev_co_ci_u32_e64 v7, null, s23, v23, s2
	v_mad_u64_u32 v[2:3], null, s12, v4, 0
	v_sub_co_u32 v6, s2, v6, v20
	v_sub_co_ci_u32_e64 v7, null, v7, v21, s2
	s_ashr_i32 s19, s18, 31
	s_mul_i32 s3, s20, s17
	v_mad_u64_u32 v[3:4], null, s13, v4, v[3:4]
	s_lshl_b64 s[8:9], s[18:19], 3
	s_mul_hi_u32 s5, s20, s16
	s_mul_i32 s10, s21, s16
	s_add_i32 s3, s5, s3
	s_mul_i32 s4, s20, s16
	s_add_i32 s5, s3, s10
	v_lshlrev_b64 v[2:3], 3, v[2:3]
	s_mul_i32 s3, s13, 24
	s_mul_hi_u32 s16, s12, 24
	s_mul_hi_u32 s18, s12, 0x90
	s_add_i32 s16, s16, s3
	s_mul_i32 s3, s13, 0x90
	v_add_co_u32 v2, s2, v6, v2
	v_add_co_ci_u32_e64 v3, null, v7, v3, s2
	v_lshrrev_b32_e32 v4, 4, v24
	v_add_co_u32 v6, s2, v2, s8
	v_add_co_ci_u32_e64 v7, null, s9, v3, s2
	v_add_co_u32 v2, s2, v2, v74
	v_add_co_ci_u32_e64 v3, null, 0, v3, s2
	v_add_co_u32 v6, s2, 0xfffffef8, v6
	v_add_co_ci_u32_e64 v7, null, -1, v7, s2
	v_add_co_u32 v2, s2, 0xffffff00, v2
	v_add_co_ci_u32_e64 v3, null, -1, v3, s2
	s_add_i32 s18, s18, s3
	s_mul_i32 s3, s13, 0x98
	s_mul_hi_u32 s22, s12, 0x98
	s_mul_hi_u32 s25, s12, 0x110
	s_add_i32 s22, s22, s3
	s_mul_i32 s3, s13, 0x110
	s_mul_hi_u32 s27, s12, 0x118
	s_add_i32 s25, s25, s3
	s_mul_i32 s3, s13, 0x118
	v_and_b32_e32 v5, 15, v0
	v_cndmask_b32_e32 v41, v3, v7, vcc_lo
	v_cndmask_b32_e32 v40, v2, v6, vcc_lo
	v_and_b32_e32 v2, 48, v0
	v_lshlrev_b32_e32 v3, 5, v4
	s_add_i32 s27, s27, s3
	s_mul_i32 s3, s13, 0x190
	s_mul_hi_u32 s29, s12, 0x190
	s_mul_hi_u32 s31, s12, 0x198
	s_add_i32 s29, s29, s3
	s_mul_i32 s3, s13, 0x198
	v_lshlrev_b32_e32 v2, 3, v2
	v_or_b32_e32 v6, 0x78, v74
	v_mad_u32_u24 v81, 0x218, v5, v3
	v_mul_i32_i24_e32 v3, 0xffffffe8, v4
	s_add_i32 s31, s31, s3
	s_mul_i32 s3, s13, 0x188
	s_mul_hi_u32 s34, s12, 0x188
	s_lshl_b64 s[4:5], s[4:5], 3
	s_add_i32 s34, s34, s3
	s_mul_i32 s3, s13, 0x180
	s_mul_hi_u32 s36, s12, 0x180
	v_sub_co_u32 v75, s2, v18, s4
	s_add_i32 s36, s36, s3
	s_mul_i32 s3, s13, 0x108
	s_mul_hi_u32 s38, s12, 0x108
	v_mov_b32_e32 v39, 0
	v_subrev_co_ci_u32_e64 v76, null, s5, v19, s2
	v_add_nc_u32_e32 v77, 0x2180, v74
	v_lshl_add_u32 v78, v1, 5, 0x2180
	v_add_nc_u32_e32 v79, 0x2380, v74
	v_mad_u32_u24 v80, 0x860, v1, v74
	v_cmp_gt_u32_e64 s2, 64, v24
	v_mad_u32_u24 v82, 0x218, v5, v2
	v_mad_u32_u24 v83, 0x218, v5, v6
	v_add_nc_u32_e32 v84, v81, v3
	s_add_i32 s38, s38, s3
	s_mul_i32 s3, s13, 0x88
	s_mul_hi_u32 s40, s12, 0x88
	s_lshl_b64 s[4:5], s[12:13], 3
	s_lshl_b64 s[8:9], s[12:13], 9
	;; [unrolled: 1-line block ×3, first 2 shown]
	s_mul_i32 s17, s12, 24
	s_mul_i32 s19, s12, 0x90
	s_mul_i32 s23, s12, 0x98
	s_mul_i32 s26, s12, 0x110
	s_mul_i32 s28, s12, 0x118
	s_mul_i32 s30, s12, 0x190
	s_mul_i32 s33, s12, 0x198
	s_mul_i32 s35, s12, 0x188
	s_mul_i32 s37, s12, 0x180
	s_mul_i32 s39, s12, 0x108
	s_add_i32 s40, s40, s3
	s_mul_i32 s41, s12, 0x88
	s_lshl_b64 s[12:13], s[12:13], 7
	s_mov_b32 s42, 0
	s_branch .LBB120_99
.LBB120_98:                             ;   in Loop: Header=BB120_99 Depth=1
	s_or_b32 exec_lo, exec_lo, s43
	v_mul_f32_e32 v38, v7, v43
	v_mul_f32_e32 v7, v7, v42
	;; [unrolled: 1-line block ×5, first 2 shown]
	v_fma_f32 v38, v6, v42, -v38
	v_fmac_f32_e32 v7, v6, v43
	v_fma_f32 v48, v8, v48, -v85
	v_mul_f32_e32 v3, v3, v46
	v_mul_f32_e32 v42, v5, v45
	v_add_f32_e32 v36, v36, v38
	v_fma_f32 v6, v2, v46, -v86
	v_fmac_f32_e32 v9, v8, v49
	v_add_f32_e32 v7, v37, v7
	v_mul_f32_e32 v5, v5, v44
	v_add_f32_e32 v36, v36, v48
	v_mul_f32_e32 v38, v15, v57
	v_fma_f32 v8, v4, v44, -v42
	v_fmac_f32_e32 v3, v2, v47
	v_add_f32_e32 v2, v7, v9
	v_add_f32_e32 v6, v36, v6
	v_mul_f32_e32 v15, v15, v56
	v_mul_f32_e32 v43, v17, v55
	v_fma_f32 v7, v14, v56, -v38
	v_fmac_f32_e32 v5, v4, v45
	v_add_f32_e32 v6, v6, v8
	v_add_f32_e32 v2, v2, v3
	v_mul_f32_e32 v17, v17, v54
	v_mul_f32_e32 v8, v11, v53
	v_fma_f32 v3, v16, v54, -v43
	v_add_f32_e32 v4, v6, v7
	v_fmac_f32_e32 v15, v14, v57
	v_add_f32_e32 v2, v2, v5
	v_mul_f32_e32 v6, v13, v51
	v_fma_f32 v5, v10, v52, -v8
	v_add_f32_e32 v3, v4, v3
	v_mul_f32_e32 v4, v11, v52
	v_fmac_f32_e32 v17, v16, v55
	v_add_f32_e32 v2, v2, v15
	v_fma_f32 v6, v12, v50, -v6
	v_add_f32_e32 v3, v3, v5
	v_mul_f32_e32 v5, v23, v65
	v_fmac_f32_e32 v4, v10, v53
	v_add_f32_e32 v2, v2, v17
	v_mul_f32_e32 v7, v13, v50
	v_add_f32_e32 v3, v3, v6
	v_fma_f32 v5, v22, v64, -v5
	v_mul_f32_e32 v6, v25, v63
	v_add_f32_e32 v2, v2, v4
	v_fmac_f32_e32 v7, v12, v51
	v_mul_f32_e32 v4, v23, v64
	v_add_f32_e32 v3, v3, v5
	v_fma_f32 v5, v24, v62, -v6
	v_mul_f32_e32 v6, v19, v61
	v_add_f32_e32 v2, v2, v7
	v_fmac_f32_e32 v4, v22, v65
	;; [unrolled: 6-line block ×4, first 2 shown]
	v_mul_f32_e32 v7, v21, v58
	v_add_f32_e32 v3, v3, v5
	v_mul_f32_e32 v5, v33, v71
	v_mul_f32_e32 v8, v29, v66
	v_add_f32_e32 v2, v2, v4
	v_fma_f32 v4, v30, v72, -v6
	v_fmac_f32_e32 v7, v20, v59
	v_mul_f32_e32 v6, v31, v72
	v_fmac_f32_e32 v8, v28, v67
	v_add_co_u32 v40, s3, v40, s8
	v_add_f32_e32 v3, v3, v4
	v_fma_f32 v4, v32, v70, -v5
	v_add_f32_e32 v2, v2, v7
	v_mul_f32_e32 v5, v33, v70
	v_fmac_f32_e32 v6, v30, v73
	v_mul_f32_e32 v7, v27, v69
	v_add_f32_e32 v3, v3, v4
	v_mul_f32_e32 v4, v27, v68
	v_fmac_f32_e32 v5, v32, v71
	v_add_f32_e32 v2, v2, v6
	v_fma_f32 v6, v26, v68, -v7
	v_mul_f32_e32 v7, v29, v67
	v_fmac_f32_e32 v4, v26, v69
	v_add_co_ci_u32_e64 v41, null, s9, v41, s3
	v_add_f32_e32 v2, v2, v5
	v_add_f32_e32 v3, v3, v6
	v_fma_f32 v5, v28, v66, -v7
	s_add_i32 s6, s6, -1
	s_add_i32 s42, s42, 64
	v_add_f32_e32 v2, v2, v4
	s_cmp_eq_u32 s6, 0
	v_add_f32_e32 v36, v3, v5
	s_waitcnt_vscnt null, 0x0
	s_barrier
	v_add_f32_e32 v37, v2, v8
	buffer_gl0_inv
	s_cbranch_scc1 .LBB120_103
.LBB120_99:                             ; =>This Inner Loop Header: Depth=1
	s_and_saveexec_b32 s43, s1
	s_cbranch_execz .LBB120_101
; %bb.100:                              ;   in Loop: Header=BB120_99 Depth=1
	s_mul_i32 s3, s21, s42
	s_mul_hi_u32 s45, s20, s42
	s_mul_i32 s44, s20, s42
	s_add_i32 s45, s45, s3
	s_lshl_b64 s[44:45], s[44:45], 3
	v_add_co_u32 v2, s3, v75, s44
	v_add_co_ci_u32_e64 v3, null, s45, v76, s3
	global_load_dwordx2 v[2:3], v[2:3], off
	s_waitcnt vmcnt(0)
	ds_write_b64 v77, v[2:3]
.LBB120_101:                            ;   in Loop: Header=BB120_99 Depth=1
	s_or_b32 exec_lo, exec_lo, s43
	v_add_co_u32 v2, s3, v40, s4
	v_add_co_ci_u32_e64 v3, null, s5, v41, s3
	v_add_co_u32 v4, s3, v40, s10
	v_add_co_ci_u32_e64 v5, null, s11, v41, s3
	v_add_co_u32 v6, s3, v40, s17
	v_add_co_ci_u32_e64 v7, null, s16, v41, s3
	s_waitcnt lgkmcnt(0)
	s_barrier
	buffer_gl0_inv
	s_clause 0x3
	global_load_dwordx2 v[42:43], v[40:41], off
	global_load_dwordx2 v[48:49], v[2:3], off
	;; [unrolled: 1-line block ×4, first 2 shown]
	ds_read_b64 v[10:11], v79
	ds_read_b128 v[6:9], v78
	ds_read_b128 v[2:5], v78 offset:16
	v_add_co_u32 v12, s3, v40, s12
	v_add_co_ci_u32_e64 v13, null, s13, v41, s3
	v_add_co_u32 v16, s3, v40, s41
	v_add_co_ci_u32_e64 v17, null, s40, v41, s3
	s_waitcnt vmcnt(2) lgkmcnt(2)
	v_mul_f32_e32 v18, v11, v49
	v_mul_f32_e32 v14, v11, v43
	;; [unrolled: 1-line block ×4, first 2 shown]
	s_waitcnt vmcnt(1)
	v_mul_f32_e32 v20, v11, v47
	v_mul_f32_e32 v21, v11, v46
	s_waitcnt vmcnt(0)
	v_mul_f32_e32 v22, v11, v45
	v_mul_f32_e32 v23, v10, v45
	v_fma_f32 v14, v10, v42, -v14
	v_fmac_f32_e32 v15, v10, v43
	v_fma_f32 v18, v10, v48, -v18
	v_fmac_f32_e32 v19, v10, v49
	;; [unrolled: 2-line block ×4, first 2 shown]
	v_add_co_u32 v10, s3, v40, s19
	v_add_co_ci_u32_e64 v11, null, s18, v41, s3
	ds_write2_b64 v80, v[14:15], v[18:19] offset1:67
	ds_write2_b64 v80, v[20:21], v[22:23] offset0:134 offset1:201
	s_waitcnt lgkmcnt(0)
	s_barrier
	buffer_gl0_inv
	ds_read2_b64 v[85:88], v81 offset1:1
	ds_read2_b64 v[89:92], v81 offset0:2 offset1:3
	s_waitcnt lgkmcnt(0)
	s_barrier
	buffer_gl0_inv
	global_load_dwordx2 v[56:57], v[12:13], off
	v_add_co_u32 v12, s3, v40, s23
	v_add_co_ci_u32_e64 v13, null, s22, v41, s3
	s_clause 0x2
	global_load_dwordx2 v[54:55], v[16:17], off
	global_load_dwordx2 v[52:53], v[10:11], off
	;; [unrolled: 1-line block ×3, first 2 shown]
	ds_read_b64 v[10:11], v79
	v_add_co_u32 v18, s3, v40, s14
	v_add_co_ci_u32_e64 v19, null, s15, v41, s3
	v_add_co_u32 v20, s3, v40, s39
	v_add_co_ci_u32_e64 v21, null, s38, v41, s3
	;; [unrolled: 2-line block ×4, first 2 shown]
	v_add_f32_e32 v38, 0, v85
	v_add_f32_e32 v85, 0, v86
	v_add_f32_e32 v38, v38, v87
	v_add_f32_e32 v85, v85, v88
	v_add_f32_e32 v38, v38, v89
	v_add_f32_e32 v90, v85, v90
	v_add_f32_e32 v89, v38, v91
	v_add_f32_e32 v90, v90, v92
	s_waitcnt vmcnt(3) lgkmcnt(0)
	v_mul_f32_e32 v12, v11, v57
	v_mul_f32_e32 v25, v11, v56
	s_waitcnt vmcnt(2)
	v_mul_f32_e32 v13, v11, v55
	v_mul_f32_e32 v27, v11, v54
	s_waitcnt vmcnt(1)
	;; [unrolled: 3-line block ×3, first 2 shown]
	v_mul_f32_e32 v15, v11, v51
	v_mul_f32_e32 v31, v10, v51
	v_fma_f32 v24, v10, v56, -v12
	v_fmac_f32_e32 v25, v10, v57
	v_fma_f32 v26, v10, v54, -v13
	v_fmac_f32_e32 v27, v10, v55
	;; [unrolled: 2-line block ×4, first 2 shown]
	ds_read_b128 v[14:17], v78 offset:128
	ds_read_b128 v[10:13], v78 offset:144
	ds_write2_b64 v80, v[24:25], v[26:27] offset1:67
	ds_write2_b64 v80, v[28:29], v[30:31] offset0:134 offset1:201
	s_waitcnt lgkmcnt(0)
	s_barrier
	buffer_gl0_inv
	ds_read2_b64 v[93:96], v81 offset1:1
	ds_read2_b64 v[97:100], v81 offset0:2 offset1:3
	s_waitcnt lgkmcnt(0)
	s_barrier
	buffer_gl0_inv
	s_clause 0x3
	global_load_dwordx2 v[64:65], v[18:19], off
	global_load_dwordx2 v[62:63], v[20:21], off
	;; [unrolled: 1-line block ×4, first 2 shown]
	ds_read_b64 v[18:19], v79
	v_add_co_u32 v26, s3, v40, s37
	v_add_co_ci_u32_e64 v27, null, s36, v41, s3
	v_add_co_u32 v28, s3, v40, s35
	v_add_co_ci_u32_e64 v29, null, s34, v41, s3
	;; [unrolled: 2-line block ×3, first 2 shown]
	v_add_f32_e32 v93, 0, v93
	v_add_f32_e32 v94, 0, v94
	;; [unrolled: 1-line block ×7, first 2 shown]
	s_waitcnt vmcnt(3) lgkmcnt(0)
	v_mul_f32_e32 v20, v19, v65
	v_mul_f32_e32 v31, v19, v64
	s_waitcnt vmcnt(2)
	v_mul_f32_e32 v21, v19, v63
	v_mul_f32_e32 v33, v19, v62
	s_waitcnt vmcnt(1)
	v_mul_f32_e32 v22, v19, v61
	s_waitcnt vmcnt(0)
	v_mul_f32_e32 v23, v19, v59
	v_mul_f32_e32 v67, v19, v60
	;; [unrolled: 1-line block ×3, first 2 shown]
	v_fma_f32 v30, v18, v64, -v20
	v_fma_f32 v32, v18, v62, -v21
	v_fmac_f32_e32 v31, v18, v65
	v_fmac_f32_e32 v33, v18, v63
	v_fma_f32 v66, v18, v60, -v22
	v_fma_f32 v68, v18, v58, -v23
	v_fmac_f32_e32 v67, v18, v61
	v_fmac_f32_e32 v69, v19, v58
	ds_read_b128 v[22:25], v78 offset:256
	ds_read_b128 v[18:21], v78 offset:272
	ds_write2_b64 v80, v[30:31], v[32:33] offset1:67
	ds_write2_b64 v80, v[66:67], v[68:69] offset0:134 offset1:201
	s_waitcnt lgkmcnt(0)
	s_barrier
	buffer_gl0_inv
	ds_read2_b64 v[101:104], v81 offset1:1
	ds_read2_b64 v[105:108], v81 offset0:2 offset1:3
	s_waitcnt lgkmcnt(0)
	s_barrier
	buffer_gl0_inv
	global_load_dwordx2 v[72:73], v[26:27], off
	v_add_co_u32 v26, s3, v40, s33
	v_add_co_ci_u32_e64 v27, null, s31, v41, s3
	s_clause 0x2
	global_load_dwordx2 v[70:71], v[28:29], off
	global_load_dwordx2 v[68:69], v[109:110], off
	;; [unrolled: 1-line block ×3, first 2 shown]
	ds_read_b64 v[26:27], v79
	v_add_f32_e32 v92, 0, v101
	v_add_f32_e32 v93, 0, v102
	;; [unrolled: 1-line block ×7, first 2 shown]
	s_waitcnt vmcnt(3) lgkmcnt(0)
	v_mul_f32_e32 v28, v27, v73
	v_mul_f32_e32 v110, v27, v72
	s_waitcnt vmcnt(2)
	v_mul_f32_e32 v29, v27, v71
	v_mul_f32_e32 v112, v27, v70
	s_waitcnt vmcnt(1)
	;; [unrolled: 3-line block ×3, first 2 shown]
	v_mul_f32_e32 v31, v27, v67
	v_mul_f32_e32 v116, v26, v67
	v_fma_f32 v109, v26, v72, -v28
	v_fma_f32 v111, v26, v70, -v29
	v_fmac_f32_e32 v110, v26, v73
	v_fmac_f32_e32 v112, v26, v71
	v_fma_f32 v113, v26, v68, -v30
	v_fma_f32 v115, v26, v66, -v31
	v_fmac_f32_e32 v114, v26, v69
	v_fmac_f32_e32 v116, v27, v66
	ds_read_b128 v[30:33], v78 offset:384
	ds_read_b128 v[26:29], v78 offset:400
	ds_write2_b64 v80, v[109:110], v[111:112] offset1:67
	ds_write2_b64 v80, v[113:114], v[115:116] offset0:134 offset1:201
	s_waitcnt lgkmcnt(0)
	s_barrier
	buffer_gl0_inv
	ds_read2_b64 v[109:112], v81 offset1:1
	ds_read2_b64 v[85:88], v81 offset0:2 offset1:3
	s_waitcnt lgkmcnt(0)
	s_barrier
	buffer_gl0_inv
	v_add_f32_e32 v94, 0, v109
	v_add_f32_e32 v95, 0, v110
	;; [unrolled: 1-line block ×10, first 2 shown]
	ds_write2_b64 v84, v[89:90], v[91:92] offset1:16
	ds_write2_b64 v84, v[85:86], v[87:88] offset0:32 offset1:48
	s_waitcnt lgkmcnt(0)
	s_barrier
	buffer_gl0_inv
	s_and_saveexec_b32 s43, s2
	s_cbranch_execz .LBB120_98
; %bb.102:                              ;   in Loop: Header=BB120_99 Depth=1
	ds_read_b64 v[97:98], v82
	ds_read2_b64 v[85:88], v82 offset0:1 offset1:2
	ds_read2_b64 v[89:92], v82 offset0:3 offset1:4
	;; [unrolled: 1-line block ×3, first 2 shown]
	s_waitcnt lgkmcnt(2)
	v_add_f32_e32 v38, v85, v97
	v_add_f32_e32 v85, v86, v98
	v_add_f32_e32 v38, v87, v38
	v_add_f32_e32 v97, v88, v85
	ds_read2_b64 v[85:88], v82 offset0:7 offset1:8
	s_waitcnt lgkmcnt(2)
	v_add_f32_e32 v38, v38, v89
	v_add_f32_e32 v89, v97, v90
	v_add_f32_e32 v38, v38, v91
	v_add_f32_e32 v97, v89, v92
	ds_read2_b64 v[89:92], v82 offset0:9 offset1:10
	;; [unrolled: 6-line block ×4, first 2 shown]
	s_waitcnt lgkmcnt(2)
	v_add_f32_e32 v38, v38, v89
	v_add_f32_e32 v89, v97, v90
	;; [unrolled: 1-line block ×4, first 2 shown]
	ds_read_b64 v[89:90], v83
	s_waitcnt lgkmcnt(2)
	v_add_f32_e32 v38, v38, v93
	v_add_f32_e32 v91, v91, v94
	;; [unrolled: 1-line block ×4, first 2 shown]
	s_waitcnt lgkmcnt(1)
	v_add_f32_e32 v85, v38, v85
	v_add_f32_e32 v86, v91, v86
	v_add_nc_u32_e32 v38, s42, v0
	v_add_f32_e32 v87, v85, v87
	v_add_f32_e32 v88, v86, v88
	v_lshlrev_b64 v[85:86], 3, v[38:39]
	s_waitcnt lgkmcnt(0)
	v_add_f32_e32 v87, v87, v89
	v_add_f32_e32 v88, v88, v90
	v_add_co_u32 v85, s3, s7, v85
	v_add_co_ci_u32_e64 v86, null, s24, v86, s3
	global_store_dwordx2 v[85:86], v[87:88], off
	s_branch .LBB120_98
.LBB120_103:
	v_mad_u32_u24 v0, 0x218, v1, v74
	s_nor_b32 s0, s0, vcc_lo
	ds_write_b64 v0, v[36:37]
	s_waitcnt lgkmcnt(0)
	s_barrier
	buffer_gl0_inv
	s_and_saveexec_b32 s1, s0
	s_cbranch_execz .LBB120_105
; %bb.104:
	ds_read2_b64 v[0:3], v74 offset1:67
	ds_read2_b64 v[4:7], v74 offset0:134 offset1:201
	s_waitcnt lgkmcnt(1)
	v_add_f32_e32 v0, v2, v0
	v_add_f32_e32 v1, v3, v1
	s_waitcnt lgkmcnt(0)
	v_add_f32_e32 v2, v4, v0
	v_add_f32_e32 v3, v5, v1
	v_lshlrev_b64 v[0:1], 3, v[34:35]
	v_add_f32_e32 v2, v2, v6
	v_add_f32_e32 v3, v3, v7
	v_add_co_u32 v0, vcc_lo, s7, v0
	v_add_co_ci_u32_e64 v1, null, s24, v1, vcc_lo
	global_store_dwordx2 v[0:1], v[2:3], off
.LBB120_105:
	s_endpgm
	.section	.rodata,"a",@progbits
	.p2align	6, 0x0
	.amdhsa_kernel _ZL26rocblas_hemvn_kernel_lowerILb0ELi64ELi4ELi33ELi32ELi16El19rocblas_complex_numIfEPKS1_PS1_EviT6_lT7_lT5_lS6_lS7_lS5_lT8_i
		.amdhsa_group_segment_fixed_size 9600
		.amdhsa_private_segment_fixed_size 0
		.amdhsa_kernarg_size 376
		.amdhsa_user_sgpr_count 6
		.amdhsa_user_sgpr_private_segment_buffer 1
		.amdhsa_user_sgpr_dispatch_ptr 0
		.amdhsa_user_sgpr_queue_ptr 0
		.amdhsa_user_sgpr_kernarg_segment_ptr 1
		.amdhsa_user_sgpr_dispatch_id 0
		.amdhsa_user_sgpr_flat_scratch_init 0
		.amdhsa_user_sgpr_private_segment_size 0
		.amdhsa_wavefront_size32 1
		.amdhsa_uses_dynamic_stack 0
		.amdhsa_system_sgpr_private_segment_wavefront_offset 0
		.amdhsa_system_sgpr_workgroup_id_x 1
		.amdhsa_system_sgpr_workgroup_id_y 0
		.amdhsa_system_sgpr_workgroup_id_z 1
		.amdhsa_system_sgpr_workgroup_info 0
		.amdhsa_system_vgpr_workitem_id 1
		.amdhsa_next_free_vgpr 117
		.amdhsa_next_free_sgpr 46
		.amdhsa_reserve_vcc 1
		.amdhsa_reserve_flat_scratch 0
		.amdhsa_float_round_mode_32 0
		.amdhsa_float_round_mode_16_64 0
		.amdhsa_float_denorm_mode_32 3
		.amdhsa_float_denorm_mode_16_64 3
		.amdhsa_dx10_clamp 1
		.amdhsa_ieee_mode 1
		.amdhsa_fp16_overflow 0
		.amdhsa_workgroup_processor_mode 1
		.amdhsa_memory_ordered 1
		.amdhsa_forward_progress 1
		.amdhsa_shared_vgpr_count 0
		.amdhsa_exception_fp_ieee_invalid_op 0
		.amdhsa_exception_fp_denorm_src 0
		.amdhsa_exception_fp_ieee_div_zero 0
		.amdhsa_exception_fp_ieee_overflow 0
		.amdhsa_exception_fp_ieee_underflow 0
		.amdhsa_exception_fp_ieee_inexact 0
		.amdhsa_exception_int_div_zero 0
	.end_amdhsa_kernel
	.section	.text._ZL26rocblas_hemvn_kernel_lowerILb0ELi64ELi4ELi33ELi32ELi16El19rocblas_complex_numIfEPKS1_PS1_EviT6_lT7_lT5_lS6_lS7_lS5_lT8_i,"axG",@progbits,_ZL26rocblas_hemvn_kernel_lowerILb0ELi64ELi4ELi33ELi32ELi16El19rocblas_complex_numIfEPKS1_PS1_EviT6_lT7_lT5_lS6_lS7_lS5_lT8_i,comdat
.Lfunc_end120:
	.size	_ZL26rocblas_hemvn_kernel_lowerILb0ELi64ELi4ELi33ELi32ELi16El19rocblas_complex_numIfEPKS1_PS1_EviT6_lT7_lT5_lS6_lS7_lS5_lT8_i, .Lfunc_end120-_ZL26rocblas_hemvn_kernel_lowerILb0ELi64ELi4ELi33ELi32ELi16El19rocblas_complex_numIfEPKS1_PS1_EviT6_lT7_lT5_lS6_lS7_lS5_lT8_i
                                        ; -- End function
	.set _ZL26rocblas_hemvn_kernel_lowerILb0ELi64ELi4ELi33ELi32ELi16El19rocblas_complex_numIfEPKS1_PS1_EviT6_lT7_lT5_lS6_lS7_lS5_lT8_i.num_vgpr, 117
	.set _ZL26rocblas_hemvn_kernel_lowerILb0ELi64ELi4ELi33ELi32ELi16El19rocblas_complex_numIfEPKS1_PS1_EviT6_lT7_lT5_lS6_lS7_lS5_lT8_i.num_agpr, 0
	.set _ZL26rocblas_hemvn_kernel_lowerILb0ELi64ELi4ELi33ELi32ELi16El19rocblas_complex_numIfEPKS1_PS1_EviT6_lT7_lT5_lS6_lS7_lS5_lT8_i.numbered_sgpr, 46
	.set _ZL26rocblas_hemvn_kernel_lowerILb0ELi64ELi4ELi33ELi32ELi16El19rocblas_complex_numIfEPKS1_PS1_EviT6_lT7_lT5_lS6_lS7_lS5_lT8_i.num_named_barrier, 0
	.set _ZL26rocblas_hemvn_kernel_lowerILb0ELi64ELi4ELi33ELi32ELi16El19rocblas_complex_numIfEPKS1_PS1_EviT6_lT7_lT5_lS6_lS7_lS5_lT8_i.private_seg_size, 0
	.set _ZL26rocblas_hemvn_kernel_lowerILb0ELi64ELi4ELi33ELi32ELi16El19rocblas_complex_numIfEPKS1_PS1_EviT6_lT7_lT5_lS6_lS7_lS5_lT8_i.uses_vcc, 1
	.set _ZL26rocblas_hemvn_kernel_lowerILb0ELi64ELi4ELi33ELi32ELi16El19rocblas_complex_numIfEPKS1_PS1_EviT6_lT7_lT5_lS6_lS7_lS5_lT8_i.uses_flat_scratch, 0
	.set _ZL26rocblas_hemvn_kernel_lowerILb0ELi64ELi4ELi33ELi32ELi16El19rocblas_complex_numIfEPKS1_PS1_EviT6_lT7_lT5_lS6_lS7_lS5_lT8_i.has_dyn_sized_stack, 0
	.set _ZL26rocblas_hemvn_kernel_lowerILb0ELi64ELi4ELi33ELi32ELi16El19rocblas_complex_numIfEPKS1_PS1_EviT6_lT7_lT5_lS6_lS7_lS5_lT8_i.has_recursion, 0
	.set _ZL26rocblas_hemvn_kernel_lowerILb0ELi64ELi4ELi33ELi32ELi16El19rocblas_complex_numIfEPKS1_PS1_EviT6_lT7_lT5_lS6_lS7_lS5_lT8_i.has_indirect_call, 0
	.section	.AMDGPU.csdata,"",@progbits
; Kernel info:
; codeLenInByte = 7884
; TotalNumSgprs: 48
; NumVgprs: 117
; ScratchSize: 0
; MemoryBound: 1
; FloatMode: 240
; IeeeMode: 1
; LDSByteSize: 9600 bytes/workgroup (compile time only)
; SGPRBlocks: 0
; VGPRBlocks: 14
; NumSGPRsForWavesPerEU: 48
; NumVGPRsForWavesPerEU: 117
; Occupancy: 8
; WaveLimiterHint : 0
; COMPUTE_PGM_RSRC2:SCRATCH_EN: 0
; COMPUTE_PGM_RSRC2:USER_SGPR: 6
; COMPUTE_PGM_RSRC2:TRAP_HANDLER: 0
; COMPUTE_PGM_RSRC2:TGID_X_EN: 1
; COMPUTE_PGM_RSRC2:TGID_Y_EN: 0
; COMPUTE_PGM_RSRC2:TGID_Z_EN: 1
; COMPUTE_PGM_RSRC2:TIDIG_COMP_CNT: 1
	.section	.text._ZL26rocblas_hemvn_kernel_lowerILb0ELi64ELi4ELi33ELi32ELi16Ei19rocblas_complex_numIfEPKS1_PS1_EviT6_lT7_lT5_lS6_lS7_lS5_lT8_i,"axG",@progbits,_ZL26rocblas_hemvn_kernel_lowerILb0ELi64ELi4ELi33ELi32ELi16Ei19rocblas_complex_numIfEPKS1_PS1_EviT6_lT7_lT5_lS6_lS7_lS5_lT8_i,comdat
	.globl	_ZL26rocblas_hemvn_kernel_lowerILb0ELi64ELi4ELi33ELi32ELi16Ei19rocblas_complex_numIfEPKS1_PS1_EviT6_lT7_lT5_lS6_lS7_lS5_lT8_i ; -- Begin function _ZL26rocblas_hemvn_kernel_lowerILb0ELi64ELi4ELi33ELi32ELi16Ei19rocblas_complex_numIfEPKS1_PS1_EviT6_lT7_lT5_lS6_lS7_lS5_lT8_i
	.p2align	8
	.type	_ZL26rocblas_hemvn_kernel_lowerILb0ELi64ELi4ELi33ELi32ELi16Ei19rocblas_complex_numIfEPKS1_PS1_EviT6_lT7_lT5_lS6_lS7_lS5_lT8_i,@function
_ZL26rocblas_hemvn_kernel_lowerILb0ELi64ELi4ELi33ELi32ELi16Ei19rocblas_complex_numIfEPKS1_PS1_EviT6_lT7_lT5_lS6_lS7_lS5_lT8_i: ; @_ZL26rocblas_hemvn_kernel_lowerILb0ELi64ELi4ELi33ELi32ELi16Ei19rocblas_complex_numIfEPKS1_PS1_EviT6_lT7_lT5_lS6_lS7_lS5_lT8_i
; %bb.0:
	s_load_dwordx2 s[2:3], s[4:5], 0x84
	s_add_u32 s0, s4, 0x78
	s_addc_u32 s1, s5, 0
	s_waitcnt lgkmcnt(0)
	s_lshr_b32 s8, s2, 16
	s_and_b32 s2, s2, 0xffff
	s_and_b32 s3, s3, 0xffff
	s_mul_i32 s2, s8, s2
	s_mul_i32 s2, s2, s3
	s_cmpk_lg_i32 s2, 0x100
	s_cbranch_scc1 .LBB121_105
; %bb.1:
	s_load_dwordx2 s[2:3], s[4:5], 0x4
	v_mov_b32_e32 v2, v1
	s_waitcnt lgkmcnt(0)
	s_or_b32 s2, s2, s3
	s_mov_b32 s3, -1
	s_bitset0_b32 s2, 31
	s_cmp_lg_u32 s2, 0
	s_cselect_b32 s2, -1, 0
	s_and_b32 vcc_lo, exec_lo, s2
	s_cbranch_vccnz .LBB121_3
; %bb.2:
	s_load_dwordx2 s[8:9], s[4:5], 0x58
	s_waitcnt lgkmcnt(0)
	v_cmp_neq_f32_e64 s3, s8, 1.0
	v_cmp_neq_f32_e64 s8, s9, 0
	s_or_b32 s3, s3, s8
.LBB121_3:
	s_andn2_b32 vcc_lo, exec_lo, s3
	s_cbranch_vccnz .LBB121_105
; %bb.4:
	s_andn2_b32 vcc_lo, exec_lo, s2
	s_cbranch_vccnz .LBB121_105
; %bb.5:
	s_clause 0x4
	s_load_dwordx2 s[2:3], s[4:5], 0x50
	s_load_dwordx4 s[8:11], s[4:5], 0x30
	s_load_dwordx2 s[12:13], s[4:5], 0x40
	s_load_dword s24, s[4:5], 0x48
	s_load_dword s25, s[4:5], 0x0
	;; [unrolled: 1-line block ×3, first 2 shown]
	s_waitcnt lgkmcnt(0)
	s_mul_i32 s3, s3, s7
	s_mul_hi_u32 s14, s2, s7
	s_mul_i32 s2, s2, s7
	s_add_i32 s3, s14, s3
	s_lshl_b64 s[2:3], s[2:3], 3
	s_add_u32 s10, s10, s2
	s_addc_u32 s11, s11, s3
	s_lshl_b64 s[2:3], s[12:13], 3
	s_add_u32 s2, s10, s2
	s_addc_u32 s3, s11, s3
	s_lshl_b32 s14, s6, 6
	s_ashr_i32 s27, s25, 31
	v_add_nc_u32_e32 v35, s14, v0
	s_lshr_b32 s0, s27, 26
	s_add_i32 s10, s26, -1
	s_add_i32 s1, s25, s0
	v_cmp_ne_u32_e64 s0, 0, v2
	v_mul_lo_u32 v3, s24, v35
	s_andn2_b32 s1, s1, 63
	s_sub_i32 s11, s25, s1
	v_cmp_eq_u32_e64 s1, 0, v2
	s_cmp_eq_u32 s6, s10
	s_cselect_b32 s16, s11, 0
	v_ashrrev_i32_e32 v4, 31, v3
	v_lshlrev_b64 v[3:4], 3, v[3:4]
	v_add_co_u32 v19, vcc_lo, s2, v3
	v_add_co_ci_u32_e64 v20, null, s3, v4, vcc_lo
	s_mov_b32 s2, -1
	s_and_saveexec_b32 s3, s1
	s_cbranch_execz .LBB121_10
; %bb.6:
	v_cmp_le_i32_e32 vcc_lo, s16, v0
	s_cmp_lg_u32 s16, 0
	v_lshl_add_u32 v1, v0, 3, 0x2380
	s_cselect_b32 s10, -1, 0
	s_and_b32 s10, s10, vcc_lo
	s_and_saveexec_b32 s11, s10
	s_xor_b32 s10, exec_lo, s11
; %bb.7:
	v_mov_b32_e32 v3, 0
	v_mov_b32_e32 v4, v3
	ds_write_b64 v1, v[3:4]
                                        ; implicit-def: $vgpr1
; %bb.8:
	s_andn2_saveexec_b32 s10, s10
	s_cbranch_execz .LBB121_10
; %bb.9:
	global_load_dwordx2 v[3:4], v[19:20], off
	s_waitcnt vmcnt(0)
	ds_write_b64 v1, v[3:4]
.LBB121_10:
	s_or_b32 exec_lo, exec_lo, s3
	s_clause 0x1
	s_load_dwordx4 s[20:23], s[4:5], 0x18
	s_load_dword s12, s[4:5], 0x28
	v_lshl_add_u32 v25, v2, 6, v0
	v_and_b32_e32 v1, 31, v0
	s_mul_i32 s3, s9, s7
	s_mul_hi_u32 s9, s8, s7
	s_mul_i32 s8, s8, s7
	v_lshrrev_b32_e32 v7, 5, v25
	s_add_i32 s9, s9, s3
	s_lshl_b64 s[8:9], s[8:9], 3
	s_waitcnt lgkmcnt(0)
	s_add_u32 s3, s20, s8
	v_mad_u64_u32 v[3:4], null, s12, v7, v[1:2]
	s_addc_u32 s10, s21, s9
	s_lshl_b64 s[8:9], s[22:23], 3
	s_add_u32 s3, s3, s8
	s_addc_u32 s11, s10, s9
	s_ashr_i32 s15, s14, 31
	v_ashrrev_i32_e32 v4, 31, v3
	s_lshl_b64 s[8:9], s[14:15], 3
	s_mul_i32 s10, s12, s14
	s_add_u32 s3, s3, s8
	s_addc_u32 s8, s11, s9
	v_lshlrev_b64 v[21:22], 3, v[3:4]
	s_ashr_i32 s11, s10, 31
	s_lshl_b64 s[18:19], s[10:11], 3
	s_cmp_lg_u32 s16, 0
	s_cselect_b32 s15, -1, 0
	v_add_co_u32 v3, vcc_lo, s3, v21
	v_add_co_ci_u32_e64 v4, null, s8, v22, vcc_lo
	s_cmp_eq_u32 s16, 0
	v_add_co_u32 v3, vcc_lo, v3, s18
	v_add_co_ci_u32_e64 v4, null, s19, v4, vcc_lo
	s_cselect_b32 s11, -1, 0
	s_and_b32 vcc_lo, exec_lo, s15
	s_cbranch_vccnz .LBB121_12
; %bb.11:
	s_lshl_b32 s2, s12, 3
	s_ashr_i32 s13, s12, 31
	s_ashr_i32 s3, s2, 31
	v_mul_u32_u24_e32 v14, 0x108, v7
	s_lshl_b64 s[2:3], s[2:3], 3
	v_add_co_u32 v5, vcc_lo, v3, s2
	v_add_co_ci_u32_e64 v6, null, s3, v4, vcc_lo
	s_lshl_b64 s[2:3], s[12:13], 6
	v_lshl_add_u32 v14, v1, 3, v14
	v_add_co_u32 v8, vcc_lo, v5, s2
	v_add_co_ci_u32_e64 v9, null, s3, v6, vcc_lo
	v_add_co_u32 v10, vcc_lo, v8, s2
	v_add_co_ci_u32_e64 v11, null, s3, v9, vcc_lo
	s_clause 0x3
	global_load_dwordx2 v[12:13], v[3:4], off
	global_load_dwordx2 v[5:6], v[5:6], off
	;; [unrolled: 1-line block ×4, first 2 shown]
	s_mov_b32 s2, 0
	s_waitcnt vmcnt(3)
	ds_write_b64 v14, v[12:13]
	s_waitcnt vmcnt(2)
	ds_write_b64 v14, v[5:6] offset:2112
	s_waitcnt vmcnt(1)
	ds_write_b64 v14, v[8:9] offset:4224
	;; [unrolled: 2-line block ×3, first 2 shown]
.LBB121_12:
	v_lshlrev_b32_e32 v8, 3, v1
	s_andn2_b32 vcc_lo, exec_lo, s2
	s_cbranch_vccnz .LBB121_30
; %bb.13:
	v_sub_co_u32 v5, vcc_lo, v3, v8
	s_ashr_i32 s17, s16, 31
	v_subrev_co_ci_u32_e64 v6, null, 0, v4, vcc_lo
	s_lshl_b64 s[8:9], s[16:17], 3
	v_cmp_le_i32_e64 s2, s16, v7
	v_add_co_u32 v5, vcc_lo, v5, s8
	v_add_co_ci_u32_e64 v6, null, s9, v6, vcc_lo
	v_mul_u32_u24_e32 v9, 0x108, v7
	v_add_co_u32 v5, vcc_lo, v5, -8
	v_add_co_ci_u32_e64 v6, null, -1, v6, vcc_lo
	v_cmp_gt_i32_e32 vcc_lo, s16, v1
	v_cndmask_b32_e32 v6, v6, v4, vcc_lo
	v_cndmask_b32_e32 v5, v5, v3, vcc_lo
	s_and_saveexec_b32 s3, s2
	s_xor_b32 s2, exec_lo, s3
	s_cbranch_execz .LBB121_15
; %bb.14:
	v_mov_b32_e32 v10, 0
	v_add_nc_u32_e32 v12, v8, v9
	v_mov_b32_e32 v11, v10
	ds_write_b64 v12, v[10:11]
.LBB121_15:
	s_andn2_saveexec_b32 s2, s2
	s_cbranch_execz .LBB121_17
; %bb.16:
	global_load_dwordx2 v[10:11], v[5:6], off
	v_add_nc_u32_e32 v12, v8, v9
	s_waitcnt vmcnt(0)
	ds_write_b64 v12, v[10:11]
.LBB121_17:
	s_or_b32 exec_lo, exec_lo, s2
	v_add_nc_u32_e32 v10, 8, v7
	v_cmp_le_i32_e64 s2, s16, v10
	s_and_saveexec_b32 s3, s2
	s_xor_b32 s2, exec_lo, s3
	s_cbranch_execz .LBB121_19
; %bb.18:
	v_mov_b32_e32 v10, 0
	v_add_nc_u32_e32 v12, v9, v8
	v_mov_b32_e32 v11, v10
	ds_write_b64 v12, v[10:11] offset:2112
.LBB121_19:
	s_andn2_saveexec_b32 s3, s2
	s_cbranch_execz .LBB121_21
; %bb.20:
	s_lshl_b32 s20, s12, 3
	v_add_nc_u32_e32 v12, v9, v8
	s_ashr_i32 s21, s20, 31
	s_lshl_b64 s[20:21], s[20:21], 3
	v_add_co_u32 v10, s2, v5, s20
	v_add_co_ci_u32_e64 v11, null, s21, v6, s2
	global_load_dwordx2 v[10:11], v[10:11], off
	s_waitcnt vmcnt(0)
	ds_write_b64 v12, v[10:11] offset:2112
.LBB121_21:
	s_or_b32 exec_lo, exec_lo, s3
	v_add_nc_u32_e32 v10, 16, v7
	v_cmp_le_i32_e64 s2, s16, v10
	s_and_saveexec_b32 s3, s2
	s_xor_b32 s2, exec_lo, s3
	s_cbranch_execz .LBB121_23
; %bb.22:
	v_mov_b32_e32 v10, 0
	v_add_nc_u32_e32 v12, v9, v8
	v_mov_b32_e32 v11, v10
	ds_write_b64 v12, v[10:11] offset:4224
.LBB121_23:
	s_andn2_saveexec_b32 s3, s2
	s_cbranch_execz .LBB121_25
; %bb.24:
	s_lshl_b32 s20, s12, 4
	v_add_nc_u32_e32 v12, v9, v8
	s_ashr_i32 s21, s20, 31
	s_lshl_b64 s[20:21], s[20:21], 3
	v_add_co_u32 v10, s2, v5, s20
	v_add_co_ci_u32_e64 v11, null, s21, v6, s2
	global_load_dwordx2 v[10:11], v[10:11], off
	s_waitcnt vmcnt(0)
	ds_write_b64 v12, v[10:11] offset:4224
.LBB121_25:
	s_or_b32 exec_lo, exec_lo, s3
	v_add_nc_u32_e32 v10, 24, v7
	v_cmp_le_i32_e64 s2, s16, v10
	s_and_saveexec_b32 s3, s2
	s_xor_b32 s2, exec_lo, s3
	s_cbranch_execz .LBB121_27
; %bb.26:
	v_mov_b32_e32 v10, 0
	v_add_nc_u32_e32 v9, v9, v8
	v_mov_b32_e32 v11, v10
	ds_write_b64 v9, v[10:11] offset:6336
                                        ; implicit-def: $vgpr9
.LBB121_27:
	s_andn2_saveexec_b32 s3, s2
	s_cbranch_execz .LBB121_29
; %bb.28:
	s_mul_i32 s20, s12, 24
	v_add_nc_u32_e32 v9, v9, v8
	s_ashr_i32 s21, s20, 31
	s_lshl_b64 s[20:21], s[20:21], 3
	v_add_co_u32 v10, s2, v5, s20
	v_add_co_ci_u32_e64 v11, null, s21, v6, s2
	global_load_dwordx2 v[10:11], v[10:11], off
	s_waitcnt vmcnt(0)
	ds_write_b64 v9, v[10:11] offset:6336
.LBB121_29:
	s_or_b32 exec_lo, exec_lo, s3
	v_add_co_u32 v5, s2, v5, v8
	v_add_co_ci_u32_e64 v6, null, 0, v6, s2
	v_sub_co_u32 v5, s2, v5, s8
	v_subrev_co_ci_u32_e64 v6, null, s9, v6, s2
	v_add_co_u32 v5, s2, v5, 8
	v_add_co_ci_u32_e64 v6, null, 0, v6, s2
	v_cndmask_b32_e32 v3, v5, v3, vcc_lo
	v_cndmask_b32_e32 v4, v6, v4, vcc_lo
.LBB121_30:
	v_lshlrev_b32_e32 v5, 2, v7
	v_lshl_or_b32 v6, v1, 8, v8
	v_mad_u32_u24 v10, 0x420, v7, v8
	s_waitcnt lgkmcnt(0)
	s_barrier
	v_cmp_lt_u32_e64 s3, v5, v1
	buffer_gl0_inv
	s_and_saveexec_b32 s2, s3
	s_cbranch_execz .LBB121_32
; %bb.31:
	ds_read_b64 v[11:12], v10
	v_lshl_add_u32 v9, v5, 3, v6
	s_waitcnt lgkmcnt(0)
	ds_write_b64 v9, v[11:12]
.LBB121_32:
	s_or_b32 exec_lo, exec_lo, s2
	v_or_b32_e32 v9, 1, v5
	v_cmp_lt_u32_e64 s8, v9, v1
	v_mad_u32_u24 v11, 0x108, v9, v8
	s_and_saveexec_b32 s2, s8
	s_cbranch_execz .LBB121_34
; %bb.33:
	ds_read_b64 v[12:13], v11
	v_lshl_add_u32 v14, v5, 3, v6
	s_waitcnt lgkmcnt(0)
	ds_write_b64 v14, v[12:13] offset:8
.LBB121_34:
	s_or_b32 exec_lo, exec_lo, s2
	v_or_b32_e32 v12, 2, v5
	v_cmp_lt_u32_e64 s9, v12, v1
	s_and_saveexec_b32 s2, s9
	s_cbranch_execz .LBB121_36
; %bb.35:
	v_mad_u32_u24 v12, 0x108, v12, v8
	v_lshl_add_u32 v14, v5, 3, v6
	ds_read_b64 v[12:13], v12
	s_waitcnt lgkmcnt(0)
	ds_write_b64 v14, v[12:13] offset:16
.LBB121_36:
	s_or_b32 exec_lo, exec_lo, s2
	v_or_b32_e32 v13, 3, v5
	s_mov_b32 s2, exec_lo
                                        ; implicit-def: $vgpr12
	v_cmp_lt_u32_e64 s10, v13, v1
	v_cmpx_ge_u32_e64 v13, v1
	s_xor_b32 s2, exec_lo, s2
; %bb.37:
	v_mul_u32_u24_e32 v12, 0x108, v13
                                        ; implicit-def: $vgpr6
                                        ; implicit-def: $vgpr13
; %bb.38:
	s_andn2_saveexec_b32 s2, s2
	s_cbranch_execz .LBB121_40
; %bb.39:
	v_mad_u32_u24 v12, 0x108, v13, v8
	v_lshl_add_u32 v6, v5, 3, v6
	ds_read_b64 v[14:15], v12
	v_mul_u32_u24_e32 v12, 0x108, v13
	s_waitcnt lgkmcnt(0)
	ds_write_b64 v6, v[14:15] offset:24
.LBB121_40:
	s_or_b32 exec_lo, exec_lo, s2
	v_lshlrev_b32_e32 v6, 3, v5
	s_waitcnt lgkmcnt(0)
	s_barrier
	buffer_gl0_inv
	ds_read_b64 v[17:18], v10
	ds_read_b128 v[13:16], v6 offset:9088
	ds_read2_b64 v[26:29], v11 offset1:33
	v_add_nc_u32_e32 v10, v8, v12
	v_mul_u32_u24_e32 v23, 33, v1
	v_cmp_gt_u32_e64 s2, 32, v25
	ds_read_b128 v[30:33], v6 offset:9104
	ds_read_b64 v[11:12], v10
	v_mov_b32_e32 v37, 0
	s_waitcnt lgkmcnt(0)
	s_barrier
	buffer_gl0_inv
	v_mul_f32_e32 v24, v14, v18
	v_mul_f32_e32 v18, v13, v18
	;; [unrolled: 1-line block ×5, first 2 shown]
	v_fma_f32 v13, v13, v17, -v24
	v_fmac_f32_e32 v18, v14, v17
	v_mul_f32_e32 v29, v30, v29
	v_fma_f32 v15, v15, v26, -v34
	v_fmac_f32_e32 v27, v16, v26
	v_add_f32_e32 v13, 0, v13
	v_add_f32_e32 v16, 0, v18
	v_mul_f32_e32 v14, v33, v12
	v_mul_f32_e32 v12, v32, v12
	v_fma_f32 v17, v30, v28, -v36
	v_fmac_f32_e32 v29, v31, v28
	v_add_f32_e32 v13, v13, v15
	v_add_f32_e32 v15, v16, v27
	v_lshlrev_b32_e32 v26, 3, v23
	v_fma_f32 v14, v32, v11, -v14
	v_fmac_f32_e32 v12, v33, v11
	v_add_f32_e32 v11, v13, v17
	v_add_f32_e32 v13, v15, v29
	v_mov_b32_e32 v36, 0
	v_lshl_add_u32 v27, v7, 3, v26
	v_add_f32_e32 v11, v11, v14
	v_add_f32_e32 v12, v13, v12
	ds_write_b64 v27, v[11:12]
	s_waitcnt lgkmcnt(0)
	s_barrier
	buffer_gl0_inv
	s_and_saveexec_b32 s13, s2
	s_cbranch_execz .LBB121_42
; %bb.41:
	ds_read2_b64 v[11:14], v26 offset1:7
	ds_read2_b64 v[15:18], v26 offset0:1 offset1:2
	ds_read2_b64 v[28:31], v26 offset0:3 offset1:4
	;; [unrolled: 1-line block ×3, first 2 shown]
	s_waitcnt lgkmcnt(2)
	v_add_f32_e32 v11, v15, v11
	v_add_f32_e32 v12, v16, v12
	v_add_f32_e32 v11, v17, v11
	v_add_f32_e32 v12, v18, v12
	s_waitcnt lgkmcnt(1)
	v_add_f32_e32 v11, v11, v28
	v_add_f32_e32 v12, v12, v29
	v_add_f32_e32 v11, v11, v30
	v_add_f32_e32 v12, v12, v31
	;; [unrolled: 5-line block ×3, first 2 shown]
	v_add_f32_e32 v36, v11, v13
	v_add_f32_e32 v37, v12, v14
.LBB121_42:
	s_or_b32 exec_lo, exec_lo, s13
	s_lshl_b32 s20, s12, 5
	v_cndmask_b32_e64 v11, 0, 1, s11
	s_ashr_i32 s21, s20, 31
	s_lshl_b64 s[20:21], s[20:21], 3
	s_barrier
	v_add_co_u32 v3, vcc_lo, v3, s20
	v_add_co_ci_u32_e64 v4, null, s21, v4, vcc_lo
	buffer_gl0_inv
	v_add_co_u32 v12, vcc_lo, 0x100, v3
	v_add_co_ci_u32_e64 v13, null, 0, v4, vcc_lo
	s_andn2_b32 vcc_lo, exec_lo, s11
	s_mov_b32 s11, -1
	s_cbranch_vccnz .LBB121_44
; %bb.43:
	s_lshl_b32 s22, s12, 3
	s_ashr_i32 s13, s12, 31
	s_ashr_i32 s23, s22, 31
	v_mad_u32_u24 v18, 0x108, v7, v8
	s_lshl_b64 s[22:23], s[22:23], 3
	s_mov_b32 s11, 0
	v_add_co_u32 v14, vcc_lo, v3, s22
	v_add_co_ci_u32_e64 v15, null, s23, v4, vcc_lo
	s_lshl_b64 s[22:23], s[12:13], 6
	v_add_co_u32 v16, vcc_lo, v14, s22
	v_add_co_ci_u32_e64 v17, null, s23, v15, vcc_lo
	v_add_co_u32 v23, vcc_lo, v16, s22
	v_add_co_ci_u32_e64 v24, null, s23, v17, vcc_lo
	s_clause 0x3
	global_load_dwordx2 v[28:29], v[3:4], off offset:256
	global_load_dwordx2 v[14:15], v[14:15], off offset:256
	;; [unrolled: 1-line block ×4, first 2 shown]
	s_waitcnt vmcnt(3)
	ds_write_b64 v18, v[28:29]
	s_waitcnt vmcnt(2)
	ds_write_b64 v18, v[14:15] offset:2112
	s_waitcnt vmcnt(1)
	ds_write_b64 v18, v[16:17] offset:4224
	;; [unrolled: 2-line block ×3, first 2 shown]
.LBB121_44:
	s_andn2_b32 vcc_lo, exec_lo, s11
	s_cbranch_vccnz .LBB121_62
; %bb.45:
	v_sub_co_u32 v3, vcc_lo, v3, v8
	s_ashr_i32 s17, s16, 31
	v_subrev_co_ci_u32_e64 v4, null, 0, v4, vcc_lo
	s_lshl_b64 s[22:23], s[16:17], 3
	v_or_b32_e32 v14, 32, v1
	v_add_co_u32 v3, vcc_lo, v3, s22
	v_add_co_ci_u32_e64 v4, null, s23, v4, vcc_lo
	s_sub_i32 s13, s16, 32
	v_add_co_u32 v3, vcc_lo, v3, -8
	v_add_co_ci_u32_e64 v4, null, -1, v4, vcc_lo
	v_cmp_gt_i32_e32 vcc_lo, s16, v14
	v_cmp_le_i32_e64 s11, s13, v7
	v_mul_u32_u24_e32 v14, 0x108, v7
	v_cndmask_b32_e32 v4, v4, v13, vcc_lo
	v_cndmask_b32_e32 v3, v3, v12, vcc_lo
	s_and_saveexec_b32 s17, s11
	s_xor_b32 s11, exec_lo, s17
	s_cbranch_execz .LBB121_47
; %bb.46:
	v_mov_b32_e32 v15, 0
	v_add_nc_u32_e32 v17, v8, v14
	v_mov_b32_e32 v16, v15
	ds_write_b64 v17, v[15:16]
.LBB121_47:
	s_andn2_saveexec_b32 s11, s11
	s_cbranch_execz .LBB121_49
; %bb.48:
	global_load_dwordx2 v[15:16], v[3:4], off
	v_add_nc_u32_e32 v17, v8, v14
	s_waitcnt vmcnt(0)
	ds_write_b64 v17, v[15:16]
.LBB121_49:
	s_or_b32 exec_lo, exec_lo, s11
	v_add_nc_u32_e32 v15, 8, v7
	v_cmp_le_i32_e64 s11, s13, v15
	s_and_saveexec_b32 s17, s11
	s_xor_b32 s11, exec_lo, s17
	s_cbranch_execz .LBB121_51
; %bb.50:
	v_mov_b32_e32 v15, 0
	v_add_nc_u32_e32 v17, v14, v8
	v_mov_b32_e32 v16, v15
	ds_write_b64 v17, v[15:16] offset:2112
.LBB121_51:
	s_andn2_saveexec_b32 s17, s11
	s_cbranch_execz .LBB121_53
; %bb.52:
	s_lshl_b32 s28, s12, 3
	v_add_nc_u32_e32 v17, v14, v8
	s_ashr_i32 s29, s28, 31
	s_lshl_b64 s[28:29], s[28:29], 3
	v_add_co_u32 v15, s11, v3, s28
	v_add_co_ci_u32_e64 v16, null, s29, v4, s11
	global_load_dwordx2 v[15:16], v[15:16], off
	s_waitcnt vmcnt(0)
	ds_write_b64 v17, v[15:16] offset:2112
.LBB121_53:
	s_or_b32 exec_lo, exec_lo, s17
	v_add_nc_u32_e32 v15, 16, v7
	v_cmp_le_i32_e64 s11, s13, v15
	s_and_saveexec_b32 s17, s11
	s_xor_b32 s11, exec_lo, s17
	s_cbranch_execz .LBB121_55
; %bb.54:
	v_mov_b32_e32 v15, 0
	v_add_nc_u32_e32 v17, v14, v8
	v_mov_b32_e32 v16, v15
	ds_write_b64 v17, v[15:16] offset:4224
.LBB121_55:
	s_andn2_saveexec_b32 s17, s11
	s_cbranch_execz .LBB121_57
; %bb.56:
	s_lshl_b32 s28, s12, 4
	v_add_nc_u32_e32 v17, v14, v8
	s_ashr_i32 s29, s28, 31
	s_lshl_b64 s[28:29], s[28:29], 3
	v_add_co_u32 v15, s11, v3, s28
	v_add_co_ci_u32_e64 v16, null, s29, v4, s11
	global_load_dwordx2 v[15:16], v[15:16], off
	s_waitcnt vmcnt(0)
	ds_write_b64 v17, v[15:16] offset:4224
.LBB121_57:
	s_or_b32 exec_lo, exec_lo, s17
	v_add_nc_u32_e32 v15, 24, v7
	v_cmp_le_i32_e64 s11, s13, v15
	s_and_saveexec_b32 s13, s11
	s_xor_b32 s11, exec_lo, s13
	s_cbranch_execz .LBB121_59
; %bb.58:
	v_mov_b32_e32 v15, 0
	v_add_nc_u32_e32 v14, v14, v8
	v_mov_b32_e32 v16, v15
	ds_write_b64 v14, v[15:16] offset:6336
                                        ; implicit-def: $vgpr14
.LBB121_59:
	s_andn2_saveexec_b32 s13, s11
	s_cbranch_execz .LBB121_61
; %bb.60:
	s_mul_i32 s28, s12, 24
	v_add_nc_u32_e32 v14, v14, v8
	s_ashr_i32 s29, s28, 31
	s_lshl_b64 s[28:29], s[28:29], 3
	v_add_co_u32 v15, s11, v3, s28
	v_add_co_ci_u32_e64 v16, null, s29, v4, s11
	global_load_dwordx2 v[15:16], v[15:16], off
	s_waitcnt vmcnt(0)
	ds_write_b64 v14, v[15:16] offset:6336
.LBB121_61:
	s_or_b32 exec_lo, exec_lo, s13
	v_add_co_u32 v3, s11, v3, v8
	v_add_co_ci_u32_e64 v4, null, 0, v4, s11
	v_sub_co_u32 v3, s11, v3, s22
	v_subrev_co_ci_u32_e64 v4, null, s23, v4, s11
	v_add_co_u32 v3, s11, 0x108, v3
	v_add_co_ci_u32_e64 v4, null, 0, v4, s11
	v_cndmask_b32_e32 v12, v3, v12, vcc_lo
	v_cndmask_b32_e32 v13, v4, v13, vcc_lo
.LBB121_62:
	v_mul_u32_u24_e32 v3, 0x420, v7
	v_add_nc_u32_e32 v6, 0x2380, v6
	v_mul_u32_u24_e32 v4, 0x108, v9
	s_waitcnt lgkmcnt(0)
	s_barrier
	v_add_nc_u32_e32 v3, v8, v3
	buffer_gl0_inv
	s_and_saveexec_b32 s11, s3
	s_cbranch_execnz .LBB121_71
; %bb.63:
	s_or_b32 exec_lo, exec_lo, s11
	v_add_nc_u32_e32 v4, v8, v4
	s_and_saveexec_b32 s3, s8
	s_cbranch_execnz .LBB121_72
.LBB121_64:
	s_or_b32 exec_lo, exec_lo, s3
	s_and_saveexec_b32 s3, s9
	s_cbranch_execnz .LBB121_73
.LBB121_65:
	s_or_b32 exec_lo, exec_lo, s3
	s_and_saveexec_b32 s3, s10
	s_cbranch_execz .LBB121_67
.LBB121_66:
	ds_read_b64 v[14:15], v10
	v_lshl_add_u32 v9, v5, 3, v26
	s_waitcnt lgkmcnt(0)
	ds_write_b64 v9, v[14:15] offset:24
.LBB121_67:
	s_or_b32 exec_lo, exec_lo, s3
	s_waitcnt lgkmcnt(0)
	s_barrier
	buffer_gl0_inv
	ds_read_b64 v[23:24], v3
	ds_read_b128 v[14:17], v6 offset:256
	ds_read2_b64 v[28:31], v4 offset1:33
	ds_read_b128 v[38:41], v6 offset:272
	ds_read_b64 v[3:4], v10
	v_cmp_eq_u32_e64 s3, 1, v7
	s_waitcnt lgkmcnt(0)
	s_barrier
	buffer_gl0_inv
	v_mul_f32_e32 v9, v15, v24
	v_mul_f32_e32 v10, v14, v24
	;; [unrolled: 1-line block ×5, first 2 shown]
	v_fma_f32 v9, v14, v23, -v9
	v_fmac_f32_e32 v10, v15, v23
	v_mul_f32_e32 v31, v38, v31
	v_fma_f32 v15, v16, v28, -v18
	v_fmac_f32_e32 v24, v17, v28
	v_add_f32_e32 v9, 0, v9
	v_add_f32_e32 v10, 0, v10
	v_mul_f32_e32 v14, v41, v4
	v_mul_f32_e32 v4, v40, v4
	v_fma_f32 v16, v38, v30, -v29
	v_fmac_f32_e32 v31, v39, v30
	v_add_f32_e32 v9, v9, v15
	v_add_f32_e32 v10, v10, v24
	v_fma_f32 v14, v40, v3, -v14
	v_fmac_f32_e32 v4, v41, v3
	v_add_f32_e32 v3, v9, v16
	v_add_f32_e32 v9, v10, v31
	;; [unrolled: 1-line block ×4, first 2 shown]
	ds_write_b64 v27, v[3:4]
	s_waitcnt lgkmcnt(0)
	s_barrier
	buffer_gl0_inv
	s_and_saveexec_b32 s8, s3
	s_cbranch_execz .LBB121_69
; %bb.68:
	ds_read2_b64 v[14:17], v26 offset1:7
	ds_read2_b64 v[28:31], v26 offset0:1 offset1:2
	ds_read2_b64 v[36:39], v26 offset0:3 offset1:4
	;; [unrolled: 1-line block ×3, first 2 shown]
	s_waitcnt lgkmcnt(2)
	v_add_f32_e32 v3, v28, v14
	v_add_f32_e32 v4, v29, v15
	v_add_f32_e32 v3, v30, v3
	v_add_f32_e32 v4, v31, v4
	s_waitcnt lgkmcnt(1)
	v_add_f32_e32 v3, v3, v36
	v_add_f32_e32 v4, v4, v37
	v_add_f32_e32 v3, v3, v38
	v_add_f32_e32 v4, v4, v39
	s_waitcnt lgkmcnt(0)
	v_add_f32_e32 v3, v3, v40
	v_add_f32_e32 v4, v4, v41
	v_add_f32_e32 v3, v3, v42
	v_add_f32_e32 v4, v4, v43
	v_add_f32_e32 v36, v3, v16
	v_add_f32_e32 v37, v4, v17
.LBB121_69:
	s_or_b32 exec_lo, exec_lo, s8
	v_cmp_ne_u32_e32 vcc_lo, 1, v11
	v_sub_co_u32 v23, s8, v12, s20
	v_subrev_co_ci_u32_e64 v24, null, s21, v13, s8
	s_barrier
	buffer_gl0_inv
	s_cbranch_vccnz .LBB121_74
; %bb.70:
	s_lshl_b32 s8, s12, 3
	s_ashr_i32 s13, s12, 31
	s_ashr_i32 s9, s8, 31
	global_load_dwordx2 v[10:11], v[23:24], off
	s_lshl_b64 s[8:9], s[8:9], 3
	v_mul_u32_u24_e32 v9, 0x108, v7
	v_add_co_u32 v3, vcc_lo, v23, s8
	v_add_co_ci_u32_e64 v4, null, s9, v24, vcc_lo
	s_lshl_b64 s[8:9], s[12:13], 6
	v_add_co_u32 v12, vcc_lo, v3, s8
	v_add_co_ci_u32_e64 v13, null, s9, v4, vcc_lo
	v_add_co_u32 v14, vcc_lo, v12, s8
	v_add_co_ci_u32_e64 v15, null, s9, v13, vcc_lo
	s_clause 0x2
	global_load_dwordx2 v[16:17], v[3:4], off
	global_load_dwordx2 v[28:29], v[12:13], off
	global_load_dwordx2 v[14:15], v[14:15], off
	s_movk_i32 s8, 0x840
	s_movk_i32 s9, 0x1080
	v_mad_u32_u24 v4, 0x108, v7, s8
	s_movk_i32 s8, 0x18c0
	v_mad_u32_u24 v12, 0x108, v7, v8
	v_mad_u32_u24 v13, 0x108, v7, s8
	;; [unrolled: 1-line block ×3, first 2 shown]
	v_add_nc_u32_e32 v18, v8, v4
	v_add_nc_u32_e32 v31, v8, v13
	;; [unrolled: 1-line block ×3, first 2 shown]
	s_waitcnt vmcnt(3)
	ds_write_b64 v12, v[10:11]
	v_add_nc_u32_e32 v10, 8, v7
	v_add_nc_u32_e32 v11, 16, v7
	;; [unrolled: 1-line block ×3, first 2 shown]
	s_waitcnt vmcnt(2)
	ds_write_b64 v18, v[16:17]
	s_waitcnt vmcnt(1)
	ds_write_b64 v30, v[28:29]
	;; [unrolled: 2-line block ×3, first 2 shown]
	s_cbranch_execz .LBB121_75
	s_branch .LBB121_92
.LBB121_71:
	ds_read_b64 v[14:15], v3
	v_lshl_add_u32 v9, v5, 3, v26
	s_waitcnt lgkmcnt(0)
	ds_write_b64 v9, v[14:15]
	s_or_b32 exec_lo, exec_lo, s11
	v_add_nc_u32_e32 v4, v8, v4
	s_and_saveexec_b32 s3, s8
	s_cbranch_execz .LBB121_64
.LBB121_72:
	ds_read_b64 v[14:15], v4
	v_lshl_add_u32 v9, v5, 3, v26
	s_waitcnt lgkmcnt(0)
	ds_write_b64 v9, v[14:15] offset:8
	s_or_b32 exec_lo, exec_lo, s3
	s_and_saveexec_b32 s3, s9
	s_cbranch_execz .LBB121_65
.LBB121_73:
	ds_read_b64 v[14:15], v4 offset:264
	v_lshl_add_u32 v9, v5, 3, v26
	s_waitcnt lgkmcnt(0)
	ds_write_b64 v9, v[14:15] offset:16
	s_or_b32 exec_lo, exec_lo, s3
	s_and_saveexec_b32 s3, s10
	s_cbranch_execnz .LBB121_66
	s_branch .LBB121_67
.LBB121_74:
                                        ; implicit-def: $vgpr9
                                        ; implicit-def: $vgpr10
                                        ; implicit-def: $vgpr4
                                        ; implicit-def: $vgpr11
                                        ; implicit-def: $vgpr3
                                        ; implicit-def: $vgpr12
                                        ; implicit-def: $vgpr13
.LBB121_75:
	v_sub_co_u32 v3, vcc_lo, v23, v8
	s_ashr_i32 s17, s16, 31
	v_subrev_co_ci_u32_e64 v4, null, 0, v24, vcc_lo
	s_lshl_b64 s[10:11], s[16:17], 3
	v_or_b32_e32 v1, 32, v1
	v_add_co_u32 v3, vcc_lo, v3, s10
	v_add_co_ci_u32_e64 v4, null, s11, v4, vcc_lo
	v_cmp_le_i32_e64 s8, s16, v7
	v_add_co_u32 v3, vcc_lo, 0xfffffef8, v3
	v_add_co_ci_u32_e64 v4, null, -1, v4, vcc_lo
	v_cmp_gt_i32_e32 vcc_lo, s16, v1
	v_mul_u32_u24_e32 v9, 0x108, v7
	v_cndmask_b32_e32 v4, v4, v24, vcc_lo
	v_cndmask_b32_e32 v3, v3, v23, vcc_lo
	s_and_saveexec_b32 s9, s8
	s_xor_b32 s8, exec_lo, s9
	s_cbranch_execz .LBB121_77
; %bb.76:
	v_mov_b32_e32 v10, 0
	v_add_nc_u32_e32 v1, v8, v9
	v_mov_b32_e32 v11, v10
	ds_write_b64 v1, v[10:11]
.LBB121_77:
	s_andn2_saveexec_b32 s8, s8
	s_cbranch_execz .LBB121_79
; %bb.78:
	global_load_dwordx2 v[10:11], v[3:4], off
	v_add_nc_u32_e32 v1, v8, v9
	s_waitcnt vmcnt(0)
	ds_write_b64 v1, v[10:11]
.LBB121_79:
	s_or_b32 exec_lo, exec_lo, s8
	v_add_nc_u32_e32 v10, 8, v7
	v_cmp_le_i32_e64 s8, s16, v10
	s_and_saveexec_b32 s9, s8
	s_xor_b32 s8, exec_lo, s9
	s_cbranch_execz .LBB121_81
; %bb.80:
	v_mov_b32_e32 v11, 0
	v_add_nc_u32_e32 v1, v9, v8
	v_mov_b32_e32 v12, v11
	ds_write_b64 v1, v[11:12] offset:2112
.LBB121_81:
	s_andn2_saveexec_b32 s9, s8
	s_cbranch_execz .LBB121_83
; %bb.82:
	s_lshl_b32 s20, s12, 3
	v_add_nc_u32_e32 v1, v9, v8
	s_ashr_i32 s21, s20, 31
	s_lshl_b64 s[20:21], s[20:21], 3
	v_add_co_u32 v11, s8, v3, s20
	v_add_co_ci_u32_e64 v12, null, s21, v4, s8
	global_load_dwordx2 v[11:12], v[11:12], off
	s_waitcnt vmcnt(0)
	ds_write_b64 v1, v[11:12] offset:2112
.LBB121_83:
	s_or_b32 exec_lo, exec_lo, s9
	v_add_nc_u32_e32 v11, 16, v7
	v_cmp_le_i32_e64 s8, s16, v11
	s_and_saveexec_b32 s9, s8
	s_xor_b32 s8, exec_lo, s9
	s_cbranch_execz .LBB121_85
; %bb.84:
	v_mov_b32_e32 v12, 0
	v_add_nc_u32_e32 v1, v9, v8
	v_mov_b32_e32 v13, v12
	ds_write_b64 v1, v[12:13] offset:4224
.LBB121_85:
	s_andn2_saveexec_b32 s9, s8
	s_cbranch_execz .LBB121_87
; %bb.86:
	s_lshl_b32 s20, s12, 4
	v_add_nc_u32_e32 v1, v9, v8
	s_ashr_i32 s21, s20, 31
	s_lshl_b64 s[20:21], s[20:21], 3
	v_add_co_u32 v12, s8, v3, s20
	v_add_co_ci_u32_e64 v13, null, s21, v4, s8
	global_load_dwordx2 v[12:13], v[12:13], off
	s_waitcnt vmcnt(0)
	ds_write_b64 v1, v[12:13] offset:4224
.LBB121_87:
	s_or_b32 exec_lo, exec_lo, s9
	v_add_nc_u32_e32 v12, 24, v7
                                        ; implicit-def: $vgpr13
	v_cmp_le_i32_e64 s8, s16, v12
	s_and_saveexec_b32 s9, s8
	s_xor_b32 s8, exec_lo, s9
	s_cbranch_execz .LBB121_89
; %bb.88:
	v_add_nc_u32_e32 v13, 0x18c0, v9
	v_mov_b32_e32 v14, 0
	v_add_nc_u32_e32 v1, v8, v13
	v_mov_b32_e32 v15, v14
	ds_write_b64 v1, v[14:15]
.LBB121_89:
	s_andn2_saveexec_b32 s9, s8
	s_cbranch_execz .LBB121_91
; %bb.90:
	s_mul_i32 s20, s12, 24
	s_ashr_i32 s21, s20, 31
	s_lshl_b64 s[20:21], s[20:21], 3
	v_add_co_u32 v13, s8, v3, s20
	v_add_co_ci_u32_e64 v14, null, s21, v4, s8
	global_load_dwordx2 v[14:15], v[13:14], off
	v_add_nc_u32_e32 v13, 0x18c0, v9
	v_add_nc_u32_e32 v1, v8, v13
	s_waitcnt vmcnt(0)
	ds_write_b64 v1, v[14:15]
.LBB121_91:
	s_or_b32 exec_lo, exec_lo, s9
	v_add_co_u32 v1, s8, v3, v8
	v_add_co_ci_u32_e64 v3, null, 0, v4, s8
	v_add_nc_u32_e32 v4, 0x840, v9
	v_sub_co_u32 v1, s8, v1, s10
	v_subrev_co_ci_u32_e64 v3, null, s11, v3, s8
	v_add_co_u32 v1, s8, 0x108, v1
	v_add_co_ci_u32_e64 v3, null, 0, v3, s8
	v_cndmask_b32_e32 v23, v1, v23, vcc_lo
	v_cndmask_b32_e32 v24, v3, v24, vcc_lo
	v_add_nc_u32_e32 v3, 0x1080, v9
.LBB121_92:
	v_add_nc_u32_e32 v1, v8, v9
	v_lshlrev_b32_e32 v7, 3, v7
	v_add_nc_u32_e32 v4, v8, v4
	v_lshlrev_b32_e32 v9, 3, v10
	v_add_nc_u32_e32 v3, v8, v3
	s_waitcnt lgkmcnt(0)
	s_barrier
	buffer_gl0_inv
	v_lshlrev_b32_e32 v10, 3, v11
	v_add_nc_u32_e32 v8, v8, v13
	v_lshlrev_b32_e32 v11, 3, v12
	ds_read_b64 v[28:29], v1
	ds_read_b64 v[30:31], v7 offset:9088
	ds_read_b64 v[32:33], v4
	ds_read_b64 v[38:39], v9 offset:9088
	;; [unrolled: 2-line block ×3, first 2 shown]
	ds_read2_b32 v[44:45], v8 offset1:1
	ds_read_b64 v[46:47], v11 offset:9088
	v_lshl_add_u32 v1, v5, 3, v26
	ds_read_b128 v[11:14], v6 offset:256
	ds_read_b128 v[3:6], v6 offset:272
	ds_read2_b64 v[15:18], v1 offset1:1
	ds_read2_b64 v[7:10], v1 offset0:2 offset1:3
	s_waitcnt lgkmcnt(0)
	s_barrier
	buffer_gl0_inv
	v_mul_f32_e32 v1, v31, v29
	v_mul_f32_e32 v29, v30, v29
	;; [unrolled: 1-line block ×5, first 2 shown]
	v_fma_f32 v1, v30, v28, -v1
	v_fmac_f32_e32 v29, v31, v28
	v_mul_f32_e32 v28, v42, v41
	v_fma_f32 v30, v38, v32, -v34
	v_fmac_f32_e32 v33, v39, v32
	v_add_f32_e32 v1, 0, v1
	v_add_f32_e32 v29, 0, v29
	v_mul_f32_e32 v49, v47, v45
	v_mul_f32_e32 v31, v46, v45
	v_fma_f32 v32, v42, v40, -v48
	v_fmac_f32_e32 v28, v43, v40
	v_add_f32_e32 v1, v1, v30
	v_add_f32_e32 v29, v29, v33
	v_fma_f32 v30, v46, v44, -v49
	v_fmac_f32_e32 v31, v47, v44
	v_add_f32_e32 v1, v1, v32
	v_add_f32_e32 v29, v29, v28
	;; [unrolled: 1-line block ×4, first 2 shown]
	ds_write_b64 v27, v[28:29]
	s_waitcnt lgkmcnt(0)
	s_barrier
	buffer_gl0_inv
	s_and_saveexec_b32 s8, s3
	s_cbranch_execz .LBB121_94
; %bb.93:
	ds_read2_b64 v[28:31], v26 offset1:1
	ds_read2_b64 v[38:41], v26 offset0:2 offset1:3
	ds_read2_b64 v[42:45], v26 offset0:4 offset1:5
	s_waitcnt lgkmcnt(2)
	v_add_f32_e32 v1, v36, v28
	v_add_f32_e32 v28, v37, v29
	;; [unrolled: 1-line block ×4, first 2 shown]
	ds_read2_b64 v[28:31], v26 offset0:6 offset1:7
	s_waitcnt lgkmcnt(2)
	v_add_f32_e32 v1, v1, v38
	v_add_f32_e32 v32, v32, v39
	v_add_f32_e32 v1, v1, v40
	v_add_f32_e32 v32, v32, v41
	s_waitcnt lgkmcnt(1)
	v_add_f32_e32 v1, v1, v42
	v_add_f32_e32 v32, v32, v43
	v_add_f32_e32 v1, v1, v44
	v_add_f32_e32 v32, v32, v45
	;; [unrolled: 5-line block ×3, first 2 shown]
.LBB121_94:
	s_or_b32 exec_lo, exec_lo, s8
	v_mul_f32_e32 v1, v12, v16
	v_mul_f32_e32 v16, v11, v16
	v_mul_f32_e32 v28, v14, v18
	v_mul_f32_e32 v18, v13, v18
	v_mul_f32_e32 v29, v4, v8
	v_fma_f32 v1, v11, v15, -v1
	v_fmac_f32_e32 v16, v12, v15
	v_mul_f32_e32 v8, v3, v8
	v_fma_f32 v12, v13, v17, -v28
	v_fmac_f32_e32 v18, v14, v17
	v_add_f32_e32 v1, 0, v1
	v_add_f32_e32 v13, 0, v16
	v_mul_f32_e32 v11, v6, v10
	v_mul_f32_e32 v10, v5, v10
	v_fma_f32 v3, v3, v7, -v29
	v_add_f32_e32 v1, v1, v12
	v_fmac_f32_e32 v8, v4, v7
	v_add_f32_e32 v4, v13, v18
	v_fma_f32 v5, v5, v9, -v11
	v_fmac_f32_e32 v10, v6, v9
	v_add_f32_e32 v1, v1, v3
	v_add_f32_e32 v4, v4, v8
	s_barrier
	buffer_gl0_inv
	v_add_f32_e32 v3, v1, v5
	v_add_f32_e32 v4, v4, v10
	ds_write_b64 v27, v[3:4]
	s_waitcnt lgkmcnt(0)
	s_barrier
	buffer_gl0_inv
	s_and_saveexec_b32 s3, s2
	s_cbranch_execz .LBB121_96
; %bb.95:
	ds_read2_b64 v[3:6], v26 offset1:1
	ds_read2_b64 v[7:10], v26 offset0:2 offset1:3
	ds_read2_b64 v[11:14], v26 offset0:4 offset1:5
	s_waitcnt lgkmcnt(2)
	v_add_f32_e32 v1, v36, v3
	v_add_f32_e32 v3, v37, v4
	;; [unrolled: 1-line block ×4, first 2 shown]
	ds_read2_b64 v[3:6], v26 offset0:6 offset1:7
	s_waitcnt lgkmcnt(2)
	v_add_f32_e32 v1, v1, v7
	v_add_f32_e32 v7, v15, v8
	v_add_f32_e32 v1, v1, v9
	v_add_f32_e32 v7, v7, v10
	s_waitcnt lgkmcnt(1)
	v_add_f32_e32 v1, v1, v11
	v_add_f32_e32 v7, v7, v12
	v_add_f32_e32 v1, v1, v13
	v_add_f32_e32 v7, v7, v14
	;; [unrolled: 5-line block ×3, first 2 shown]
.LBB121_96:
	s_or_b32 exec_lo, exec_lo, s3
	s_load_dwordx2 s[2:3], s[4:5], 0x68
	s_mul_hi_u32 s4, s25, s7
	s_mul_i32 s27, s27, s7
	s_mul_i32 s5, s25, s7
	s_add_i32 s4, s4, s27
	s_mul_hi_u32 s7, s5, s26
	s_mul_i32 s8, s4, s26
	s_mul_i32 s4, s5, s26
	s_add_i32 s5, s7, s8
	s_mul_i32 s8, s25, s6
	s_lshl_b64 s[4:5], s[4:5], 3
	v_cmp_le_i32_e32 vcc_lo, s16, v0
	v_lshlrev_b32_e32 v72, 3, v0
	s_waitcnt lgkmcnt(0)
	s_barrier
	buffer_gl0_inv
	s_add_u32 s4, s2, s4
	s_addc_u32 s5, s3, s5
	s_ashr_i32 s9, s8, 31
	s_lshl_b64 s[2:3], s[8:9], 3
	s_add_u32 s7, s4, s2
	s_addc_u32 s20, s5, s3
	s_and_b32 vcc_lo, s15, vcc_lo
	s_cmp_lt_i32 s6, 1
	s_cbranch_scc1 .LBB121_103
; %bb.97:
	v_mul_lo_u32 v1, v2, s12
	v_sub_co_u32 v7, s2, v23, s18
	v_subrev_co_ci_u32_e64 v8, null, s19, v24, s2
	s_ashr_i32 s17, s16, 31
	v_sub_co_u32 v7, s2, v7, v21
	v_lshl_add_u32 v3, v1, 2, v0
	v_sub_co_ci_u32_e64 v8, null, v8, v22, s2
	s_lshl_b64 s[8:9], s[16:17], 3
	v_lshrrev_b32_e32 v5, 4, v25
	v_ashrrev_i32_e32 v4, 31, v3
	v_and_b32_e32 v6, 15, v0
	s_mul_i32 s4, s24, s14
	v_mov_b32_e32 v1, 0
	s_ashr_i32 s5, s4, 31
	v_lshlrev_b64 v[3:4], 3, v[3:4]
	s_lshl_b64 s[4:5], s[4:5], 3
	v_add_nc_u32_e32 v75, 0x2180, v72
	v_lshl_add_u32 v76, v2, 5, 0x2180
	v_add_nc_u32_e32 v77, 0x2380, v72
	v_mad_u32_u24 v78, 0x860, v2, v72
	v_add_co_u32 v3, s2, v7, v3
	v_add_co_ci_u32_e64 v4, null, v8, v4, s2
	s_ashr_i32 s13, s12, 31
	v_sub_co_u32 v7, s2, v3, v72
	v_subrev_co_ci_u32_e64 v8, null, 0, v4, s2
	s_lshl_b32 s18, s24, 6
	v_add_co_u32 v7, s2, v7, s8
	v_add_co_ci_u32_e64 v8, null, s9, v8, s2
	v_add_co_u32 v3, s2, 0xffffff00, v3
	v_add_co_ci_u32_e64 v4, null, -1, v4, s2
	v_add_co_u32 v7, s2, 0xfffffef8, v7
	v_add_co_ci_u32_e64 v8, null, -1, v8, s2
	v_sub_co_u32 v73, s2, v19, s4
	v_cndmask_b32_e32 v38, v3, v7, vcc_lo
	v_cndmask_b32_e32 v39, v4, v8, vcc_lo
	v_and_b32_e32 v3, 48, v0
	v_lshlrev_b32_e32 v4, 5, v5
	v_mul_i32_i24_e32 v5, 0xffffffe8, v5
	v_subrev_co_ci_u32_e64 v74, null, s5, v20, s2
	v_lshlrev_b32_e32 v3, 3, v3
	v_mad_u32_u24 v79, 0x218, v6, v4
	v_or_b32_e32 v4, 0x78, v72
	v_cmp_gt_u32_e64 s2, 64, v25
	s_lshl_b64 s[4:5], s[12:13], 3
	v_mad_u32_u24 v80, 0x218, v6, v3
	v_add_nc_u32_e32 v82, v79, v5
	v_mad_u32_u24 v81, 0x218, v6, v4
	s_lshl_b64 s[8:9], s[12:13], 9
	s_lshl_b64 s[10:11], s[12:13], 4
	s_mul_hi_i32 s19, s12, 24
	s_mul_i32 s21, s12, 24
	s_mul_hi_i32 s22, s12, 0x90
	s_mul_i32 s23, s12, 0x90
	;; [unrolled: 2-line block ×10, first 2 shown]
	s_lshl_b64 s[14:15], s[12:13], 8
	s_mul_hi_i32 s41, s12, 0x88
	s_mul_i32 s42, s12, 0x88
	s_lshl_b64 s[12:13], s[12:13], 7
	s_mov_b32 s16, 0
	s_branch .LBB121_99
.LBB121_98:                             ;   in Loop: Header=BB121_99 Depth=1
	s_or_b32 exec_lo, exec_lo, s17
	v_mul_f32_e32 v83, v8, v41
	v_mul_f32_e32 v8, v8, v40
	;; [unrolled: 1-line block ×5, first 2 shown]
	v_fma_f32 v40, v7, v40, -v83
	v_fmac_f32_e32 v8, v7, v41
	v_fma_f32 v46, v9, v46, -v84
	v_mul_f32_e32 v4, v4, v44
	v_mul_f32_e32 v83, v6, v43
	v_add_f32_e32 v36, v36, v40
	v_fma_f32 v7, v3, v44, -v85
	v_fmac_f32_e32 v10, v9, v47
	v_add_f32_e32 v8, v37, v8
	v_mul_f32_e32 v6, v6, v42
	v_add_f32_e32 v36, v36, v46
	v_mul_f32_e32 v40, v16, v55
	v_fma_f32 v9, v5, v42, -v83
	v_fmac_f32_e32 v4, v3, v45
	v_add_f32_e32 v3, v8, v10
	v_add_f32_e32 v7, v36, v7
	v_mul_f32_e32 v16, v16, v54
	v_mul_f32_e32 v41, v18, v53
	v_fma_f32 v8, v15, v54, -v40
	v_fmac_f32_e32 v6, v5, v43
	v_add_f32_e32 v7, v7, v9
	v_add_f32_e32 v3, v3, v4
	v_mul_f32_e32 v18, v18, v52
	v_mul_f32_e32 v9, v12, v51
	v_fma_f32 v4, v17, v52, -v41
	v_add_f32_e32 v5, v7, v8
	v_fmac_f32_e32 v16, v15, v55
	v_add_f32_e32 v3, v3, v6
	v_mul_f32_e32 v7, v14, v49
	v_fma_f32 v6, v11, v50, -v9
	v_add_f32_e32 v4, v5, v4
	v_mul_f32_e32 v5, v12, v50
	v_fmac_f32_e32 v18, v17, v53
	v_add_f32_e32 v3, v3, v16
	v_fma_f32 v7, v13, v48, -v7
	v_add_f32_e32 v4, v4, v6
	v_mul_f32_e32 v6, v24, v63
	v_fmac_f32_e32 v5, v11, v51
	v_add_f32_e32 v3, v3, v18
	v_mul_f32_e32 v8, v14, v48
	v_add_f32_e32 v4, v4, v7
	v_fma_f32 v6, v23, v62, -v6
	v_mul_f32_e32 v7, v26, v61
	v_add_f32_e32 v3, v3, v5
	v_fmac_f32_e32 v8, v13, v49
	v_mul_f32_e32 v5, v24, v62
	v_add_f32_e32 v4, v4, v6
	v_fma_f32 v6, v25, v60, -v7
	v_mul_f32_e32 v7, v20, v59
	v_add_f32_e32 v3, v3, v8
	v_fmac_f32_e32 v5, v23, v63
	v_mul_f32_e32 v8, v26, v60
	v_add_f32_e32 v4, v4, v6
	v_fma_f32 v6, v19, v58, -v7
	v_mul_f32_e32 v7, v22, v57
	v_add_f32_e32 v3, v3, v5
	v_fmac_f32_e32 v8, v25, v61
	v_mul_f32_e32 v5, v20, v58
	v_add_f32_e32 v4, v4, v6
	v_fma_f32 v6, v21, v56, -v7
	v_mul_f32_e32 v7, v32, v71
	v_add_f32_e32 v3, v3, v8
	v_fmac_f32_e32 v5, v19, v59
	v_mul_f32_e32 v8, v22, v56
	v_add_f32_e32 v4, v4, v6
	v_mul_f32_e32 v6, v34, v69
	v_mul_f32_e32 v9, v30, v64
	v_add_f32_e32 v3, v3, v5
	v_fma_f32 v5, v31, v70, -v7
	v_fmac_f32_e32 v8, v21, v57
	v_mul_f32_e32 v7, v32, v70
	v_fmac_f32_e32 v9, v29, v65
	v_add_co_u32 v38, s3, v38, s8
	v_add_f32_e32 v4, v4, v5
	v_fma_f32 v5, v33, v68, -v6
	v_add_f32_e32 v3, v3, v8
	v_mul_f32_e32 v6, v34, v68
	v_fmac_f32_e32 v7, v31, v71
	v_mul_f32_e32 v8, v28, v67
	v_add_f32_e32 v4, v4, v5
	v_mul_f32_e32 v5, v28, v66
	v_fmac_f32_e32 v6, v33, v69
	v_add_f32_e32 v3, v3, v7
	v_fma_f32 v7, v27, v66, -v8
	v_mul_f32_e32 v8, v30, v65
	v_fmac_f32_e32 v5, v27, v67
	v_add_co_ci_u32_e64 v39, null, s9, v39, s3
	v_add_f32_e32 v3, v3, v6
	v_add_f32_e32 v4, v4, v7
	v_fma_f32 v6, v29, v64, -v8
	v_add_nc_u32_e32 v0, 64, v0
	s_add_i32 s6, s6, -1
	v_add_f32_e32 v3, v3, v5
	s_add_i32 s16, s16, s18
	v_add_f32_e32 v36, v4, v6
	s_cmp_eq_u32 s6, 0
	s_waitcnt_vscnt null, 0x0
	v_add_f32_e32 v37, v3, v9
	s_barrier
	buffer_gl0_inv
	s_cbranch_scc1 .LBB121_103
.LBB121_99:                             ; =>This Inner Loop Header: Depth=1
	s_and_saveexec_b32 s43, s1
	s_cbranch_execz .LBB121_101
; %bb.100:                              ;   in Loop: Header=BB121_99 Depth=1
	s_ashr_i32 s17, s16, 31
	s_lshl_b64 s[44:45], s[16:17], 3
	v_add_co_u32 v3, s3, v73, s44
	v_add_co_ci_u32_e64 v4, null, s45, v74, s3
	global_load_dwordx2 v[3:4], v[3:4], off
	s_waitcnt vmcnt(0)
	ds_write_b64 v75, v[3:4]
.LBB121_101:                            ;   in Loop: Header=BB121_99 Depth=1
	s_or_b32 exec_lo, exec_lo, s43
	v_add_co_u32 v3, s3, v38, s4
	v_add_co_ci_u32_e64 v4, null, s5, v39, s3
	v_add_co_u32 v5, s3, v38, s10
	v_add_co_ci_u32_e64 v6, null, s11, v39, s3
	;; [unrolled: 2-line block ×3, first 2 shown]
	s_waitcnt lgkmcnt(0)
	s_barrier
	buffer_gl0_inv
	s_clause 0x3
	global_load_dwordx2 v[40:41], v[38:39], off
	global_load_dwordx2 v[46:47], v[3:4], off
	;; [unrolled: 1-line block ×4, first 2 shown]
	ds_read_b64 v[11:12], v77
	ds_read_b128 v[7:10], v76
	ds_read_b128 v[3:6], v76 offset:16
	v_add_co_u32 v13, s3, v38, s12
	v_add_co_ci_u32_e64 v14, null, s13, v39, s3
	v_add_co_u32 v17, s3, v38, s42
	v_add_co_ci_u32_e64 v18, null, s41, v39, s3
	s_waitcnt vmcnt(2) lgkmcnt(2)
	v_mul_f32_e32 v19, v12, v47
	v_mul_f32_e32 v15, v12, v41
	;; [unrolled: 1-line block ×4, first 2 shown]
	s_waitcnt vmcnt(1)
	v_mul_f32_e32 v21, v12, v45
	v_mul_f32_e32 v22, v12, v44
	s_waitcnt vmcnt(0)
	v_mul_f32_e32 v23, v12, v43
	v_mul_f32_e32 v24, v11, v43
	v_fma_f32 v15, v11, v40, -v15
	v_fmac_f32_e32 v16, v11, v41
	v_fma_f32 v19, v11, v46, -v19
	v_fmac_f32_e32 v20, v11, v47
	;; [unrolled: 2-line block ×4, first 2 shown]
	v_add_co_u32 v11, s3, v38, s23
	v_add_co_ci_u32_e64 v12, null, s22, v39, s3
	ds_write2_b64 v78, v[15:16], v[19:20] offset1:67
	ds_write2_b64 v78, v[21:22], v[23:24] offset0:134 offset1:201
	s_waitcnt lgkmcnt(0)
	s_barrier
	buffer_gl0_inv
	ds_read2_b64 v[83:86], v79 offset1:1
	ds_read2_b64 v[87:90], v79 offset0:2 offset1:3
	s_waitcnt lgkmcnt(0)
	s_barrier
	buffer_gl0_inv
	global_load_dwordx2 v[54:55], v[13:14], off
	v_add_co_u32 v13, s3, v38, s25
	v_add_co_ci_u32_e64 v14, null, s24, v39, s3
	s_clause 0x2
	global_load_dwordx2 v[52:53], v[17:18], off
	global_load_dwordx2 v[50:51], v[11:12], off
	;; [unrolled: 1-line block ×3, first 2 shown]
	ds_read_b64 v[11:12], v77
	v_add_co_u32 v19, s3, v38, s14
	v_add_co_ci_u32_e64 v20, null, s15, v39, s3
	v_add_co_u32 v21, s3, v38, s40
	v_add_co_ci_u32_e64 v22, null, s39, v39, s3
	;; [unrolled: 2-line block ×4, first 2 shown]
	v_add_f32_e32 v83, 0, v83
	v_add_f32_e32 v84, 0, v84
	;; [unrolled: 1-line block ×8, first 2 shown]
	s_waitcnt vmcnt(3) lgkmcnt(0)
	v_mul_f32_e32 v13, v12, v55
	v_mul_f32_e32 v26, v12, v54
	s_waitcnt vmcnt(2)
	v_mul_f32_e32 v14, v12, v53
	v_mul_f32_e32 v28, v12, v52
	s_waitcnt vmcnt(1)
	;; [unrolled: 3-line block ×3, first 2 shown]
	v_mul_f32_e32 v16, v12, v49
	v_mul_f32_e32 v32, v11, v49
	v_fma_f32 v25, v11, v54, -v13
	v_fmac_f32_e32 v26, v11, v55
	v_fma_f32 v27, v11, v52, -v14
	v_fmac_f32_e32 v28, v11, v53
	;; [unrolled: 2-line block ×4, first 2 shown]
	ds_read_b128 v[15:18], v76 offset:128
	ds_read_b128 v[11:14], v76 offset:144
	ds_write2_b64 v78, v[25:26], v[27:28] offset1:67
	ds_write2_b64 v78, v[29:30], v[31:32] offset0:134 offset1:201
	s_waitcnt lgkmcnt(0)
	s_barrier
	buffer_gl0_inv
	ds_read2_b64 v[91:94], v79 offset1:1
	ds_read2_b64 v[95:98], v79 offset0:2 offset1:3
	s_waitcnt lgkmcnt(0)
	s_barrier
	buffer_gl0_inv
	s_clause 0x3
	global_load_dwordx2 v[62:63], v[19:20], off
	global_load_dwordx2 v[60:61], v[21:22], off
	;; [unrolled: 1-line block ×4, first 2 shown]
	ds_read_b64 v[19:20], v77
	v_add_co_u32 v27, s3, v38, s38
	v_add_co_ci_u32_e64 v28, null, s37, v39, s3
	v_add_co_u32 v29, s3, v38, s36
	v_add_co_ci_u32_e64 v30, null, s35, v39, s3
	;; [unrolled: 2-line block ×3, first 2 shown]
	v_add_f32_e32 v91, 0, v91
	v_add_f32_e32 v92, 0, v92
	;; [unrolled: 1-line block ×8, first 2 shown]
	s_waitcnt vmcnt(3) lgkmcnt(0)
	v_mul_f32_e32 v21, v20, v63
	v_mul_f32_e32 v32, v20, v62
	s_waitcnt vmcnt(2)
	v_mul_f32_e32 v22, v20, v61
	v_mul_f32_e32 v34, v20, v60
	s_waitcnt vmcnt(1)
	v_mul_f32_e32 v23, v20, v59
	s_waitcnt vmcnt(0)
	v_mul_f32_e32 v24, v20, v57
	v_mul_f32_e32 v65, v20, v58
	;; [unrolled: 1-line block ×3, first 2 shown]
	v_fma_f32 v31, v19, v62, -v21
	v_fma_f32 v33, v19, v60, -v22
	v_fmac_f32_e32 v32, v19, v63
	v_fmac_f32_e32 v34, v19, v61
	v_fma_f32 v64, v19, v58, -v23
	v_fma_f32 v66, v19, v56, -v24
	v_fmac_f32_e32 v65, v19, v59
	v_fmac_f32_e32 v67, v20, v56
	ds_read_b128 v[23:26], v76 offset:256
	ds_read_b128 v[19:22], v76 offset:272
	ds_write2_b64 v78, v[31:32], v[33:34] offset1:67
	ds_write2_b64 v78, v[64:65], v[66:67] offset0:134 offset1:201
	s_waitcnt lgkmcnt(0)
	s_barrier
	buffer_gl0_inv
	ds_read2_b64 v[99:102], v79 offset1:1
	ds_read2_b64 v[103:106], v79 offset0:2 offset1:3
	s_waitcnt lgkmcnt(0)
	s_barrier
	buffer_gl0_inv
	global_load_dwordx2 v[70:71], v[27:28], off
	v_add_co_u32 v27, s3, v38, s34
	v_add_co_ci_u32_e64 v28, null, s33, v39, s3
	s_clause 0x2
	global_load_dwordx2 v[68:69], v[29:30], off
	global_load_dwordx2 v[66:67], v[107:108], off
	;; [unrolled: 1-line block ×3, first 2 shown]
	ds_read_b64 v[27:28], v77
	v_add_f32_e32 v91, 0, v99
	v_add_f32_e32 v92, 0, v100
	;; [unrolled: 1-line block ×6, first 2 shown]
	s_waitcnt vmcnt(3) lgkmcnt(0)
	v_mul_f32_e32 v29, v28, v71
	v_mul_f32_e32 v108, v28, v70
	s_waitcnt vmcnt(2)
	v_mul_f32_e32 v30, v28, v69
	v_mul_f32_e32 v110, v28, v68
	s_waitcnt vmcnt(1)
	;; [unrolled: 3-line block ×3, first 2 shown]
	v_mul_f32_e32 v32, v28, v65
	v_mul_f32_e32 v114, v27, v65
	v_fma_f32 v107, v27, v70, -v29
	v_fma_f32 v109, v27, v68, -v30
	v_fmac_f32_e32 v108, v27, v71
	v_fmac_f32_e32 v110, v27, v69
	v_fma_f32 v111, v27, v66, -v31
	v_fma_f32 v113, v27, v64, -v32
	v_fmac_f32_e32 v112, v27, v67
	v_fmac_f32_e32 v114, v28, v64
	ds_read_b128 v[31:34], v76 offset:384
	ds_read_b128 v[27:30], v76 offset:400
	ds_write2_b64 v78, v[107:108], v[109:110] offset1:67
	ds_write2_b64 v78, v[111:112], v[113:114] offset0:134 offset1:201
	s_waitcnt lgkmcnt(0)
	s_barrier
	buffer_gl0_inv
	ds_read2_b64 v[107:110], v79 offset1:1
	ds_read2_b64 v[83:86], v79 offset0:2 offset1:3
	s_waitcnt lgkmcnt(0)
	s_barrier
	buffer_gl0_inv
	v_add_f32_e32 v93, 0, v107
	v_add_f32_e32 v94, 0, v108
	;; [unrolled: 1-line block ×10, first 2 shown]
	ds_write2_b64 v82, v[87:88], v[89:90] offset1:16
	ds_write2_b64 v82, v[83:84], v[85:86] offset0:32 offset1:48
	s_waitcnt lgkmcnt(0)
	s_barrier
	buffer_gl0_inv
	s_and_saveexec_b32 s17, s2
	s_cbranch_execz .LBB121_98
; %bb.102:                              ;   in Loop: Header=BB121_99 Depth=1
	ds_read_b64 v[95:96], v80
	ds_read2_b64 v[83:86], v80 offset0:1 offset1:2
	ds_read2_b64 v[87:90], v80 offset0:3 offset1:4
	;; [unrolled: 1-line block ×3, first 2 shown]
	s_waitcnt lgkmcnt(2)
	v_add_f32_e32 v83, v83, v95
	v_add_f32_e32 v84, v84, v96
	v_add_f32_e32 v95, v85, v83
	v_add_f32_e32 v96, v86, v84
	ds_read2_b64 v[83:86], v80 offset0:7 offset1:8
	s_waitcnt lgkmcnt(2)
	v_add_f32_e32 v87, v95, v87
	v_add_f32_e32 v88, v96, v88
	v_add_f32_e32 v95, v87, v89
	v_add_f32_e32 v96, v88, v90
	ds_read2_b64 v[87:90], v80 offset0:9 offset1:10
	;; [unrolled: 6-line block ×4, first 2 shown]
	s_waitcnt lgkmcnt(2)
	v_add_f32_e32 v87, v95, v87
	v_add_f32_e32 v88, v96, v88
	;; [unrolled: 1-line block ×4, first 2 shown]
	ds_read_b64 v[87:88], v81
	s_waitcnt lgkmcnt(2)
	v_add_f32_e32 v89, v89, v91
	v_add_f32_e32 v90, v90, v92
	;; [unrolled: 1-line block ×4, first 2 shown]
	s_waitcnt lgkmcnt(1)
	v_add_f32_e32 v83, v89, v83
	v_add_f32_e32 v84, v90, v84
	;; [unrolled: 1-line block ×4, first 2 shown]
	v_lshlrev_b64 v[83:84], 3, v[0:1]
	s_waitcnt lgkmcnt(0)
	v_add_f32_e32 v85, v85, v87
	v_add_f32_e32 v86, v86, v88
	v_add_co_u32 v83, s3, s7, v83
	v_add_co_ci_u32_e64 v84, null, s20, v84, s3
	global_store_dwordx2 v[83:84], v[85:86], off
	s_branch .LBB121_98
.LBB121_103:
	v_mad_u32_u24 v0, 0x218, v2, v72
	s_nor_b32 s0, s0, vcc_lo
	ds_write_b64 v0, v[36:37]
	s_waitcnt lgkmcnt(0)
	s_barrier
	buffer_gl0_inv
	s_and_saveexec_b32 s1, s0
	s_cbranch_execz .LBB121_105
; %bb.104:
	ds_read2_b64 v[0:3], v72 offset1:67
	ds_read2_b64 v[4:7], v72 offset0:134 offset1:201
	v_ashrrev_i32_e32 v36, 31, v35
	s_waitcnt lgkmcnt(1)
	v_add_f32_e32 v0, v2, v0
	v_add_f32_e32 v1, v3, v1
	s_waitcnt lgkmcnt(0)
	v_add_f32_e32 v2, v4, v0
	v_add_f32_e32 v3, v5, v1
	v_lshlrev_b64 v[0:1], 3, v[35:36]
	v_add_f32_e32 v2, v2, v6
	v_add_f32_e32 v3, v3, v7
	v_add_co_u32 v0, vcc_lo, s7, v0
	v_add_co_ci_u32_e64 v1, null, s20, v1, vcc_lo
	global_store_dwordx2 v[0:1], v[2:3], off
.LBB121_105:
	s_endpgm
	.section	.rodata,"a",@progbits
	.p2align	6, 0x0
	.amdhsa_kernel _ZL26rocblas_hemvn_kernel_lowerILb0ELi64ELi4ELi33ELi32ELi16Ei19rocblas_complex_numIfEPKS1_PS1_EviT6_lT7_lT5_lS6_lS7_lS5_lT8_i
		.amdhsa_group_segment_fixed_size 9600
		.amdhsa_private_segment_fixed_size 0
		.amdhsa_kernarg_size 376
		.amdhsa_user_sgpr_count 6
		.amdhsa_user_sgpr_private_segment_buffer 1
		.amdhsa_user_sgpr_dispatch_ptr 0
		.amdhsa_user_sgpr_queue_ptr 0
		.amdhsa_user_sgpr_kernarg_segment_ptr 1
		.amdhsa_user_sgpr_dispatch_id 0
		.amdhsa_user_sgpr_flat_scratch_init 0
		.amdhsa_user_sgpr_private_segment_size 0
		.amdhsa_wavefront_size32 1
		.amdhsa_uses_dynamic_stack 0
		.amdhsa_system_sgpr_private_segment_wavefront_offset 0
		.amdhsa_system_sgpr_workgroup_id_x 1
		.amdhsa_system_sgpr_workgroup_id_y 0
		.amdhsa_system_sgpr_workgroup_id_z 1
		.amdhsa_system_sgpr_workgroup_info 0
		.amdhsa_system_vgpr_workitem_id 1
		.amdhsa_next_free_vgpr 115
		.amdhsa_next_free_sgpr 46
		.amdhsa_reserve_vcc 1
		.amdhsa_reserve_flat_scratch 0
		.amdhsa_float_round_mode_32 0
		.amdhsa_float_round_mode_16_64 0
		.amdhsa_float_denorm_mode_32 3
		.amdhsa_float_denorm_mode_16_64 3
		.amdhsa_dx10_clamp 1
		.amdhsa_ieee_mode 1
		.amdhsa_fp16_overflow 0
		.amdhsa_workgroup_processor_mode 1
		.amdhsa_memory_ordered 1
		.amdhsa_forward_progress 1
		.amdhsa_shared_vgpr_count 0
		.amdhsa_exception_fp_ieee_invalid_op 0
		.amdhsa_exception_fp_denorm_src 0
		.amdhsa_exception_fp_ieee_div_zero 0
		.amdhsa_exception_fp_ieee_overflow 0
		.amdhsa_exception_fp_ieee_underflow 0
		.amdhsa_exception_fp_ieee_inexact 0
		.amdhsa_exception_int_div_zero 0
	.end_amdhsa_kernel
	.section	.text._ZL26rocblas_hemvn_kernel_lowerILb0ELi64ELi4ELi33ELi32ELi16Ei19rocblas_complex_numIfEPKS1_PS1_EviT6_lT7_lT5_lS6_lS7_lS5_lT8_i,"axG",@progbits,_ZL26rocblas_hemvn_kernel_lowerILb0ELi64ELi4ELi33ELi32ELi16Ei19rocblas_complex_numIfEPKS1_PS1_EviT6_lT7_lT5_lS6_lS7_lS5_lT8_i,comdat
.Lfunc_end121:
	.size	_ZL26rocblas_hemvn_kernel_lowerILb0ELi64ELi4ELi33ELi32ELi16Ei19rocblas_complex_numIfEPKS1_PS1_EviT6_lT7_lT5_lS6_lS7_lS5_lT8_i, .Lfunc_end121-_ZL26rocblas_hemvn_kernel_lowerILb0ELi64ELi4ELi33ELi32ELi16Ei19rocblas_complex_numIfEPKS1_PS1_EviT6_lT7_lT5_lS6_lS7_lS5_lT8_i
                                        ; -- End function
	.set _ZL26rocblas_hemvn_kernel_lowerILb0ELi64ELi4ELi33ELi32ELi16Ei19rocblas_complex_numIfEPKS1_PS1_EviT6_lT7_lT5_lS6_lS7_lS5_lT8_i.num_vgpr, 115
	.set _ZL26rocblas_hemvn_kernel_lowerILb0ELi64ELi4ELi33ELi32ELi16Ei19rocblas_complex_numIfEPKS1_PS1_EviT6_lT7_lT5_lS6_lS7_lS5_lT8_i.num_agpr, 0
	.set _ZL26rocblas_hemvn_kernel_lowerILb0ELi64ELi4ELi33ELi32ELi16Ei19rocblas_complex_numIfEPKS1_PS1_EviT6_lT7_lT5_lS6_lS7_lS5_lT8_i.numbered_sgpr, 46
	.set _ZL26rocblas_hemvn_kernel_lowerILb0ELi64ELi4ELi33ELi32ELi16Ei19rocblas_complex_numIfEPKS1_PS1_EviT6_lT7_lT5_lS6_lS7_lS5_lT8_i.num_named_barrier, 0
	.set _ZL26rocblas_hemvn_kernel_lowerILb0ELi64ELi4ELi33ELi32ELi16Ei19rocblas_complex_numIfEPKS1_PS1_EviT6_lT7_lT5_lS6_lS7_lS5_lT8_i.private_seg_size, 0
	.set _ZL26rocblas_hemvn_kernel_lowerILb0ELi64ELi4ELi33ELi32ELi16Ei19rocblas_complex_numIfEPKS1_PS1_EviT6_lT7_lT5_lS6_lS7_lS5_lT8_i.uses_vcc, 1
	.set _ZL26rocblas_hemvn_kernel_lowerILb0ELi64ELi4ELi33ELi32ELi16Ei19rocblas_complex_numIfEPKS1_PS1_EviT6_lT7_lT5_lS6_lS7_lS5_lT8_i.uses_flat_scratch, 0
	.set _ZL26rocblas_hemvn_kernel_lowerILb0ELi64ELi4ELi33ELi32ELi16Ei19rocblas_complex_numIfEPKS1_PS1_EviT6_lT7_lT5_lS6_lS7_lS5_lT8_i.has_dyn_sized_stack, 0
	.set _ZL26rocblas_hemvn_kernel_lowerILb0ELi64ELi4ELi33ELi32ELi16Ei19rocblas_complex_numIfEPKS1_PS1_EviT6_lT7_lT5_lS6_lS7_lS5_lT8_i.has_recursion, 0
	.set _ZL26rocblas_hemvn_kernel_lowerILb0ELi64ELi4ELi33ELi32ELi16Ei19rocblas_complex_numIfEPKS1_PS1_EviT6_lT7_lT5_lS6_lS7_lS5_lT8_i.has_indirect_call, 0
	.section	.AMDGPU.csdata,"",@progbits
; Kernel info:
; codeLenInByte = 7840
; TotalNumSgprs: 48
; NumVgprs: 115
; ScratchSize: 0
; MemoryBound: 1
; FloatMode: 240
; IeeeMode: 1
; LDSByteSize: 9600 bytes/workgroup (compile time only)
; SGPRBlocks: 0
; VGPRBlocks: 14
; NumSGPRsForWavesPerEU: 48
; NumVGPRsForWavesPerEU: 115
; Occupancy: 8
; WaveLimiterHint : 1
; COMPUTE_PGM_RSRC2:SCRATCH_EN: 0
; COMPUTE_PGM_RSRC2:USER_SGPR: 6
; COMPUTE_PGM_RSRC2:TRAP_HANDLER: 0
; COMPUTE_PGM_RSRC2:TGID_X_EN: 1
; COMPUTE_PGM_RSRC2:TGID_Y_EN: 0
; COMPUTE_PGM_RSRC2:TGID_Z_EN: 1
; COMPUTE_PGM_RSRC2:TIDIG_COMP_CNT: 1
	.section	.text._ZL26rocblas_hemvn_kernel_upperILb0ELi64ELi4ELi33ELi32ELi16ElPK19rocblas_complex_numIdES3_PS1_EviT6_lT7_lT5_lS6_lS7_lS5_lT8_i,"axG",@progbits,_ZL26rocblas_hemvn_kernel_upperILb0ELi64ELi4ELi33ELi32ELi16ElPK19rocblas_complex_numIdES3_PS1_EviT6_lT7_lT5_lS6_lS7_lS5_lT8_i,comdat
	.globl	_ZL26rocblas_hemvn_kernel_upperILb0ELi64ELi4ELi33ELi32ELi16ElPK19rocblas_complex_numIdES3_PS1_EviT6_lT7_lT5_lS6_lS7_lS5_lT8_i ; -- Begin function _ZL26rocblas_hemvn_kernel_upperILb0ELi64ELi4ELi33ELi32ELi16ElPK19rocblas_complex_numIdES3_PS1_EviT6_lT7_lT5_lS6_lS7_lS5_lT8_i
	.p2align	8
	.type	_ZL26rocblas_hemvn_kernel_upperILb0ELi64ELi4ELi33ELi32ELi16ElPK19rocblas_complex_numIdES3_PS1_EviT6_lT7_lT5_lS6_lS7_lS5_lT8_i,@function
_ZL26rocblas_hemvn_kernel_upperILb0ELi64ELi4ELi33ELi32ELi16ElPK19rocblas_complex_numIdES3_PS1_EviT6_lT7_lT5_lS6_lS7_lS5_lT8_i: ; @_ZL26rocblas_hemvn_kernel_upperILb0ELi64ELi4ELi33ELi32ELi16ElPK19rocblas_complex_numIdES3_PS1_EviT6_lT7_lT5_lS6_lS7_lS5_lT8_i
; %bb.0:
	s_load_dwordx2 s[2:3], s[4:5], 0x84
	s_add_u32 s0, s4, 0x78
	s_addc_u32 s1, s5, 0
	s_waitcnt lgkmcnt(0)
	s_lshr_b32 s8, s2, 16
	s_and_b32 s2, s2, 0xffff
	s_and_b32 s3, s3, 0xffff
	s_mul_i32 s2, s8, s2
	s_mul_i32 s2, s2, s3
	s_cmpk_lg_i32 s2, 0x100
	s_cbranch_scc1 .LBB122_156
; %bb.1:
	s_load_dwordx16 s[8:23], s[4:5], 0x8
	s_waitcnt lgkmcnt(0)
	s_mul_i32 s3, s11, s7
	s_mul_hi_u32 s11, s10, s7
	s_mul_i32 s2, s10, s7
	s_add_i32 s3, s11, s3
	s_lshl_b64 s[2:3], s[2:3], 4
	s_add_u32 s2, s8, s2
	s_addc_u32 s3, s9, s3
	s_load_dwordx4 s[8:11], s[2:3], 0x0
	s_clause 0x1
	s_load_dwordx2 s[34:35], s[4:5], 0x68
	s_load_dwordx8 s[24:31], s[4:5], 0x48
	s_waitcnt lgkmcnt(0)
	v_cmp_neq_f64_e64 s2, s[8:9], 0
	v_cmp_neq_f64_e64 s3, s[10:11], 0
	s_or_b32 s2, s2, s3
	s_mov_b32 s3, -1
	s_and_b32 vcc_lo, exec_lo, s2
	s_cbranch_vccnz .LBB122_3
; %bb.2:
	s_mul_i32 s3, s31, s7
	s_mul_hi_u32 s9, s30, s7
	s_mul_i32 s8, s30, s7
	s_add_i32 s9, s9, s3
	s_lshl_b64 s[8:9], s[8:9], 4
	s_add_u32 s8, s28, s8
	s_addc_u32 s9, s29, s9
	s_load_dwordx4 s[8:11], s[8:9], 0x0
	s_waitcnt lgkmcnt(0)
	v_cmp_neq_f64_e64 s3, s[8:9], 1.0
	v_cmp_neq_f64_e64 s8, s[10:11], 0
	s_or_b32 s3, s3, s8
.LBB122_3:
	s_andn2_b32 vcc_lo, exec_lo, s3
	s_cbranch_vccnz .LBB122_156
; %bb.4:
	s_andn2_b32 vcc_lo, exec_lo, s2
	s_cbranch_vccnz .LBB122_156
; %bb.5:
	s_mul_i32 s3, s27, s7
	s_mul_hi_u32 s8, s26, s7
	s_mul_i32 s2, s26, s7
	s_add_i32 s3, s8, s3
	s_lshl_b64 s[2:3], s[2:3], 4
	s_add_u32 s8, s20, s2
	s_addc_u32 s9, s21, s3
	s_lshl_b64 s[2:3], s[22:23], 4
	s_load_dword s23, s[4:5], 0x0
	s_add_u32 s2, s8, s2
	s_addc_u32 s3, s9, s3
	s_lshl_b32 s20, s6, 6
	s_load_dword s9, s[0:1], 0x0
	v_add_nc_u32_e32 v167, s20, v0
	v_ashrrev_i32_e32 v168, 31, v167
	v_mul_lo_u32 v4, s25, v167
	v_mad_u64_u32 v[2:3], null, s24, v167, 0
	v_mul_lo_u32 v5, s24, v168
	s_waitcnt lgkmcnt(0)
	s_ashr_i32 s26, s23, 31
	s_lshr_b32 s0, s26, 26
	v_add3_u32 v3, v3, v5, v4
	s_add_i32 s0, s23, s0
	s_add_i32 s1, s9, -1
	s_andn2_b32 s0, s0, 63
	v_lshlrev_b64 v[2:3], 4, v[2:3]
	s_sub_i32 s22, s23, s0
	v_cmp_eq_u32_e64 s0, 0, v1
	s_cmp_eq_u32 s6, s1
	s_cselect_b32 s10, s22, 0
	v_add_co_u32 v40, vcc_lo, s2, v2
	v_add_co_ci_u32_e64 v41, null, s3, v3, vcc_lo
	s_mov_b32 s3, -1
	s_and_saveexec_b32 s1, s0
	s_cbranch_execz .LBB122_10
; %bb.6:
	v_cmp_le_i32_e32 vcc_lo, s10, v0
	s_cmp_lg_u32 s10, 0
	v_lshl_add_u32 v2, v0, 4, 0x4700
	s_cselect_b32 s2, -1, 0
	s_and_b32 s2, s2, vcc_lo
	s_and_saveexec_b32 s4, s2
	s_xor_b32 s2, exec_lo, s4
	s_cbranch_execz .LBB122_8
; %bb.7:
	v_mov_b32_e32 v3, 0
	v_mov_b32_e32 v4, v3
	;; [unrolled: 1-line block ×4, first 2 shown]
	ds_write_b128 v2, v[3:6]
                                        ; implicit-def: $vgpr2
.LBB122_8:
	s_andn2_saveexec_b32 s2, s2
	s_cbranch_execz .LBB122_10
; %bb.9:
	global_load_dwordx4 v[3:6], v[40:41], off
	s_waitcnt vmcnt(0)
	ds_write2_b64 v2, v[3:4], v[5:6] offset1:1
.LBB122_10:
	s_or_b32 exec_lo, exec_lo, s1
	v_lshl_add_u32 v44, v1, 6, v0
	v_and_b32_e32 v6, 31, v0
	v_mov_b32_e32 v7, 0
	s_mul_i32 s1, s19, s7
	s_mul_hi_u32 s2, s18, s7
	v_lshrrev_b32_e32 v13, 5, v44
	s_mul_i32 s4, s18, s7
	s_add_i32 s5, s2, s1
	s_mul_hi_u32 s1, s16, s20
	s_lshl_b64 s[4:5], s[4:5], 4
	v_mad_u64_u32 v[2:3], null, s16, v13, v[6:7]
	s_add_u32 s2, s12, s4
	s_addc_u32 s8, s13, s5
	s_lshl_b64 s[4:5], s[14:15], 4
	s_mul_i32 s11, s17, s20
	s_add_u32 s2, s2, s4
	s_addc_u32 s5, s8, s5
	v_mad_u64_u32 v[3:4], null, s17, v13, v[3:4]
	s_ashr_i32 s21, s20, 31
	s_mul_i32 s4, s16, s20
	s_lshl_b64 s[12:13], s[20:21], 4
	s_mul_i32 s8, s16, s21
	s_add_u32 s2, s2, s12
	s_addc_u32 s12, s5, s13
	v_lshlrev_b64 v[38:39], 4, v[2:3]
	s_add_i32 s1, s1, s8
	v_lshlrev_b32_e32 v15, 4, v6
	s_add_i32 s5, s1, s11
	v_cmp_gt_i32_e64 s1, s10, v6
	s_lshl_b64 s[4:5], s[4:5], 4
	v_add_co_u32 v2, vcc_lo, s2, v38
	v_add_co_ci_u32_e64 v3, null, s12, v39, vcc_lo
	s_cmp_eq_u32 s10, 0
	v_add_co_u32 v2, s2, v2, s4
	s_cselect_b32 s14, -1, 0
	s_cmp_lg_u32 s10, 0
	v_add_co_ci_u32_e64 v3, null, s5, v3, s2
	v_lshlrev_b32_e32 v14, 4, v6
	s_cselect_b32 s15, -1, 0
                                        ; implicit-def: $vgpr7_vgpr8
	s_and_b32 vcc_lo, exec_lo, s15
	s_cbranch_vccz .LBB122_28
; %bb.11:
	v_sub_co_u32 v4, vcc_lo, v2, v15
	s_ashr_i32 s11, s10, 31
	v_subrev_co_ci_u32_e64 v5, null, 0, v3, vcc_lo
	s_lshl_b64 s[2:3], s[10:11], 4
	v_mad_u32_u24 v8, 0x210, v13, v14
	v_add_co_u32 v4, vcc_lo, v4, s2
	v_add_co_ci_u32_e64 v5, null, s3, v5, vcc_lo
	s_mov_b32 s4, exec_lo
	v_add_co_u32 v4, vcc_lo, v4, -16
	v_add_co_ci_u32_e64 v5, null, -1, v5, vcc_lo
	v_cndmask_b32_e64 v4, v4, v2, s1
	v_cndmask_b32_e64 v5, v5, v3, s1
	v_cmpx_le_i32_e64 s10, v13
	s_xor_b32 s4, exec_lo, s4
	s_cbranch_execz .LBB122_13
; %bb.12:
	v_mov_b32_e32 v9, 0
	v_mov_b32_e32 v10, v9
	;; [unrolled: 1-line block ×4, first 2 shown]
	ds_write_b128 v8, v[9:12]
                                        ; implicit-def: $vgpr8
.LBB122_13:
	s_or_saveexec_b32 s4, s4
	v_mul_u32_u24_e32 v7, 0x210, v13
	s_xor_b32 exec_lo, exec_lo, s4
	s_cbranch_execz .LBB122_15
; %bb.14:
	global_load_dwordx4 v[9:12], v[4:5], off
	s_waitcnt vmcnt(0)
	ds_write2_b64 v8, v[9:10], v[11:12] offset1:1
.LBB122_15:
	s_or_b32 exec_lo, exec_lo, s4
	v_add_nc_u32_e32 v8, 8, v13
	v_cmp_le_i32_e32 vcc_lo, s10, v8
	v_add_nc_u32_e32 v8, v7, v14
	s_and_saveexec_b32 s4, vcc_lo
	s_xor_b32 s4, exec_lo, s4
	s_cbranch_execz .LBB122_17
; %bb.16:
	v_mov_b32_e32 v9, 0
	v_mov_b32_e32 v10, v9
	;; [unrolled: 1-line block ×4, first 2 shown]
	ds_write_b128 v8, v[9:12] offset:4224
.LBB122_17:
	s_andn2_saveexec_b32 s4, s4
	s_cbranch_execz .LBB122_19
; %bb.18:
	s_lshl_b64 s[12:13], s[16:17], 7
	v_add3_u32 v16, v7, v14, 0x1080
	v_add_co_u32 v9, vcc_lo, v4, s12
	v_add_co_ci_u32_e64 v10, null, s13, v5, vcc_lo
	global_load_dwordx4 v[9:12], v[9:10], off
	s_waitcnt vmcnt(0)
	ds_write2_b64 v16, v[9:10], v[11:12] offset1:1
.LBB122_19:
	s_or_b32 exec_lo, exec_lo, s4
	v_add_nc_u32_e32 v9, 16, v13
	s_mov_b32 s4, exec_lo
	v_cmpx_le_i32_e64 s10, v9
	s_xor_b32 s4, exec_lo, s4
	s_cbranch_execz .LBB122_21
; %bb.20:
	v_mov_b32_e32 v9, 0
	v_mov_b32_e32 v10, v9
	;; [unrolled: 1-line block ×4, first 2 shown]
	ds_write_b128 v8, v[9:12] offset:8448
.LBB122_21:
	s_andn2_saveexec_b32 s4, s4
	s_cbranch_execz .LBB122_23
; %bb.22:
	s_lshl_b64 s[12:13], s[16:17], 8
	v_add3_u32 v16, v7, v14, 0x2100
	v_add_co_u32 v9, vcc_lo, v4, s12
	v_add_co_ci_u32_e64 v10, null, s13, v5, vcc_lo
	global_load_dwordx4 v[9:12], v[9:10], off
	s_waitcnt vmcnt(0)
	ds_write2_b64 v16, v[9:10], v[11:12] offset1:1
.LBB122_23:
	s_or_b32 exec_lo, exec_lo, s4
	v_add_nc_u32_e32 v9, 24, v13
	s_mov_b32 s4, exec_lo
	v_cmpx_le_i32_e64 s10, v9
	s_xor_b32 s4, exec_lo, s4
	s_cbranch_execz .LBB122_25
; %bb.24:
	v_mov_b32_e32 v9, 0
                                        ; implicit-def: $vgpr7
	v_mov_b32_e32 v10, v9
	v_mov_b32_e32 v11, v9
	;; [unrolled: 1-line block ×3, first 2 shown]
	ds_write_b128 v8, v[9:12] offset:12672
.LBB122_25:
	s_andn2_saveexec_b32 s4, s4
	s_cbranch_execz .LBB122_27
; %bb.26:
	v_mad_u64_u32 v[8:9], null, 0x180, s16, v[4:5]
	v_add3_u32 v7, v7, v14, 0x3180
	v_mad_u64_u32 v[9:10], null, 0x180, s17, v[9:10]
	global_load_dwordx4 v[8:11], v[8:9], off
	s_waitcnt vmcnt(0)
	ds_write2_b64 v7, v[8:9], v[10:11] offset1:1
.LBB122_27:
	s_or_b32 exec_lo, exec_lo, s4
	v_add_co_u32 v4, vcc_lo, v4, v15
	v_add_co_ci_u32_e64 v5, null, 0, v5, vcc_lo
	v_sub_co_u32 v4, vcc_lo, v4, s2
	v_subrev_co_ci_u32_e64 v5, null, s3, v5, vcc_lo
	s_mov_b32 s3, 0
	v_add_co_u32 v4, vcc_lo, v4, 16
	v_add_co_ci_u32_e64 v5, null, 0, v5, vcc_lo
	v_cndmask_b32_e64 v7, v4, v2, s1
	v_cndmask_b32_e64 v8, v5, v3, s1
.LBB122_28:
	s_and_b32 vcc_lo, exec_lo, s3
	s_cbranch_vccz .LBB122_30
; %bb.29:
	s_lshl_b64 s[2:3], s[16:17], 7
	v_add_co_u32 v4, vcc_lo, v2, s2
	v_add_co_ci_u32_e64 v5, null, s3, v3, vcc_lo
	v_add_co_u32 v7, vcc_lo, v4, s2
	v_add_co_ci_u32_e64 v8, null, s3, v5, vcc_lo
	;; [unrolled: 2-line block ×3, first 2 shown]
	s_clause 0x3
	global_load_dwordx4 v[9:12], v[2:3], off
	global_load_dwordx4 v[16:19], v[4:5], off
	;; [unrolled: 1-line block ×4, first 2 shown]
	v_mul_u32_u24_e32 v4, 0x210, v13
	v_mov_b32_e32 v8, v3
	v_mov_b32_e32 v7, v2
	v_lshl_add_u32 v4, v6, 4, v4
	v_add_nc_u32_e32 v5, 0x1080, v4
	v_add_nc_u32_e32 v28, 0x2100, v4
	;; [unrolled: 1-line block ×3, first 2 shown]
	s_waitcnt vmcnt(3)
	ds_write2_b64 v4, v[9:10], v[11:12] offset1:1
	s_waitcnt vmcnt(2)
	ds_write2_b64 v5, v[16:17], v[18:19] offset1:1
	s_waitcnt vmcnt(1)
	ds_write2_b64 v28, v[20:21], v[22:23] offset1:1
	s_waitcnt vmcnt(0)
	ds_write2_b64 v29, v[24:25], v[26:27] offset1:1
.LBB122_30:
	v_lshlrev_b32_e32 v11, 2, v13
	v_lshl_or_b32 v2, v6, 9, v14
	v_mad_u32_u24 v16, 0x840, v13, v14
	s_waitcnt lgkmcnt(0)
	s_barrier
	v_cmp_gt_u32_e64 s2, v11, v6
	v_lshl_add_u32 v3, v11, 4, v2
	buffer_gl0_inv
	s_and_saveexec_b32 s1, s2
	s_cbranch_execz .LBB122_32
; %bb.31:
	ds_read_b128 v[17:20], v16
	s_waitcnt lgkmcnt(0)
	ds_write_b128 v3, v[17:20]
.LBB122_32:
	s_or_b32 exec_lo, exec_lo, s1
	v_or_b32_e32 v2, 1, v11
	v_cmp_ge_u32_e64 s3, v11, v6
	v_mad_u32_u24 v17, 0x210, v2, v14
	s_and_saveexec_b32 s1, s3
	s_cbranch_execz .LBB122_34
; %bb.33:
	ds_read_b128 v[18:21], v17
	s_waitcnt lgkmcnt(0)
	ds_write_b128 v3, v[18:21] offset:16
.LBB122_34:
	s_or_b32 exec_lo, exec_lo, s1
	v_or_b32_e32 v2, 2, v11
	v_cmp_gt_u32_e64 s4, v2, v6
	s_and_saveexec_b32 s1, s4
	s_cbranch_execz .LBB122_36
; %bb.35:
	v_mad_u32_u24 v2, 0x210, v2, v14
	ds_read_b128 v[18:21], v2
	s_waitcnt lgkmcnt(0)
	ds_write_b128 v3, v[18:21] offset:32
.LBB122_36:
	s_or_b32 exec_lo, exec_lo, s1
	v_or_b32_e32 v4, 3, v11
	s_mov_b32 s1, exec_lo
	v_cmp_gt_u32_e64 s5, v4, v6
	v_mul_u32_u24_e32 v2, 0x210, v4
	v_cmpx_le_u32_e64 v4, v6
	s_xor_b32 s1, exec_lo, s1
; %bb.37:
	v_mul_u32_u24_e32 v2, 0x210, v4
                                        ; implicit-def: $vgpr4
                                        ; implicit-def: $vgpr3
; %bb.38:
	s_andn2_saveexec_b32 s1, s1
	s_cbranch_execz .LBB122_40
; %bb.39:
	v_mad_u32_u24 v4, 0x210, v4, v14
	ds_read_b128 v[18:21], v4
	s_waitcnt lgkmcnt(0)
	ds_write_b128 v3, v[18:21] offset:48
.LBB122_40:
	s_or_b32 exec_lo, exec_lo, s1
	v_lshlrev_b32_e32 v12, 4, v11
	s_waitcnt lgkmcnt(0)
	s_barrier
	buffer_gl0_inv
	ds_read_b128 v[18:21], v16
	ds_read_b128 v[22:25], v12 offset:18176
	v_add_nc_u32_e32 v47, v14, v2
	ds_read_b128 v[2:5], v17 offset:528
	ds_read_b128 v[26:29], v12 offset:18192
	ds_read_b128 v[30:33], v17
	ds_read_b128 v[34:37], v47
	ds_read_b128 v[48:51], v12 offset:18208
	v_cmp_gt_u32_e64 s1, 32, v44
	s_waitcnt lgkmcnt(5)
	v_mul_f64 v[9:10], v[24:25], v[20:21]
	v_mul_f64 v[20:21], v[22:23], v[20:21]
	s_waitcnt lgkmcnt(2)
	v_mul_f64 v[42:43], v[28:29], v[32:33]
	v_mul_f64 v[32:33], v[26:27], v[32:33]
	v_fma_f64 v[9:10], v[22:23], v[18:19], -v[9:10]
	v_fma_f64 v[22:23], v[24:25], v[18:19], v[20:21]
	ds_read_b128 v[18:21], v12 offset:18224
	s_waitcnt lgkmcnt(1)
	v_mul_f64 v[24:25], v[50:51], v[4:5]
	v_mul_f64 v[4:5], v[48:49], v[4:5]
	v_fma_f64 v[26:27], v[26:27], v[30:31], -v[42:43]
	v_fma_f64 v[28:29], v[28:29], v[30:31], v[32:33]
	s_waitcnt lgkmcnt(0)
	s_barrier
	buffer_gl0_inv
	v_mul_f64 v[30:31], v[20:21], v[36:37]
	v_add_f64 v[9:10], v[9:10], 0
	v_add_f64 v[22:23], v[22:23], 0
	v_mul_f64 v[32:33], v[18:19], v[36:37]
	v_fma_f64 v[24:25], v[48:49], v[2:3], -v[24:25]
	v_fma_f64 v[2:3], v[50:51], v[2:3], v[4:5]
	v_fma_f64 v[18:19], v[18:19], v[34:35], -v[30:31]
	v_add_f64 v[4:5], v[9:10], v[26:27]
	v_add_f64 v[9:10], v[22:23], v[28:29]
	v_fma_f64 v[20:21], v[20:21], v[34:35], v[32:33]
	v_add_f64 v[4:5], v[4:5], v[24:25]
	v_add_f64 v[2:3], v[9:10], v[2:3]
	;; [unrolled: 1-line block ×4, first 2 shown]
	v_mul_u32_u24_e32 v2, 33, v6
	v_mov_b32_e32 v4, 0
	v_mov_b32_e32 v5, 0
	v_lshlrev_b32_e32 v45, 4, v2
	v_mov_b32_e32 v2, 0
	v_mov_b32_e32 v3, 0
	v_lshl_add_u32 v46, v13, 4, v45
	ds_write_b128 v46, v[18:21]
	s_waitcnt lgkmcnt(0)
	s_barrier
	buffer_gl0_inv
	s_and_saveexec_b32 s8, s1
	s_cbranch_execz .LBB122_42
; %bb.41:
	ds_read_b128 v[2:5], v45
	ds_read_b128 v[18:21], v45 offset:16
	s_waitcnt lgkmcnt(0)
	v_add_f64 v[9:10], v[18:19], v[2:3]
	v_add_f64 v[22:23], v[20:21], v[4:5]
	ds_read_b128 v[2:5], v45 offset:32
	ds_read_b128 v[18:21], v45 offset:48
	s_waitcnt lgkmcnt(1)
	v_add_f64 v[2:3], v[9:10], v[2:3]
	v_add_f64 v[4:5], v[22:23], v[4:5]
	s_waitcnt lgkmcnt(0)
	v_add_f64 v[9:10], v[2:3], v[18:19]
	v_add_f64 v[22:23], v[4:5], v[20:21]
	ds_read_b128 v[2:5], v45 offset:64
	ds_read_b128 v[18:21], v45 offset:80
	s_waitcnt lgkmcnt(1)
	v_add_f64 v[2:3], v[9:10], v[2:3]
	v_add_f64 v[4:5], v[22:23], v[4:5]
	s_waitcnt lgkmcnt(0)
	v_add_f64 v[9:10], v[2:3], v[18:19]
	v_add_f64 v[22:23], v[4:5], v[20:21]
	ds_read_b128 v[2:5], v45 offset:96
	ds_read_b128 v[18:21], v45 offset:112
	s_waitcnt lgkmcnt(1)
	v_add_f64 v[2:3], v[9:10], v[2:3]
	v_add_f64 v[4:5], v[22:23], v[4:5]
	s_waitcnt lgkmcnt(0)
	v_add_f64 v[2:3], v[2:3], v[18:19]
	v_add_f64 v[4:5], v[4:5], v[20:21]
.LBB122_42:
	s_or_b32 exec_lo, exec_lo, s8
	s_lshl_b64 s[12:13], s[16:17], 9
	v_mad_u32_u24 v18, 0x210, v13, v14
	v_add_co_u32 v19, vcc_lo, v7, s12
	v_add_co_ci_u32_e64 v20, null, s13, v8, vcc_lo
	v_add_co_u32 v9, vcc_lo, 0x200, v19
	v_add_co_ci_u32_e64 v10, null, 0, v20, vcc_lo
	s_and_b32 vcc_lo, exec_lo, s15
	s_barrier
	buffer_gl0_inv
	s_cbranch_vccz .LBB122_60
; %bb.43:
	v_sub_co_u32 v7, vcc_lo, v19, v15
	s_ashr_i32 s11, s10, 31
	v_subrev_co_ci_u32_e64 v8, null, 0, v20, vcc_lo
	s_lshl_b64 s[12:13], s[10:11], 4
	v_or_b32_e32 v21, 32, v6
	v_add_co_u32 v7, vcc_lo, v7, s12
	v_add_co_ci_u32_e64 v8, null, s13, v8, vcc_lo
	s_sub_i32 s11, s10, 32
	v_add_co_u32 v7, vcc_lo, v7, -16
	v_add_co_ci_u32_e64 v8, null, -1, v8, vcc_lo
	v_cmp_gt_i32_e32 vcc_lo, s10, v21
	v_cmp_le_i32_e64 s8, s11, v13
	v_cndmask_b32_e32 v8, v8, v10, vcc_lo
	v_cndmask_b32_e32 v7, v7, v9, vcc_lo
	s_and_saveexec_b32 s18, s8
	s_xor_b32 s8, exec_lo, s18
	s_cbranch_execz .LBB122_45
; %bb.44:
	v_mov_b32_e32 v21, 0
	v_mov_b32_e32 v22, v21
	;; [unrolled: 1-line block ×4, first 2 shown]
	ds_write_b128 v18, v[21:24]
.LBB122_45:
	s_andn2_saveexec_b32 s8, s8
	s_cbranch_execz .LBB122_47
; %bb.46:
	global_load_dwordx4 v[21:24], v[7:8], off
	s_waitcnt vmcnt(0)
	ds_write2_b64 v18, v[21:22], v[23:24] offset1:1
.LBB122_47:
	s_or_b32 exec_lo, exec_lo, s8
	v_add_nc_u32_e32 v21, 8, v13
	v_cmp_le_i32_e64 s8, s11, v21
	v_mad_u32_u24 v21, 0x210, v21, v14
	s_and_saveexec_b32 s18, s8
	s_xor_b32 s8, exec_lo, s18
	s_cbranch_execz .LBB122_49
; %bb.48:
	v_mov_b32_e32 v22, 0
	v_mov_b32_e32 v23, v22
	;; [unrolled: 1-line block ×4, first 2 shown]
	ds_write_b128 v21, v[22:25]
                                        ; implicit-def: $vgpr21
.LBB122_49:
	s_andn2_saveexec_b32 s18, s8
	s_cbranch_execz .LBB122_51
; %bb.50:
	s_lshl_b64 s[28:29], s[16:17], 7
	v_add_co_u32 v22, s8, v7, s28
	v_add_co_ci_u32_e64 v23, null, s29, v8, s8
	global_load_dwordx4 v[22:25], v[22:23], off
	s_waitcnt vmcnt(0)
	ds_write2_b64 v21, v[22:23], v[24:25] offset1:1
.LBB122_51:
	s_or_b32 exec_lo, exec_lo, s18
	v_add_nc_u32_e32 v21, 16, v13
	v_cmp_le_i32_e64 s8, s11, v21
	v_mad_u32_u24 v21, 0x210, v21, v14
	s_and_saveexec_b32 s18, s8
	s_xor_b32 s8, exec_lo, s18
	s_cbranch_execz .LBB122_53
; %bb.52:
	v_mov_b32_e32 v22, 0
	v_mov_b32_e32 v23, v22
	v_mov_b32_e32 v24, v22
	v_mov_b32_e32 v25, v22
	ds_write_b128 v21, v[22:25]
                                        ; implicit-def: $vgpr21
.LBB122_53:
	s_andn2_saveexec_b32 s18, s8
	s_cbranch_execz .LBB122_55
; %bb.54:
	s_lshl_b64 s[28:29], s[16:17], 8
	v_add_co_u32 v22, s8, v7, s28
	v_add_co_ci_u32_e64 v23, null, s29, v8, s8
	global_load_dwordx4 v[22:25], v[22:23], off
	s_waitcnt vmcnt(0)
	ds_write2_b64 v21, v[22:23], v[24:25] offset1:1
.LBB122_55:
	s_or_b32 exec_lo, exec_lo, s18
	v_add_nc_u32_e32 v21, 24, v13
	v_cmp_le_i32_e64 s8, s11, v21
	v_mad_u32_u24 v21, 0x210, v21, v14
	s_and_saveexec_b32 s11, s8
	s_xor_b32 s8, exec_lo, s11
	s_cbranch_execz .LBB122_57
; %bb.56:
	v_mov_b32_e32 v22, 0
	v_mov_b32_e32 v23, v22
	;; [unrolled: 1-line block ×4, first 2 shown]
	ds_write_b128 v21, v[22:25]
                                        ; implicit-def: $vgpr21
.LBB122_57:
	s_andn2_saveexec_b32 s8, s8
	s_cbranch_execz .LBB122_59
; %bb.58:
	v_mad_u64_u32 v[22:23], null, 0x180, s16, v[7:8]
	v_mad_u64_u32 v[23:24], null, 0x180, s17, v[23:24]
	global_load_dwordx4 v[22:25], v[22:23], off
	s_waitcnt vmcnt(0)
	ds_write2_b64 v21, v[22:23], v[24:25] offset1:1
.LBB122_59:
	s_or_b32 exec_lo, exec_lo, s8
	v_add_co_u32 v7, s8, v7, v15
	v_add_co_ci_u32_e64 v8, null, 0, v8, s8
	v_sub_co_u32 v7, s8, v7, s12
	v_subrev_co_ci_u32_e64 v8, null, s13, v8, s8
	v_add_co_u32 v7, s8, 0x210, v7
	v_add_co_ci_u32_e64 v8, null, 0, v8, s8
	v_cndmask_b32_e32 v7, v7, v9, vcc_lo
	v_cndmask_b32_e32 v8, v8, v10, vcc_lo
	s_branch .LBB122_62
.LBB122_60:
                                        ; implicit-def: $vgpr7_vgpr8
	s_cbranch_execz .LBB122_62
; %bb.61:
	s_lshl_b64 s[12:13], s[16:17], 7
	v_add_nc_u32_e32 v35, 0x1080, v18
	v_add_co_u32 v7, vcc_lo, v19, s12
	v_add_co_ci_u32_e64 v8, null, s13, v20, vcc_lo
	v_add_nc_u32_e32 v36, 0x2100, v18
	v_add_co_u32 v27, vcc_lo, v7, s12
	v_add_co_ci_u32_e64 v28, null, s13, v8, vcc_lo
	;; [unrolled: 3-line block ×3, first 2 shown]
	s_clause 0x3
	global_load_dwordx4 v[19:22], v[9:10], off
	global_load_dwordx4 v[23:26], v[7:8], off offset:512
	global_load_dwordx4 v[27:30], v[27:28], off offset:512
	;; [unrolled: 1-line block ×3, first 2 shown]
	v_mov_b32_e32 v7, v9
	v_mov_b32_e32 v8, v10
	s_waitcnt vmcnt(3)
	ds_write2_b64 v18, v[19:20], v[21:22] offset1:1
	s_waitcnt vmcnt(2)
	ds_write2_b64 v35, v[23:24], v[25:26] offset1:1
	;; [unrolled: 2-line block ×4, first 2 shown]
.LBB122_62:
	v_lshl_add_u32 v9, v11, 4, v45
	s_waitcnt lgkmcnt(0)
	s_barrier
	buffer_gl0_inv
	s_and_saveexec_b32 s8, s2
	s_cbranch_execnz .LBB122_87
; %bb.63:
	s_or_b32 exec_lo, exec_lo, s8
	s_and_saveexec_b32 s2, s3
	s_cbranch_execnz .LBB122_88
.LBB122_64:
	s_or_b32 exec_lo, exec_lo, s2
	v_add_nc_u32_e32 v19, 0x210, v17
	s_and_saveexec_b32 s2, s4
	s_cbranch_execnz .LBB122_89
.LBB122_65:
	s_or_b32 exec_lo, exec_lo, s2
	v_add_nc_u32_e32 v20, 0x4700, v12
	s_and_saveexec_b32 s2, s5
	s_cbranch_execz .LBB122_67
.LBB122_66:
	ds_read_b128 v[21:24], v47
	s_waitcnt lgkmcnt(0)
	ds_write_b128 v9, v[21:24] offset:48
.LBB122_67:
	s_or_b32 exec_lo, exec_lo, s2
	s_waitcnt lgkmcnt(0)
	s_barrier
	buffer_gl0_inv
	ds_read_b128 v[9:12], v16
	ds_read_b128 v[21:24], v20 offset:512
	ds_read_b128 v[25:28], v20 offset:528
	ds_read_b128 v[29:32], v17
	ds_read_b128 v[33:36], v20 offset:544
	ds_read_b128 v[48:51], v19
	v_cmp_eq_u32_e64 s2, 1, v13
	s_waitcnt lgkmcnt(4)
	v_mul_f64 v[42:43], v[23:24], v[11:12]
	v_mul_f64 v[11:12], v[21:22], v[11:12]
	s_waitcnt lgkmcnt(2)
	v_mul_f64 v[52:53], v[27:28], v[31:32]
	v_mul_f64 v[31:32], v[25:26], v[31:32]
	;; [unrolled: 3-line block ×3, first 2 shown]
	v_fma_f64 v[42:43], v[21:22], v[9:10], -v[42:43]
	v_fma_f64 v[54:55], v[23:24], v[9:10], v[11:12]
	v_fma_f64 v[25:26], v[25:26], v[29:30], -v[52:53]
	v_fma_f64 v[27:28], v[27:28], v[29:30], v[31:32]
	ds_read_b128 v[9:12], v20 offset:560
	ds_read_b128 v[21:24], v47
	v_fma_f64 v[33:34], v[33:34], v[48:49], -v[56:57]
	v_fma_f64 v[35:36], v[35:36], v[48:49], v[50:51]
	s_waitcnt lgkmcnt(0)
	s_barrier
	buffer_gl0_inv
	v_add_f64 v[29:30], v[42:43], 0
	v_add_f64 v[31:32], v[54:55], 0
	v_mul_f64 v[42:43], v[11:12], v[23:24]
	v_mul_f64 v[23:24], v[9:10], v[23:24]
	v_add_f64 v[25:26], v[29:30], v[25:26]
	v_add_f64 v[27:28], v[31:32], v[27:28]
	v_fma_f64 v[9:10], v[9:10], v[21:22], -v[42:43]
	v_fma_f64 v[11:12], v[11:12], v[21:22], v[23:24]
	v_add_f64 v[21:22], v[25:26], v[33:34]
	v_add_f64 v[23:24], v[27:28], v[35:36]
	;; [unrolled: 1-line block ×4, first 2 shown]
	ds_write_b128 v46, v[9:12]
	s_waitcnt lgkmcnt(0)
	s_barrier
	buffer_gl0_inv
	s_and_saveexec_b32 s3, s2
	s_cbranch_execz .LBB122_69
; %bb.68:
	ds_read_b128 v[2:5], v45
	ds_read_b128 v[9:12], v45 offset:16
	s_waitcnt lgkmcnt(0)
	v_add_f64 v[21:22], v[9:10], v[2:3]
	v_add_f64 v[23:24], v[11:12], v[4:5]
	ds_read_b128 v[2:5], v45 offset:32
	ds_read_b128 v[9:12], v45 offset:48
	s_waitcnt lgkmcnt(1)
	v_add_f64 v[2:3], v[21:22], v[2:3]
	v_add_f64 v[4:5], v[23:24], v[4:5]
	s_waitcnt lgkmcnt(0)
	v_add_f64 v[21:22], v[2:3], v[9:10]
	v_add_f64 v[23:24], v[4:5], v[11:12]
	ds_read_b128 v[2:5], v45 offset:64
	ds_read_b128 v[9:12], v45 offset:80
	s_waitcnt lgkmcnt(1)
	v_add_f64 v[2:3], v[21:22], v[2:3]
	v_add_f64 v[4:5], v[23:24], v[4:5]
	;; [unrolled: 8-line block ×3, first 2 shown]
	s_waitcnt lgkmcnt(0)
	v_add_f64 v[2:3], v[2:3], v[9:10]
	v_add_f64 v[4:5], v[4:5], v[11:12]
.LBB122_69:
	s_or_b32 exec_lo, exec_lo, s3
	v_add_co_u32 v9, vcc_lo, 0xfffffe00, v7
	v_add_co_ci_u32_e64 v10, null, -1, v8, vcc_lo
	s_and_b32 vcc_lo, exec_lo, s15
	s_barrier
	buffer_gl0_inv
	s_cbranch_vccz .LBB122_90
; %bb.70:
	v_sub_co_u32 v11, vcc_lo, v7, v15
	s_ashr_i32 s11, s10, 31
	v_subrev_co_ci_u32_e64 v12, null, 0, v8, vcc_lo
	s_lshl_b64 s[4:5], s[10:11], 4
	s_sub_i32 s8, s10, 32
	v_add_co_u32 v11, vcc_lo, v11, s4
	v_add_co_ci_u32_e64 v12, null, s5, v12, vcc_lo
	v_cmp_le_i32_e64 s3, s8, v13
	v_add_co_u32 v11, vcc_lo, 0xfffffdf0, v11
	v_add_co_ci_u32_e64 v12, null, -1, v12, vcc_lo
	v_cmp_gt_i32_e32 vcc_lo, s10, v6
	v_cndmask_b32_e32 v12, v12, v10, vcc_lo
	v_cndmask_b32_e32 v11, v11, v9, vcc_lo
	s_and_saveexec_b32 s11, s3
	s_xor_b32 s3, exec_lo, s11
	s_cbranch_execz .LBB122_72
; %bb.71:
	v_mov_b32_e32 v21, 0
	v_mov_b32_e32 v22, v21
	;; [unrolled: 1-line block ×4, first 2 shown]
	ds_write_b128 v18, v[21:24]
.LBB122_72:
	s_andn2_saveexec_b32 s3, s3
	s_cbranch_execz .LBB122_74
; %bb.73:
	global_load_dwordx4 v[21:24], v[11:12], off
	s_waitcnt vmcnt(0)
	ds_write2_b64 v18, v[21:22], v[23:24] offset1:1
.LBB122_74:
	s_or_b32 exec_lo, exec_lo, s3
	v_add_nc_u32_e32 v6, 8, v13
	v_cmp_le_i32_e64 s3, s8, v6
	v_mad_u32_u24 v21, 0x210, v6, v14
	s_and_saveexec_b32 s11, s3
	s_xor_b32 s3, exec_lo, s11
	s_cbranch_execz .LBB122_76
; %bb.75:
	v_mov_b32_e32 v22, 0
	v_mov_b32_e32 v23, v22
	;; [unrolled: 1-line block ×4, first 2 shown]
	ds_write_b128 v21, v[22:25]
                                        ; implicit-def: $vgpr21
.LBB122_76:
	s_andn2_saveexec_b32 s11, s3
	s_cbranch_execz .LBB122_78
; %bb.77:
	s_lshl_b64 s[12:13], s[16:17], 7
	v_add_co_u32 v22, s3, v11, s12
	v_add_co_ci_u32_e64 v23, null, s13, v12, s3
	global_load_dwordx4 v[22:25], v[22:23], off
	s_waitcnt vmcnt(0)
	ds_write2_b64 v21, v[22:23], v[24:25] offset1:1
.LBB122_78:
	s_or_b32 exec_lo, exec_lo, s11
	v_add_nc_u32_e32 v22, 16, v13
	v_cmp_le_i32_e64 s3, s8, v22
	v_mad_u32_u24 v21, 0x210, v22, v14
	s_and_saveexec_b32 s11, s3
	s_xor_b32 s3, exec_lo, s11
	s_cbranch_execz .LBB122_80
; %bb.79:
	v_mov_b32_e32 v23, 0
	v_mov_b32_e32 v24, v23
	;; [unrolled: 1-line block ×4, first 2 shown]
	ds_write_b128 v21, v[23:26]
                                        ; implicit-def: $vgpr21
.LBB122_80:
	s_andn2_saveexec_b32 s11, s3
	s_cbranch_execz .LBB122_82
; %bb.81:
	s_lshl_b64 s[12:13], s[16:17], 8
	v_add_co_u32 v23, s3, v11, s12
	v_add_co_ci_u32_e64 v24, null, s13, v12, s3
	global_load_dwordx4 v[23:26], v[23:24], off
	s_waitcnt vmcnt(0)
	ds_write2_b64 v21, v[23:24], v[25:26] offset1:1
.LBB122_82:
	s_or_b32 exec_lo, exec_lo, s11
	v_add_nc_u32_e32 v21, 24, v13
	v_cmp_le_i32_e64 s3, s8, v21
	v_mad_u32_u24 v23, 0x210, v21, v14
	s_and_saveexec_b32 s8, s3
	s_xor_b32 s3, exec_lo, s8
	s_cbranch_execz .LBB122_84
; %bb.83:
	v_mov_b32_e32 v24, 0
	v_mov_b32_e32 v25, v24
	;; [unrolled: 1-line block ×4, first 2 shown]
	ds_write_b128 v23, v[24:27]
                                        ; implicit-def: $vgpr23
.LBB122_84:
	s_andn2_saveexec_b32 s3, s3
	s_cbranch_execz .LBB122_86
; %bb.85:
	v_mad_u64_u32 v[24:25], null, 0x180, s16, v[11:12]
	v_mad_u64_u32 v[25:26], null, 0x180, s17, v[25:26]
	global_load_dwordx4 v[24:27], v[24:25], off
	s_waitcnt vmcnt(0)
	ds_write2_b64 v23, v[24:25], v[26:27] offset1:1
.LBB122_86:
	s_or_b32 exec_lo, exec_lo, s3
	v_add_co_u32 v11, s3, v11, v15
	v_add_co_ci_u32_e64 v12, null, 0, v12, s3
	v_sub_co_u32 v11, s3, v11, s4
	v_subrev_co_ci_u32_e64 v12, null, s5, v12, s3
	v_add_co_u32 v11, s3, v11, 16
	v_add_co_ci_u32_e64 v12, null, 0, v12, s3
	v_cndmask_b32_e32 v42, v11, v9, vcc_lo
	v_cndmask_b32_e32 v43, v12, v10, vcc_lo
	s_branch .LBB122_92
.LBB122_87:
	ds_read_b128 v[19:22], v16
	s_waitcnt lgkmcnt(0)
	ds_write_b128 v9, v[19:22]
	s_or_b32 exec_lo, exec_lo, s8
	s_and_saveexec_b32 s2, s3
	s_cbranch_execz .LBB122_64
.LBB122_88:
	ds_read_b128 v[19:22], v17
	s_waitcnt lgkmcnt(0)
	ds_write_b128 v9, v[19:22] offset:16
	s_or_b32 exec_lo, exec_lo, s2
	v_add_nc_u32_e32 v19, 0x210, v17
	s_and_saveexec_b32 s2, s4
	s_cbranch_execz .LBB122_65
.LBB122_89:
	ds_read_b128 v[20:23], v19
	s_waitcnt lgkmcnt(0)
	ds_write_b128 v9, v[20:23] offset:32
	s_or_b32 exec_lo, exec_lo, s2
	v_add_nc_u32_e32 v20, 0x4700, v12
	s_and_saveexec_b32 s2, s5
	s_cbranch_execnz .LBB122_66
	s_branch .LBB122_67
.LBB122_90:
                                        ; implicit-def: $vgpr42_vgpr43
                                        ; implicit-def: $vgpr6
                                        ; implicit-def: $vgpr22
                                        ; implicit-def: $vgpr21
	s_cbranch_execz .LBB122_92
; %bb.91:
	s_lshl_b64 s[4:5], s[16:17], 7
	v_mov_b32_e32 v43, v10
	v_add_co_u32 v6, vcc_lo, v7, s4
	v_add_co_ci_u32_e64 v7, null, s5, v8, vcc_lo
	v_mov_b32_e32 v42, v9
	v_add_co_u32 v11, vcc_lo, v6, s4
	v_add_co_ci_u32_e64 v12, null, s5, v7, vcc_lo
	v_add_co_u32 v21, vcc_lo, v11, s4
	v_add_co_ci_u32_e64 v22, null, s5, v12, vcc_lo
	s_clause 0x3
	global_load_dwordx4 v[23:26], v[9:10], off
	global_load_dwordx4 v[27:30], v[6:7], off offset:-512
	global_load_dwordx4 v[31:34], v[11:12], off offset:-512
	global_load_dwordx4 v[48:51], v[21:22], off offset:-512
	v_add_nc_u32_e32 v6, 8, v13
	v_add_nc_u32_e32 v22, 16, v13
	;; [unrolled: 1-line block ×3, first 2 shown]
	v_mad_u32_u24 v7, 0x210, v6, v14
	v_add_nc_u32_e32 v8, 0x1080, v7
	v_add_nc_u32_e32 v11, 0x2100, v7
	s_waitcnt vmcnt(3)
	ds_write2_b64 v18, v[23:24], v[25:26] offset1:1
	s_waitcnt vmcnt(2)
	ds_write2_b64 v7, v[27:28], v[29:30] offset1:1
	s_waitcnt vmcnt(1)
	ds_write2_b64 v8, v[31:32], v[33:34] offset1:1
	s_waitcnt vmcnt(0)
	ds_write2_b64 v11, v[48:49], v[50:51] offset1:1
.LBB122_92:
	v_lshlrev_b32_e32 v11, 4, v13
	s_waitcnt lgkmcnt(0)
	s_barrier
	buffer_gl0_inv
	v_lshlrev_b32_e32 v6, 4, v6
	v_add_nc_u32_e32 v7, v45, v11
	ds_read_b128 v[7:10], v7
	ds_read_b128 v[11:14], v11 offset:18176
	v_add_nc_u32_e32 v15, v45, v6
	ds_read_b128 v[23:26], v15
	ds_read_b128 v[27:30], v6 offset:18176
	v_lshlrev_b32_e32 v6, 4, v22
	v_add_nc_u32_e32 v15, v45, v6
	ds_read_b128 v[31:34], v15
	ds_read_b128 v[48:51], v6 offset:18176
	s_waitcnt lgkmcnt(4)
	v_mul_f64 v[35:36], v[9:10], v[13:14]
	v_mul_f64 v[13:14], v[7:8], v[13:14]
	s_waitcnt lgkmcnt(2)
	v_mul_f64 v[52:53], v[25:26], v[29:30]
	v_mul_f64 v[29:30], v[23:24], v[29:30]
	v_fma_f64 v[35:36], v[7:8], v[11:12], -v[35:36]
	v_fma_f64 v[14:15], v[9:10], v[11:12], v[13:14]
	v_lshlrev_b32_e32 v10, 4, v21
	s_waitcnt lgkmcnt(0)
	v_mul_f64 v[21:22], v[33:34], v[50:51]
	v_mul_f64 v[50:51], v[31:32], v[50:51]
	v_fma_f64 v[23:24], v[23:24], v[27:28], -v[52:53]
	v_add_nc_u32_e32 v6, v45, v10
	v_fma_f64 v[25:26], v[25:26], v[27:28], v[29:30]
	ds_read_b128 v[6:9], v6
	ds_read_b128 v[10:13], v10 offset:18176
	v_add_f64 v[27:28], v[35:36], 0
	v_add_f64 v[14:15], v[14:15], 0
	v_fma_f64 v[21:22], v[31:32], v[48:49], -v[21:22]
	v_fma_f64 v[31:32], v[33:34], v[48:49], v[50:51]
	s_waitcnt lgkmcnt(0)
	v_mul_f64 v[29:30], v[8:9], v[12:13]
	v_mul_f64 v[12:13], v[6:7], v[12:13]
	v_add_f64 v[23:24], v[27:28], v[23:24]
	v_add_f64 v[14:15], v[14:15], v[25:26]
	v_fma_f64 v[6:7], v[6:7], v[10:11], -v[29:30]
	v_fma_f64 v[8:9], v[8:9], v[10:11], v[12:13]
	v_add_f64 v[10:11], v[23:24], v[21:22]
	v_add_f64 v[12:13], v[14:15], v[31:32]
	ds_read_b128 v[30:33], v20 offset:512
	ds_read_b128 v[22:25], v20 offset:528
	v_add_f64 v[48:49], v[10:11], v[6:7]
	v_add_f64 v[50:51], v[12:13], v[8:9]
	ds_read_b128 v[10:13], v20 offset:544
	ds_read_b128 v[6:9], v20 offset:560
	ds_read_b128 v[34:37], v16
	ds_read_b128 v[26:29], v17
	ds_read_b128 v[18:21], v19
	ds_read_b128 v[14:17], v47
	s_waitcnt lgkmcnt(0)
	s_barrier
	buffer_gl0_inv
	ds_write_b128 v46, v[48:51]
	s_waitcnt lgkmcnt(0)
	s_barrier
	buffer_gl0_inv
	s_and_saveexec_b32 s3, s2
	s_cbranch_execz .LBB122_94
; %bb.93:
	ds_read_b128 v[47:50], v45
	ds_read_b128 v[51:54], v45 offset:16
	s_waitcnt lgkmcnt(1)
	v_add_f64 v[2:3], v[2:3], v[47:48]
	v_add_f64 v[4:5], v[4:5], v[49:50]
	s_waitcnt lgkmcnt(0)
	v_add_f64 v[51:52], v[2:3], v[51:52]
	v_add_f64 v[53:54], v[4:5], v[53:54]
	ds_read_b128 v[2:5], v45 offset:32
	ds_read_b128 v[47:50], v45 offset:48
	s_waitcnt lgkmcnt(1)
	v_add_f64 v[2:3], v[51:52], v[2:3]
	v_add_f64 v[4:5], v[53:54], v[4:5]
	s_waitcnt lgkmcnt(0)
	v_add_f64 v[51:52], v[2:3], v[47:48]
	v_add_f64 v[53:54], v[4:5], v[49:50]
	ds_read_b128 v[2:5], v45 offset:64
	;; [unrolled: 8-line block ×3, first 2 shown]
	ds_read_b128 v[47:50], v45 offset:112
	s_waitcnt lgkmcnt(1)
	v_add_f64 v[2:3], v[51:52], v[2:3]
	v_add_f64 v[4:5], v[53:54], v[4:5]
	s_waitcnt lgkmcnt(0)
	v_add_f64 v[2:3], v[2:3], v[47:48]
	v_add_f64 v[4:5], v[4:5], v[49:50]
.LBB122_94:
	s_or_b32 exec_lo, exec_lo, s3
	v_mul_f64 v[47:48], v[32:33], v[36:37]
	v_mul_f64 v[36:37], v[30:31], v[36:37]
	;; [unrolled: 1-line block ×4, first 2 shown]
	s_barrier
	buffer_gl0_inv
	v_fma_f64 v[30:31], v[30:31], v[34:35], -v[47:48]
	v_fma_f64 v[32:33], v[32:33], v[34:35], v[36:37]
	v_mul_f64 v[34:35], v[12:13], v[20:21]
	v_mul_f64 v[20:21], v[10:11], v[20:21]
	v_fma_f64 v[22:23], v[22:23], v[26:27], -v[49:50]
	v_fma_f64 v[24:25], v[24:25], v[26:27], v[28:29]
	v_add_f64 v[26:27], v[30:31], 0
	v_add_f64 v[28:29], v[32:33], 0
	v_mul_f64 v[30:31], v[8:9], v[16:17]
	v_mul_f64 v[16:17], v[6:7], v[16:17]
	v_fma_f64 v[10:11], v[10:11], v[18:19], -v[34:35]
	v_fma_f64 v[12:13], v[12:13], v[18:19], v[20:21]
	v_add_f64 v[18:19], v[26:27], v[22:23]
	v_add_f64 v[20:21], v[28:29], v[24:25]
	v_fma_f64 v[6:7], v[6:7], v[14:15], -v[30:31]
	v_fma_f64 v[8:9], v[8:9], v[14:15], v[16:17]
	v_add_f64 v[10:11], v[18:19], v[10:11]
	v_add_f64 v[12:13], v[20:21], v[12:13]
	;; [unrolled: 1-line block ×4, first 2 shown]
	ds_write_b128 v46, v[6:9]
	s_waitcnt lgkmcnt(0)
	s_barrier
	buffer_gl0_inv
	s_and_saveexec_b32 s2, s1
	s_cbranch_execz .LBB122_96
; %bb.95:
	ds_read_b128 v[6:9], v45
	ds_read_b128 v[10:13], v45 offset:16
	s_waitcnt lgkmcnt(1)
	v_add_f64 v[2:3], v[2:3], v[6:7]
	v_add_f64 v[4:5], v[4:5], v[8:9]
	s_waitcnt lgkmcnt(0)
	v_add_f64 v[10:11], v[2:3], v[10:11]
	v_add_f64 v[12:13], v[4:5], v[12:13]
	ds_read_b128 v[2:5], v45 offset:32
	ds_read_b128 v[6:9], v45 offset:48
	s_waitcnt lgkmcnt(1)
	v_add_f64 v[2:3], v[10:11], v[2:3]
	v_add_f64 v[4:5], v[12:13], v[4:5]
	s_waitcnt lgkmcnt(0)
	v_add_f64 v[10:11], v[2:3], v[6:7]
	v_add_f64 v[12:13], v[4:5], v[8:9]
	ds_read_b128 v[2:5], v45 offset:64
	;; [unrolled: 8-line block ×3, first 2 shown]
	ds_read_b128 v[6:9], v45 offset:112
	s_waitcnt lgkmcnt(1)
	v_add_f64 v[2:3], v[10:11], v[2:3]
	v_add_f64 v[4:5], v[12:13], v[4:5]
	s_waitcnt lgkmcnt(0)
	v_add_f64 v[2:3], v[2:3], v[6:7]
	v_add_f64 v[4:5], v[4:5], v[8:9]
.LBB122_96:
	s_or_b32 exec_lo, exec_lo, s2
	s_mul_hi_u32 s1, s23, s7
	s_mul_i32 s26, s26, s7
	s_mul_i32 s2, s23, s7
	s_add_i32 s1, s1, s26
	s_mul_hi_u32 s3, s2, s9
	s_mul_i32 s1, s1, s9
	s_mul_i32 s2, s2, s9
	s_add_i32 s3, s3, s1
	s_mul_hi_i32 s5, s23, s6
	s_lshl_b64 s[2:3], s[2:3], 4
	s_mul_i32 s4, s23, s6
	s_add_u32 s1, s34, s2
	s_addc_u32 s2, s35, s3
	s_lshl_b64 s[4:5], s[4:5], 4
	v_lshlrev_b32_e32 v169, 4, v0
	s_add_u32 s3, s1, s4
	s_addc_u32 s7, s2, s5
	s_add_i32 s1, s6, 1
	s_cmp_ge_u32 s1, s9
	s_barrier
	buffer_gl0_inv
	s_cbranch_scc1 .LBB122_154
; %bb.97:
	v_and_b32_e32 v8, 48, v0
	v_lshlrev_b32_e32 v15, 6, v1
	v_lshrrev_b32_e32 v6, 4, v44
	v_and_b32_e32 v7, 15, v0
	v_or_b32_e32 v10, 0xf0, v169
	v_lshlrev_b32_e32 v8, 4, v8
	v_add_nc_u32_e32 v11, 0x530, v15
	v_lshlrev_b32_e32 v9, 6, v6
	v_mul_i32_i24_e32 v16, 0xffffffd0, v6
	v_mad_u32_u24 v179, 0x430, v7, v10
	v_mad_u32_u24 v178, 0x430, v7, v8
	v_add_nc_u32_e32 v8, 0x200, v15
	v_mad_u32_u24 v177, 0x430, v7, v9
	s_mul_i32 s1, s24, s21
	s_mul_hi_u32 s2, s24, s20
	s_mul_i32 s4, s25, s20
	v_mad_u64_u32 v[6:7], null, s16, v8, 0
	s_add_i32 s1, s2, s1
	v_add_nc_u32_e32 v13, 0x220, v15
	s_add_i32 s5, s1, s4
	s_mul_i32 s4, s24, s20
	v_add_nc_u32_e32 v18, 0x210, v15
	s_lshl_b64 s[4:5], s[4:5], 4
	v_mad_u64_u32 v[7:8], null, s17, v8, v[7:8]
	v_mad_u64_u32 v[8:9], null, s16, v11, 0
	v_sub_co_u32 v171, vcc_lo, v40, s4
	v_subrev_co_ci_u32_e64 v172, null, s5, v41, vcc_lo
	v_sub_co_u32 v6, vcc_lo, v6, v38
	v_sub_co_ci_u32_e64 v14, null, v7, v39, vcc_lo
	v_mov_b32_e32 v7, v9
	v_mad_u64_u32 v[9:10], null, s16, v13, 0
	v_or_b32_e32 v17, 8, v6
	v_add_nc_u32_e32 v174, 0x4300, v15
	v_mad_u64_u32 v[11:12], null, s17, v11, v[7:8]
	v_lshlrev_b32_e32 v170, 2, v1
	v_add_co_u32 v195, vcc_lo, v42, v17
	v_add_co_ci_u32_e64 v196, null, v43, v14, vcc_lo
	v_mov_b32_e32 v7, v10
	v_add_nc_u32_e32 v14, 0x520, v15
	v_sub_co_u32 v12, vcc_lo, v8, v38
	v_sub_co_ci_u32_e64 v17, null, v11, v39, vcc_lo
	v_mad_u64_u32 v[7:8], null, s17, v13, v[7:8]
	v_mad_u64_u32 v[10:11], null, s16, v14, 0
	v_add_co_u32 v197, vcc_lo, v42, v12
	v_mad_u64_u32 v[12:13], null, s16, v18, 0
	v_add_co_ci_u32_e64 v198, null, v43, v17, vcc_lo
	v_sub_co_u32 v8, vcc_lo, v9, v38
	v_sub_co_ci_u32_e64 v9, null, v7, v39, vcc_lo
	v_mov_b32_e32 v7, v11
	v_add_co_u32 v199, vcc_lo, v42, v8
	v_mov_b32_e32 v8, v13
	v_add_nc_u32_e32 v11, 0x510, v15
	v_add_co_ci_u32_e64 v200, null, v43, v9, vcc_lo
	v_add_nc_u32_e32 v17, 0x230, v15
	v_mad_u64_u32 v[13:14], null, s17, v14, v[7:8]
	v_mad_u64_u32 v[7:8], null, s17, v18, v[8:9]
	;; [unrolled: 1-line block ×3, first 2 shown]
	v_sub_co_u32 v12, vcc_lo, v12, v38
	v_sub_co_u32 v14, s2, v10, v38
	v_sub_co_ci_u32_e64 v18, null, v7, v39, vcc_lo
	v_mov_b32_e32 v7, v9
	v_mad_u64_u32 v[9:10], null, s16, v17, 0
	v_sub_co_ci_u32_e64 v13, null, v13, v39, s2
	v_or_b32_e32 v19, 8, v12
	v_mad_u64_u32 v[11:12], null, s17, v11, v[7:8]
	v_add_co_u32 v201, vcc_lo, v42, v14
	v_mov_b32_e32 v7, v10
	v_add_co_ci_u32_e64 v202, null, v43, v13, vcc_lo
	v_add_co_u32 v203, vcc_lo, v42, v19
	v_add_co_ci_u32_e64 v204, null, v43, v18, vcc_lo
	v_sub_co_u32 v12, vcc_lo, v8, v38
	v_add_nc_u32_e32 v14, 0x500, v15
	v_mad_u64_u32 v[7:8], null, s17, v17, v[7:8]
	v_add_nc_u32_e32 v17, 0x300, v15
	v_sub_co_ci_u32_e64 v13, null, v11, v39, vcc_lo
	v_mad_u64_u32 v[10:11], null, s16, v14, 0
	v_sub_co_u32 v18, vcc_lo, v9, v38
	v_mad_u64_u32 v[8:9], null, s16, v17, 0
	v_add_co_u32 v205, s2, v42, v12
	v_or_b32_e32 v18, 8, v18
	v_add_co_ci_u32_e64 v206, null, v43, v13, s2
	v_sub_co_ci_u32_e64 v13, null, v7, v39, vcc_lo
	v_mad_u64_u32 v[11:12], null, s17, v14, v[11:12]
	v_mov_b32_e32 v7, v9
	v_add_co_u32 v207, vcc_lo, v42, v18
	v_add_co_ci_u32_e64 v208, null, v43, v13, vcc_lo
	v_mad_u64_u32 v[12:13], null, s17, v17, v[7:8]
	v_sub_co_u32 v13, vcc_lo, v10, v38
	v_sub_co_ci_u32_e64 v11, null, v11, v39, vcc_lo
	v_add_nc_u32_e32 v14, 0x430, v15
	v_sub_co_u32 v9, vcc_lo, v8, v38
	v_add_nc_u32_e32 v17, 0x310, v15
	v_sub_co_ci_u32_e64 v12, null, v12, v39, vcc_lo
	v_mad_u64_u32 v[7:8], null, s16, v14, 0
	v_or_b32_e32 v18, 8, v9
	v_mad_u64_u32 v[9:10], null, s16, v17, 0
	v_add_co_u32 v209, vcc_lo, v42, v13
	v_add_co_ci_u32_e64 v210, null, v43, v11, vcc_lo
	v_add_co_u32 v211, vcc_lo, v42, v18
	v_add_co_ci_u32_e64 v212, null, v43, v12, vcc_lo
	v_mad_u64_u32 v[11:12], null, s17, v14, v[8:9]
	v_add_nc_u32_e32 v14, 0x420, v15
	v_add_nc_u32_e32 v173, 0x4300, v169
	;; [unrolled: 1-line block ×3, first 2 shown]
	v_mad_u32_u24 v176, 0x10c0, v1, v169
	v_cmp_gt_u32_e64 s1, 64, v44
	v_or_b32_e32 v180, 1, v170
	v_mad_u64_u32 v[12:13], null, s17, v17, v[10:11]
	v_sub_co_u32 v10, vcc_lo, v9, v38
	v_mad_u64_u32 v[8:9], null, s16, v14, 0
	v_add_nc_u32_e32 v17, 0x320, v15
	v_sub_co_u32 v13, s2, v7, v38
	v_sub_co_ci_u32_e64 v11, null, v11, v39, s2
	v_or_b32_e32 v19, 8, v10
	v_mov_b32_e32 v7, v9
	v_mad_u64_u32 v[9:10], null, s16, v17, 0
	v_sub_co_ci_u32_e64 v18, null, v12, v39, vcc_lo
	v_add_co_u32 v213, vcc_lo, v42, v13
	v_add_co_ci_u32_e64 v214, null, v43, v11, vcc_lo
	v_mad_u64_u32 v[11:12], null, s17, v14, v[7:8]
	v_mov_b32_e32 v7, v10
	v_add_nc_u32_e32 v12, 0x410, v15
	v_add_co_u32 v215, vcc_lo, v42, v19
	v_add_co_ci_u32_e64 v216, null, v43, v18, vcc_lo
	v_sub_co_u32 v13, vcc_lo, v8, v38
	v_sub_co_ci_u32_e64 v14, null, v11, v39, vcc_lo
	v_mad_u64_u32 v[7:8], null, s17, v17, v[7:8]
	v_mad_u64_u32 v[10:11], null, s16, v12, 0
	v_sub_co_u32 v8, vcc_lo, v9, v38
	v_add_co_u32 v217, s2, v42, v13
	v_sub_co_ci_u32_e64 v13, null, v7, v39, vcc_lo
	v_mov_b32_e32 v7, v11
	v_add_nc_u32_e32 v17, 0x330, v15
	v_add_nc_u32_e32 v15, 0x400, v15
	v_add_co_ci_u32_e64 v218, null, v43, v14, s2
	v_or_b32_e32 v14, 8, v8
	v_mad_u64_u32 v[7:8], null, s17, v12, v[7:8]
	v_mad_u64_u32 v[8:9], null, s16, v17, 0
	;; [unrolled: 1-line block ×3, first 2 shown]
	v_add_co_u32 v219, vcc_lo, v42, v14
	v_add_co_ci_u32_e64 v220, null, v43, v13, vcc_lo
	v_sub_co_u32 v10, vcc_lo, v10, v38
	v_sub_co_ci_u32_e64 v13, null, v7, v39, vcc_lo
	v_mov_b32_e32 v7, v9
	v_mov_b32_e32 v9, v12
	v_add_co_u32 v221, vcc_lo, v42, v10
	v_add_co_ci_u32_e64 v222, null, v43, v13, vcc_lo
	v_mad_u64_u32 v[12:13], null, s17, v17, v[7:8]
	v_sub_co_u32 v7, vcc_lo, v8, v38
	v_mad_u64_u32 v[9:10], null, s17, v15, v[9:10]
	v_sub_co_u32 v8, s2, v11, v38
	v_or_b32_e32 v7, 8, v7
	v_sub_co_ci_u32_e64 v10, null, v12, v39, vcc_lo
	v_or_b32_e32 v8, 8, v8
	v_sub_co_ci_u32_e64 v9, null, v9, v39, s2
	v_add_co_u32 v223, vcc_lo, v42, v7
	v_add_co_ci_u32_e64 v224, null, v43, v10, vcc_lo
	v_add_co_u32 v225, vcc_lo, v42, v8
	v_or_b32_e32 v181, 2, v170
	v_or_b32_e32 v182, 3, v170
	v_add_nc_u32_e32 v183, 16, v170
	v_add_nc_u32_e32 v184, 17, v170
	;; [unrolled: 1-line block ×12, first 2 shown]
	v_mov_b32_e32 v6, 0
	v_add_co_ci_u32_e64 v226, null, v43, v9, vcc_lo
	v_add_nc_u32_e32 v227, v177, v16
	s_add_i32 s8, s9, -2
	s_add_i32 s11, s20, 64
	s_lshl_b64 s[4:5], s[16:17], 10
	s_cmp_eq_u32 s8, s6
	s_cselect_b32 s12, s22, 0
	s_and_saveexec_b32 s2, s0
	s_cbranch_execz .LBB122_102
.LBB122_98:
	v_cmp_le_i32_e32 vcc_lo, s12, v0
	s_cmp_lg_u32 s12, 0
	s_cselect_b32 s13, -1, 0
	s_and_b32 s13, s13, vcc_lo
	s_and_saveexec_b32 s15, s13
	s_xor_b32 s13, exec_lo, s15
	s_cbranch_execz .LBB122_100
; %bb.99:
	v_mov_b32_e32 v7, v6
	v_mov_b32_e32 v8, v6
	;; [unrolled: 1-line block ×3, first 2 shown]
	ds_write_b128 v173, v[6:9]
.LBB122_100:
	s_andn2_saveexec_b32 s13, s13
	s_cbranch_execz .LBB122_102
; %bb.101:
	s_ashr_i32 s13, s11, 31
	s_mul_hi_u32 s15, s24, s11
	s_mul_i32 s13, s24, s13
	s_mul_i32 s17, s25, s11
	s_add_i32 s13, s15, s13
	s_mul_i32 s16, s24, s11
	s_add_i32 s17, s13, s17
	s_lshl_b64 s[16:17], s[16:17], 4
	v_add_co_u32 v7, vcc_lo, v171, s16
	v_add_co_ci_u32_e64 v8, null, s17, v172, vcc_lo
	global_load_dwordx4 v[7:10], v[7:8], off
	s_waitcnt vmcnt(0)
	ds_write2_b64 v173, v[7:8], v[9:10] offset1:1
.LBB122_102:                            ; =>This Inner Loop Header: Depth=1
	s_or_b32 exec_lo, exec_lo, s2
	s_cmp_eq_u32 s12, 0
	v_add_co_u32 v19, vcc_lo, v195, v169
	s_cselect_b32 s13, -1, 0
	s_cmp_lg_u32 s12, 0
	v_add_co_ci_u32_e64 v20, null, 0, v196, vcc_lo
	s_cselect_b32 s2, -1, 0
	s_waitcnt lgkmcnt(0)
	s_and_b32 vcc_lo, exec_lo, s2
	s_barrier
	buffer_gl0_inv
	s_cbranch_vccz .LBB122_110
; %bb.103:                              ;   in Loop: Header=BB122_102 Depth=1
	v_mov_b32_e32 v7, 0
	v_mov_b32_e32 v11, 0
	;; [unrolled: 1-line block ×6, first 2 shown]
	s_mov_b32 s15, exec_lo
	v_cmpx_gt_i32_e64 s12, v170
	s_cbranch_execz .LBB122_105
; %bb.104:                              ;   in Loop: Header=BB122_102 Depth=1
	global_load_dwordx4 v[11:14], v[19:20], off offset:-8
.LBB122_105:                            ;   in Loop: Header=BB122_102 Depth=1
	s_or_b32 exec_lo, exec_lo, s15
	v_mov_b32_e32 v9, 0
	v_mov_b32_e32 v10, 0
	s_mov_b32 s15, exec_lo
	v_cmpx_gt_i32_e64 s12, v180
	s_cbranch_execz .LBB122_107
; %bb.106:                              ;   in Loop: Header=BB122_102 Depth=1
	v_add_co_u32 v7, vcc_lo, v203, v169
	v_add_co_ci_u32_e64 v8, null, 0, v204, vcc_lo
	global_load_dwordx4 v[7:10], v[7:8], off offset:-8
.LBB122_107:                            ;   in Loop: Header=BB122_102 Depth=1
	s_or_b32 exec_lo, exec_lo, s15
	v_mov_b32_e32 v15, 0
	v_mov_b32_e32 v17, 0
	;; [unrolled: 1-line block ×4, first 2 shown]
	s_mov_b32 s15, exec_lo
	v_cmpx_gt_i32_e64 s12, v181
	s_cbranch_execz .LBB122_109
; %bb.108:                              ;   in Loop: Header=BB122_102 Depth=1
	v_add_co_u32 v15, vcc_lo, v199, v169
	v_add_co_ci_u32_e64 v16, null, 0, v200, vcc_lo
	global_load_dwordx4 v[15:18], v[15:16], off
.LBB122_109:                            ;   in Loop: Header=BB122_102 Depth=1
	s_or_b32 exec_lo, exec_lo, s15
	v_cmp_gt_i32_e64 s15, s12, v182
	s_branch .LBB122_112
.LBB122_110:                            ;   in Loop: Header=BB122_102 Depth=1
	s_mov_b32 s15, 0
                                        ; implicit-def: $vgpr17_vgpr18
                                        ; implicit-def: $vgpr9_vgpr10
                                        ; implicit-def: $vgpr13_vgpr14
	s_cbranch_execz .LBB122_112
; %bb.111:                              ;   in Loop: Header=BB122_102 Depth=1
	s_waitcnt vmcnt(0)
	v_add_co_u32 v7, vcc_lo, v203, v169
	v_add_co_ci_u32_e64 v8, null, 0, v204, vcc_lo
	v_add_co_u32 v15, vcc_lo, v199, v169
	v_add_co_ci_u32_e64 v16, null, 0, v200, vcc_lo
	global_load_dwordx4 v[11:14], v[19:20], off offset:-8
	global_load_dwordx4 v[7:10], v[7:8], off offset:-8
	global_load_dwordx4 v[15:18], v[15:16], off
	s_or_b32 s15, s15, exec_lo
.LBB122_112:                            ;   in Loop: Header=BB122_102 Depth=1
	v_mov_b32_e32 v19, 0
	v_mov_b32_e32 v21, 0
	;; [unrolled: 1-line block ×4, first 2 shown]
	s_and_saveexec_b32 s16, s15
	s_cbranch_execz .LBB122_114
; %bb.113:                              ;   in Loop: Header=BB122_102 Depth=1
	v_add_co_u32 v19, vcc_lo, v207, v169
	v_add_co_ci_u32_e64 v20, null, 0, v208, vcc_lo
	global_load_dwordx4 v[19:22], v[19:20], off offset:-8
.LBB122_114:                            ;   in Loop: Header=BB122_102 Depth=1
	s_or_b32 exec_lo, exec_lo, s16
	ds_read_b128 v[23:26], v175
	v_cndmask_b32_e64 v119, 0, 1, s2
	s_waitcnt vmcnt(0) lgkmcnt(0)
	v_mul_f64 v[27:28], v[13:14], v[25:26]
	v_mul_f64 v[29:30], v[11:12], v[25:26]
	;; [unrolled: 1-line block ×8, first 2 shown]
	v_fma_f64 v[39:40], v[11:12], v[23:24], -v[27:28]
	v_fma_f64 v[41:42], v[13:14], v[23:24], v[29:30]
	v_fma_f64 v[43:44], v[7:8], v[23:24], -v[31:32]
	v_fma_f64 v[45:46], v[9:10], v[23:24], v[33:34]
	;; [unrolled: 2-line block ×4, first 2 shown]
	ds_read_b128 v[35:38], v174
	ds_read_b128 v[31:34], v174 offset:16
	ds_read_b128 v[27:30], v174 offset:32
	;; [unrolled: 1-line block ×3, first 2 shown]
	ds_write_b128 v176, v[39:42]
	ds_write_b128 v176, v[43:46] offset:1072
	ds_write_b128 v176, v[47:50] offset:2144
	;; [unrolled: 1-line block ×3, first 2 shown]
	s_waitcnt lgkmcnt(0)
	s_barrier
	buffer_gl0_inv
	ds_read_b128 v[99:102], v177
	ds_read_b128 v[95:98], v177 offset:16
	ds_read_b128 v[91:94], v177 offset:32
	;; [unrolled: 1-line block ×3, first 2 shown]
	v_add_co_u32 v51, vcc_lo, v211, v169
	v_add_co_ci_u32_e64 v52, null, 0, v212, vcc_lo
	s_andn2_b32 vcc_lo, exec_lo, s2
	s_waitcnt lgkmcnt(0)
	s_barrier
	buffer_gl0_inv
	s_cbranch_vccnz .LBB122_122
; %bb.115:                              ;   in Loop: Header=BB122_102 Depth=1
	v_mov_b32_e32 v39, 0
	v_mov_b32_e32 v43, 0
	;; [unrolled: 1-line block ×6, first 2 shown]
	s_mov_b32 s2, exec_lo
	v_cmpx_gt_i32_e64 s12, v183
	s_cbranch_execz .LBB122_117
; %bb.116:                              ;   in Loop: Header=BB122_102 Depth=1
	global_load_dwordx4 v[43:46], v[51:52], off offset:-8
.LBB122_117:                            ;   in Loop: Header=BB122_102 Depth=1
	s_or_b32 exec_lo, exec_lo, s2
	v_mov_b32_e32 v41, 0
	v_mov_b32_e32 v42, 0
	s_mov_b32 s2, exec_lo
	v_cmpx_gt_i32_e64 s12, v184
	s_cbranch_execz .LBB122_119
; %bb.118:                              ;   in Loop: Header=BB122_102 Depth=1
	v_add_co_u32 v39, vcc_lo, v215, v169
	v_add_co_ci_u32_e64 v40, null, 0, v216, vcc_lo
	global_load_dwordx4 v[39:42], v[39:40], off offset:-8
.LBB122_119:                            ;   in Loop: Header=BB122_102 Depth=1
	s_or_b32 exec_lo, exec_lo, s2
	v_mov_b32_e32 v47, 0
	v_mov_b32_e32 v49, 0
	;; [unrolled: 1-line block ×4, first 2 shown]
	s_mov_b32 s2, exec_lo
	v_cmpx_gt_i32_e64 s12, v185
	s_cbranch_execz .LBB122_121
; %bb.120:                              ;   in Loop: Header=BB122_102 Depth=1
	v_add_co_u32 v47, vcc_lo, v219, v169
	v_add_co_ci_u32_e64 v48, null, 0, v220, vcc_lo
	global_load_dwordx4 v[47:50], v[47:48], off offset:-8
.LBB122_121:                            ;   in Loop: Header=BB122_102 Depth=1
	s_or_b32 exec_lo, exec_lo, s2
	v_cmp_gt_i32_e64 s2, s12, v186
	s_branch .LBB122_124
.LBB122_122:                            ;   in Loop: Header=BB122_102 Depth=1
	s_mov_b32 s2, 0
                                        ; implicit-def: $vgpr49_vgpr50
                                        ; implicit-def: $vgpr41_vgpr42
                                        ; implicit-def: $vgpr45_vgpr46
	s_cbranch_execz .LBB122_124
; %bb.123:                              ;   in Loop: Header=BB122_102 Depth=1
	s_waitcnt vmcnt(0)
	v_add_co_u32 v39, vcc_lo, v215, v169
	v_add_co_ci_u32_e64 v40, null, 0, v216, vcc_lo
	v_add_co_u32 v47, vcc_lo, v219, v169
	v_add_co_ci_u32_e64 v48, null, 0, v220, vcc_lo
	global_load_dwordx4 v[43:46], v[51:52], off offset:-8
	global_load_dwordx4 v[39:42], v[39:40], off offset:-8
	;; [unrolled: 1-line block ×3, first 2 shown]
	s_or_b32 s2, s2, exec_lo
.LBB122_124:                            ;   in Loop: Header=BB122_102 Depth=1
	v_mov_b32_e32 v51, 0
	v_mov_b32_e32 v53, 0
	;; [unrolled: 1-line block ×4, first 2 shown]
	s_and_saveexec_b32 s15, s2
	s_cbranch_execz .LBB122_126
; %bb.125:                              ;   in Loop: Header=BB122_102 Depth=1
	v_add_co_u32 v51, vcc_lo, v223, v169
	v_add_co_ci_u32_e64 v52, null, 0, v224, vcc_lo
	global_load_dwordx4 v[51:54], v[51:52], off offset:-8
.LBB122_126:                            ;   in Loop: Header=BB122_102 Depth=1
	s_or_b32 exec_lo, exec_lo, s15
	ds_read_b128 v[55:58], v175
	v_cmp_ne_u32_e32 vcc_lo, 1, v119
	s_and_b32 vcc_lo, exec_lo, vcc_lo
	s_waitcnt vmcnt(0) lgkmcnt(0)
	v_mul_f64 v[59:60], v[45:46], v[57:58]
	v_mul_f64 v[61:62], v[43:44], v[57:58]
	;; [unrolled: 1-line block ×8, first 2 shown]
	v_fma_f64 v[71:72], v[43:44], v[55:56], -v[59:60]
	v_fma_f64 v[73:74], v[45:46], v[55:56], v[61:62]
	v_fma_f64 v[75:76], v[39:40], v[55:56], -v[63:64]
	v_fma_f64 v[77:78], v[41:42], v[55:56], v[65:66]
	v_fma_f64 v[79:80], v[47:48], v[55:56], -v[67:68]
	v_fma_f64 v[81:82], v[49:50], v[55:56], v[69:70]
	v_fma_f64 v[87:88], v[51:52], v[55:56], -v[87:88]
	v_fma_f64 v[89:90], v[53:54], v[55:56], v[57:58]
	ds_read_b128 v[67:70], v174 offset:256
	ds_read_b128 v[63:66], v174 offset:272
	;; [unrolled: 1-line block ×4, first 2 shown]
	ds_write_b128 v176, v[71:74]
	ds_write_b128 v176, v[75:78] offset:1072
	ds_write_b128 v176, v[79:82] offset:2144
	;; [unrolled: 1-line block ×3, first 2 shown]
	s_waitcnt lgkmcnt(0)
	s_barrier
	buffer_gl0_inv
	ds_read_b128 v[147:150], v177
	ds_read_b128 v[143:146], v177 offset:16
	ds_read_b128 v[139:142], v177 offset:32
	;; [unrolled: 1-line block ×3, first 2 shown]
	v_add_co_u32 v87, s2, v225, v169
	v_add_co_ci_u32_e64 v88, null, 0, v226, s2
	s_waitcnt lgkmcnt(0)
	s_barrier
	buffer_gl0_inv
	s_cbranch_vccnz .LBB122_134
; %bb.127:                              ;   in Loop: Header=BB122_102 Depth=1
	v_mov_b32_e32 v71, 0
	v_mov_b32_e32 v75, 0
	v_mov_b32_e32 v77, 0
	v_mov_b32_e32 v72, 0
	v_mov_b32_e32 v76, 0
	v_mov_b32_e32 v78, 0
	s_mov_b32 s2, exec_lo
	v_cmpx_gt_i32_e64 s12, v187
	s_cbranch_execz .LBB122_129
; %bb.128:                              ;   in Loop: Header=BB122_102 Depth=1
	global_load_dwordx4 v[75:78], v[87:88], off offset:-8
.LBB122_129:                            ;   in Loop: Header=BB122_102 Depth=1
	s_or_b32 exec_lo, exec_lo, s2
	v_mov_b32_e32 v73, 0
	v_mov_b32_e32 v74, 0
	s_mov_b32 s2, exec_lo
	v_cmpx_gt_i32_e64 s12, v188
	s_cbranch_execz .LBB122_131
; %bb.130:                              ;   in Loop: Header=BB122_102 Depth=1
	v_add_co_u32 v71, vcc_lo, v221, v169
	v_add_co_ci_u32_e64 v72, null, 0, v222, vcc_lo
	global_load_dwordx4 v[71:74], v[71:72], off
.LBB122_131:                            ;   in Loop: Header=BB122_102 Depth=1
	s_or_b32 exec_lo, exec_lo, s2
	v_mov_b32_e32 v79, 0
	v_mov_b32_e32 v81, 0
	;; [unrolled: 1-line block ×4, first 2 shown]
	s_mov_b32 s2, exec_lo
	v_cmpx_gt_i32_e64 s12, v189
	s_cbranch_execz .LBB122_133
; %bb.132:                              ;   in Loop: Header=BB122_102 Depth=1
	v_add_co_u32 v79, vcc_lo, v217, v169
	v_add_co_ci_u32_e64 v80, null, 0, v218, vcc_lo
	global_load_dwordx4 v[79:82], v[79:80], off
.LBB122_133:                            ;   in Loop: Header=BB122_102 Depth=1
	s_or_b32 exec_lo, exec_lo, s2
	v_cmp_gt_i32_e64 s2, s12, v190
	s_branch .LBB122_136
.LBB122_134:                            ;   in Loop: Header=BB122_102 Depth=1
	s_mov_b32 s2, 0
                                        ; implicit-def: $vgpr81_vgpr82
                                        ; implicit-def: $vgpr73_vgpr74
                                        ; implicit-def: $vgpr77_vgpr78
	s_cbranch_execz .LBB122_136
; %bb.135:                              ;   in Loop: Header=BB122_102 Depth=1
	s_waitcnt vmcnt(0)
	v_add_co_u32 v71, vcc_lo, v221, v169
	v_add_co_ci_u32_e64 v72, null, 0, v222, vcc_lo
	v_add_co_u32 v79, vcc_lo, v217, v169
	v_add_co_ci_u32_e64 v80, null, 0, v218, vcc_lo
	global_load_dwordx4 v[75:78], v[87:88], off offset:-8
	global_load_dwordx4 v[71:74], v[71:72], off
	global_load_dwordx4 v[79:82], v[79:80], off
	s_or_b32 s2, s2, exec_lo
.LBB122_136:                            ;   in Loop: Header=BB122_102 Depth=1
	v_mov_b32_e32 v87, 0
	v_mov_b32_e32 v89, 0
	;; [unrolled: 1-line block ×4, first 2 shown]
	s_and_saveexec_b32 s15, s2
	s_cbranch_execz .LBB122_138
; %bb.137:                              ;   in Loop: Header=BB122_102 Depth=1
	v_add_co_u32 v87, vcc_lo, v213, v169
	v_add_co_ci_u32_e64 v88, null, 0, v214, vcc_lo
	global_load_dwordx4 v[87:90], v[87:88], off
.LBB122_138:                            ;   in Loop: Header=BB122_102 Depth=1
	s_or_b32 exec_lo, exec_lo, s15
	ds_read_b128 v[103:106], v175
	v_cmp_ne_u32_e32 vcc_lo, 1, v119
	s_and_b32 vcc_lo, exec_lo, vcc_lo
	s_waitcnt vmcnt(0) lgkmcnt(0)
	v_mul_f64 v[107:108], v[77:78], v[105:106]
	v_mul_f64 v[109:110], v[75:76], v[105:106]
	;; [unrolled: 1-line block ×8, first 2 shown]
	v_fma_f64 v[120:121], v[75:76], v[103:104], -v[107:108]
	v_fma_f64 v[122:123], v[77:78], v[103:104], v[109:110]
	v_fma_f64 v[124:125], v[71:72], v[103:104], -v[111:112]
	v_fma_f64 v[126:127], v[73:74], v[103:104], v[113:114]
	;; [unrolled: 2-line block ×4, first 2 shown]
	ds_read_b128 v[115:118], v174 offset:512
	ds_read_b128 v[111:114], v174 offset:528
	;; [unrolled: 1-line block ×4, first 2 shown]
	ds_write_b128 v176, v[120:123]
	ds_write_b128 v176, v[124:127] offset:1072
	ds_write_b128 v176, v[128:131] offset:2144
	;; [unrolled: 1-line block ×3, first 2 shown]
	s_waitcnt lgkmcnt(0)
	s_barrier
	buffer_gl0_inv
	ds_read_b128 v[163:166], v177
	ds_read_b128 v[159:162], v177 offset:16
	ds_read_b128 v[155:158], v177 offset:32
	;; [unrolled: 1-line block ×3, first 2 shown]
	v_add_co_u32 v131, s2, v209, v169
	v_add_co_ci_u32_e64 v132, null, 0, v210, s2
	s_waitcnt lgkmcnt(0)
	s_barrier
	buffer_gl0_inv
	s_cbranch_vccnz .LBB122_146
; %bb.139:                              ;   in Loop: Header=BB122_102 Depth=1
	v_mov_b32_e32 v119, 0
	v_mov_b32_e32 v123, 0
	;; [unrolled: 1-line block ×6, first 2 shown]
	s_mov_b32 s2, exec_lo
	v_cmpx_gt_i32_e64 s12, v191
	s_cbranch_execz .LBB122_141
; %bb.140:                              ;   in Loop: Header=BB122_102 Depth=1
	global_load_dwordx4 v[123:126], v[131:132], off
.LBB122_141:                            ;   in Loop: Header=BB122_102 Depth=1
	s_or_b32 exec_lo, exec_lo, s2
	v_mov_b32_e32 v121, 0
	v_mov_b32_e32 v122, 0
	s_mov_b32 s2, exec_lo
	v_cmpx_gt_i32_e64 s12, v192
	s_cbranch_execz .LBB122_143
; %bb.142:                              ;   in Loop: Header=BB122_102 Depth=1
	v_add_co_u32 v119, vcc_lo, v205, v169
	v_add_co_ci_u32_e64 v120, null, 0, v206, vcc_lo
	global_load_dwordx4 v[119:122], v[119:120], off
.LBB122_143:                            ;   in Loop: Header=BB122_102 Depth=1
	s_or_b32 exec_lo, exec_lo, s2
	v_mov_b32_e32 v127, 0
	v_mov_b32_e32 v129, 0
	;; [unrolled: 1-line block ×4, first 2 shown]
	s_mov_b32 s2, exec_lo
	v_cmpx_gt_i32_e64 s12, v193
	s_cbranch_execz .LBB122_145
; %bb.144:                              ;   in Loop: Header=BB122_102 Depth=1
	v_add_co_u32 v127, vcc_lo, v201, v169
	v_add_co_ci_u32_e64 v128, null, 0, v202, vcc_lo
	global_load_dwordx4 v[127:130], v[127:128], off
.LBB122_145:                            ;   in Loop: Header=BB122_102 Depth=1
	s_or_b32 exec_lo, exec_lo, s2
	v_cmp_gt_i32_e64 s2, s12, v194
	s_branch .LBB122_148
.LBB122_146:                            ;   in Loop: Header=BB122_102 Depth=1
	s_mov_b32 s2, 0
                                        ; implicit-def: $vgpr129_vgpr130
                                        ; implicit-def: $vgpr121_vgpr122
                                        ; implicit-def: $vgpr125_vgpr126
	s_cbranch_execz .LBB122_148
; %bb.147:                              ;   in Loop: Header=BB122_102 Depth=1
	s_waitcnt vmcnt(0)
	v_add_co_u32 v119, vcc_lo, v205, v169
	v_add_co_ci_u32_e64 v120, null, 0, v206, vcc_lo
	v_add_co_u32 v127, vcc_lo, v201, v169
	v_add_co_ci_u32_e64 v128, null, 0, v202, vcc_lo
	global_load_dwordx4 v[123:126], v[131:132], off
	global_load_dwordx4 v[119:122], v[119:120], off
	;; [unrolled: 1-line block ×3, first 2 shown]
	s_or_b32 s2, s2, exec_lo
.LBB122_148:                            ;   in Loop: Header=BB122_102 Depth=1
	v_mov_b32_e32 v131, 0
	v_mov_b32_e32 v133, 0
	;; [unrolled: 1-line block ×4, first 2 shown]
	s_and_saveexec_b32 s15, s2
	s_cbranch_execz .LBB122_150
; %bb.149:                              ;   in Loop: Header=BB122_102 Depth=1
	v_add_co_u32 v131, vcc_lo, v197, v169
	v_add_co_ci_u32_e64 v132, null, 0, v198, vcc_lo
	global_load_dwordx4 v[131:134], v[131:132], off
.LBB122_150:                            ;   in Loop: Header=BB122_102 Depth=1
	s_or_b32 exec_lo, exec_lo, s15
	ds_read_b128 v[228:231], v175
	v_add_f64 v[163:164], v[163:164], 0
	v_add_f64 v[165:166], v[165:166], 0
	;; [unrolled: 1-line block ×6, first 2 shown]
	v_cmp_gt_i32_e32 vcc_lo, s12, v0
	s_or_b32 s2, s13, vcc_lo
	s_and_b32 s12, s1, s2
	s_waitcnt vmcnt(0) lgkmcnt(0)
	v_mul_f64 v[232:233], v[125:126], v[230:231]
	v_mul_f64 v[234:235], v[123:124], v[230:231]
	;; [unrolled: 1-line block ×8, first 2 shown]
	v_add_f64 v[159:160], v[163:164], v[159:160]
	v_add_f64 v[161:162], v[165:166], v[161:162]
	;; [unrolled: 1-line block ×6, first 2 shown]
	v_fma_f64 v[232:233], v[123:124], v[228:229], -v[232:233]
	v_fma_f64 v[234:235], v[125:126], v[228:229], v[234:235]
	v_fma_f64 v[236:237], v[119:120], v[228:229], -v[236:237]
	v_fma_f64 v[238:239], v[121:122], v[228:229], v[238:239]
	;; [unrolled: 2-line block ×4, first 2 shown]
	v_add_f64 v[147:148], v[159:160], v[155:156]
	v_add_f64 v[149:150], v[161:162], v[157:158]
	;; [unrolled: 1-line block ×6, first 2 shown]
	ds_write_b128 v176, v[232:235]
	ds_write_b128 v176, v[236:239] offset:1072
	ds_write_b128 v176, v[240:243] offset:2144
	ds_read_b128 v[139:142], v174 offset:768
	ds_read_b128 v[99:102], v174 offset:784
	ds_write_b128 v176, v[244:247] offset:3216
	v_add_f64 v[143:144], v[147:148], v[151:152]
	v_add_f64 v[145:146], v[149:150], v[153:154]
	ds_read_b128 v[95:98], v174 offset:800
	ds_read_b128 v[91:94], v174 offset:816
	s_waitcnt lgkmcnt(0)
	s_barrier
	buffer_gl0_inv
	ds_read_b128 v[147:150], v177
	ds_read_b128 v[151:154], v177 offset:16
	v_add_f64 v[135:136], v[155:156], v[135:136]
	v_add_f64 v[137:138], v[157:158], v[137:138]
	;; [unrolled: 1-line block ×4, first 2 shown]
	s_waitcnt lgkmcnt(1)
	v_add_f64 v[147:148], v[147:148], 0
	v_add_f64 v[149:150], v[149:150], 0
	s_waitcnt lgkmcnt(0)
	v_add_f64 v[155:156], v[147:148], v[151:152]
	v_add_f64 v[157:158], v[149:150], v[153:154]
	ds_read_b128 v[147:150], v177 offset:32
	ds_read_b128 v[151:154], v177 offset:48
	s_waitcnt lgkmcnt(0)
	s_barrier
	buffer_gl0_inv
	v_add_f64 v[147:148], v[155:156], v[147:148]
	v_add_f64 v[149:150], v[157:158], v[149:150]
	;; [unrolled: 1-line block ×4, first 2 shown]
	ds_write_b128 v227, v[83:86]
	ds_write_b128 v227, v[135:138] offset:256
	ds_write_b128 v227, v[143:146] offset:512
	;; [unrolled: 1-line block ×3, first 2 shown]
	s_waitcnt lgkmcnt(0)
	s_barrier
	buffer_gl0_inv
	s_and_saveexec_b32 s2, s12
	s_cbranch_execz .LBB122_152
; %bb.151:                              ;   in Loop: Header=BB122_102 Depth=1
	ds_read_b128 v[83:86], v178
	ds_read_b128 v[135:138], v178 offset:16
	s_waitcnt lgkmcnt(0)
	v_add_f64 v[143:144], v[135:136], v[83:84]
	v_add_f64 v[145:146], v[137:138], v[85:86]
	ds_read_b128 v[83:86], v178 offset:32
	ds_read_b128 v[135:138], v178 offset:48
	s_waitcnt lgkmcnt(1)
	v_add_f64 v[83:84], v[143:144], v[83:84]
	v_add_f64 v[85:86], v[145:146], v[85:86]
	s_waitcnt lgkmcnt(0)
	v_add_f64 v[143:144], v[83:84], v[135:136]
	v_add_f64 v[145:146], v[85:86], v[137:138]
	ds_read_b128 v[83:86], v178 offset:64
	ds_read_b128 v[135:138], v178 offset:80
	s_waitcnt lgkmcnt(1)
	v_add_f64 v[83:84], v[143:144], v[83:84]
	v_add_f64 v[85:86], v[145:146], v[85:86]
	;; [unrolled: 8-line block ×6, first 2 shown]
	s_waitcnt lgkmcnt(0)
	v_add_f64 v[143:144], v[83:84], v[135:136]
	v_add_f64 v[145:146], v[85:86], v[137:138]
	ds_read_b128 v[83:86], v178 offset:224
	ds_read_b128 v[135:138], v179
	s_waitcnt lgkmcnt(1)
	v_add_f64 v[83:84], v[143:144], v[83:84]
	v_add_f64 v[85:86], v[145:146], v[85:86]
	v_add_nc_u32_e32 v143, s11, v0
	v_ashrrev_i32_e32 v144, 31, v143
	s_waitcnt lgkmcnt(0)
	v_add_f64 v[83:84], v[83:84], v[135:136]
	v_add_f64 v[85:86], v[85:86], v[137:138]
	v_lshlrev_b64 v[135:136], 4, v[143:144]
	v_add_co_u32 v135, vcc_lo, s3, v135
	v_add_co_ci_u32_e64 v136, null, s7, v136, vcc_lo
	global_store_dwordx4 v[135:136], v[83:86], off
.LBB122_152:                            ;   in Loop: Header=BB122_102 Depth=1
	s_or_b32 exec_lo, exec_lo, s2
	v_mul_f64 v[83:84], v[13:14], v[37:38]
	v_mul_f64 v[37:38], v[11:12], v[37:38]
	;; [unrolled: 1-line block ×4, first 2 shown]
	v_add_co_u32 v195, vcc_lo, v195, s4
	v_add_co_ci_u32_e64 v196, null, s5, v196, vcc_lo
	v_add_co_u32 v197, vcc_lo, v197, s4
	v_add_co_ci_u32_e64 v198, null, s5, v198, vcc_lo
	;; [unrolled: 2-line block ×4, first 2 shown]
	v_add_co_u32 v203, vcc_lo, v203, s4
	v_fma_f64 v[11:12], v[11:12], v[35:36], -v[83:84]
	v_fma_f64 v[13:14], v[13:14], v[35:36], v[37:38]
	v_mul_f64 v[35:36], v[17:18], v[29:30]
	v_mul_f64 v[29:30], v[15:16], v[29:30]
	v_fma_f64 v[7:8], v[7:8], v[31:32], -v[85:86]
	v_fma_f64 v[9:10], v[9:10], v[31:32], v[33:34]
	v_add_co_ci_u32_e64 v204, null, s5, v204, vcc_lo
	v_add_co_u32 v205, vcc_lo, v205, s4
	v_add_co_ci_u32_e64 v206, null, s5, v206, vcc_lo
	v_add_co_u32 v207, vcc_lo, v207, s4
	;; [unrolled: 2-line block ×4, first 2 shown]
	v_add_f64 v[2:3], v[2:3], v[11:12]
	v_add_f64 v[4:5], v[4:5], v[13:14]
	v_mul_f64 v[11:12], v[21:22], v[25:26]
	v_mul_f64 v[13:14], v[19:20], v[25:26]
	v_fma_f64 v[15:16], v[15:16], v[27:28], -v[35:36]
	v_fma_f64 v[17:18], v[17:18], v[27:28], v[29:30]
	v_add_co_ci_u32_e64 v212, null, s5, v212, vcc_lo
	v_add_co_u32 v213, vcc_lo, v213, s4
	v_add_co_ci_u32_e64 v214, null, s5, v214, vcc_lo
	v_add_co_u32 v215, vcc_lo, v215, s4
	;; [unrolled: 2-line block ×4, first 2 shown]
	v_add_f64 v[2:3], v[2:3], v[7:8]
	v_add_f64 v[4:5], v[4:5], v[9:10]
	v_mul_f64 v[7:8], v[45:46], v[69:70]
	v_mul_f64 v[9:10], v[43:44], v[69:70]
	v_fma_f64 v[11:12], v[19:20], v[23:24], -v[11:12]
	v_fma_f64 v[13:14], v[21:22], v[23:24], v[13:14]
	v_add_co_ci_u32_e64 v220, null, s5, v220, vcc_lo
	v_add_co_u32 v221, vcc_lo, v221, s4
	v_add_co_ci_u32_e64 v222, null, s5, v222, vcc_lo
	v_add_co_u32 v223, vcc_lo, v223, s4
	;; [unrolled: 2-line block ×3, first 2 shown]
	v_add_co_ci_u32_e64 v226, null, s5, v226, vcc_lo
	s_add_i32 s2, s6, 1
	s_add_i32 s6, s6, 2
	v_add_f64 v[2:3], v[2:3], v[15:16]
	v_add_f64 v[4:5], v[4:5], v[17:18]
	v_mul_f64 v[15:16], v[41:42], v[65:66]
	v_mul_f64 v[17:18], v[39:40], v[65:66]
	v_fma_f64 v[7:8], v[43:44], v[67:68], -v[7:8]
	v_fma_f64 v[9:10], v[45:46], v[67:68], v[9:10]
	s_add_i32 s11, s11, 64
	s_cmp_ge_u32 s6, s9
	s_waitcnt_vscnt null, 0x0
	s_barrier
	buffer_gl0_inv
	v_add_f64 v[2:3], v[2:3], v[11:12]
	v_add_f64 v[4:5], v[4:5], v[13:14]
	v_mul_f64 v[11:12], v[49:50], v[61:62]
	v_mul_f64 v[13:14], v[47:48], v[61:62]
	v_fma_f64 v[15:16], v[39:40], v[63:64], -v[15:16]
	v_fma_f64 v[17:18], v[41:42], v[63:64], v[17:18]
	v_add_f64 v[2:3], v[2:3], v[7:8]
	v_add_f64 v[4:5], v[4:5], v[9:10]
	v_mul_f64 v[7:8], v[53:54], v[57:58]
	v_mul_f64 v[9:10], v[51:52], v[57:58]
	v_fma_f64 v[11:12], v[47:48], v[59:60], -v[11:12]
	v_fma_f64 v[13:14], v[49:50], v[59:60], v[13:14]
	;; [unrolled: 6-line block ×10, first 2 shown]
	v_add_f64 v[2:3], v[2:3], v[7:8]
	v_add_f64 v[4:5], v[4:5], v[9:10]
	v_fma_f64 v[7:8], v[131:132], v[91:92], -v[11:12]
	v_fma_f64 v[9:10], v[133:134], v[91:92], v[13:14]
	v_add_f64 v[2:3], v[2:3], v[15:16]
	v_add_f64 v[4:5], v[4:5], v[17:18]
	;; [unrolled: 1-line block ×4, first 2 shown]
	s_cbranch_scc1 .LBB122_154
; %bb.153:                              ;   in Loop: Header=BB122_102 Depth=1
	s_mov_b32 s6, s2
	s_cmp_eq_u32 s8, s6
	s_cselect_b32 s12, s22, 0
	s_and_saveexec_b32 s2, s0
	s_cbranch_execnz .LBB122_98
	s_branch .LBB122_102
.LBB122_154:
	v_cmp_gt_i32_e32 vcc_lo, s10, v0
	v_mad_u32_u24 v1, 0x430, v1, v169
	s_or_b32 s1, s14, vcc_lo
	ds_write_b128 v1, v[2:5]
	s_and_b32 s0, s0, s1
	s_waitcnt lgkmcnt(0)
	s_barrier
	buffer_gl0_inv
	s_and_saveexec_b32 s1, s0
	s_cbranch_execz .LBB122_156
; %bb.155:
	ds_read_b128 v[0:3], v169 offset:1072
	ds_read_b128 v[4:7], v169
	s_waitcnt lgkmcnt(0)
	v_add_f64 v[8:9], v[0:1], v[4:5]
	v_add_f64 v[10:11], v[2:3], v[6:7]
	ds_read_b128 v[0:3], v169 offset:2144
	ds_read_b128 v[4:7], v169 offset:3216
	s_waitcnt lgkmcnt(1)
	v_add_f64 v[0:1], v[8:9], v[0:1]
	v_add_f64 v[2:3], v[10:11], v[2:3]
	s_waitcnt lgkmcnt(0)
	v_add_f64 v[0:1], v[0:1], v[4:5]
	v_add_f64 v[2:3], v[2:3], v[6:7]
	v_lshlrev_b64 v[4:5], 4, v[167:168]
	v_add_co_u32 v4, vcc_lo, s3, v4
	v_add_co_ci_u32_e64 v5, null, s7, v5, vcc_lo
	global_store_dwordx4 v[4:5], v[0:3], off
.LBB122_156:
	s_endpgm
	.section	.rodata,"a",@progbits
	.p2align	6, 0x0
	.amdhsa_kernel _ZL26rocblas_hemvn_kernel_upperILb0ELi64ELi4ELi33ELi32ELi16ElPK19rocblas_complex_numIdES3_PS1_EviT6_lT7_lT5_lS6_lS7_lS5_lT8_i
		.amdhsa_group_segment_fixed_size 19200
		.amdhsa_private_segment_fixed_size 0
		.amdhsa_kernarg_size 376
		.amdhsa_user_sgpr_count 6
		.amdhsa_user_sgpr_private_segment_buffer 1
		.amdhsa_user_sgpr_dispatch_ptr 0
		.amdhsa_user_sgpr_queue_ptr 0
		.amdhsa_user_sgpr_kernarg_segment_ptr 1
		.amdhsa_user_sgpr_dispatch_id 0
		.amdhsa_user_sgpr_flat_scratch_init 0
		.amdhsa_user_sgpr_private_segment_size 0
		.amdhsa_wavefront_size32 1
		.amdhsa_uses_dynamic_stack 0
		.amdhsa_system_sgpr_private_segment_wavefront_offset 0
		.amdhsa_system_sgpr_workgroup_id_x 1
		.amdhsa_system_sgpr_workgroup_id_y 0
		.amdhsa_system_sgpr_workgroup_id_z 1
		.amdhsa_system_sgpr_workgroup_info 0
		.amdhsa_system_vgpr_workitem_id 1
		.amdhsa_next_free_vgpr 248
		.amdhsa_next_free_sgpr 36
		.amdhsa_reserve_vcc 1
		.amdhsa_reserve_flat_scratch 0
		.amdhsa_float_round_mode_32 0
		.amdhsa_float_round_mode_16_64 0
		.amdhsa_float_denorm_mode_32 3
		.amdhsa_float_denorm_mode_16_64 3
		.amdhsa_dx10_clamp 1
		.amdhsa_ieee_mode 1
		.amdhsa_fp16_overflow 0
		.amdhsa_workgroup_processor_mode 1
		.amdhsa_memory_ordered 1
		.amdhsa_forward_progress 1
		.amdhsa_shared_vgpr_count 0
		.amdhsa_exception_fp_ieee_invalid_op 0
		.amdhsa_exception_fp_denorm_src 0
		.amdhsa_exception_fp_ieee_div_zero 0
		.amdhsa_exception_fp_ieee_overflow 0
		.amdhsa_exception_fp_ieee_underflow 0
		.amdhsa_exception_fp_ieee_inexact 0
		.amdhsa_exception_int_div_zero 0
	.end_amdhsa_kernel
	.section	.text._ZL26rocblas_hemvn_kernel_upperILb0ELi64ELi4ELi33ELi32ELi16ElPK19rocblas_complex_numIdES3_PS1_EviT6_lT7_lT5_lS6_lS7_lS5_lT8_i,"axG",@progbits,_ZL26rocblas_hemvn_kernel_upperILb0ELi64ELi4ELi33ELi32ELi16ElPK19rocblas_complex_numIdES3_PS1_EviT6_lT7_lT5_lS6_lS7_lS5_lT8_i,comdat
.Lfunc_end122:
	.size	_ZL26rocblas_hemvn_kernel_upperILb0ELi64ELi4ELi33ELi32ELi16ElPK19rocblas_complex_numIdES3_PS1_EviT6_lT7_lT5_lS6_lS7_lS5_lT8_i, .Lfunc_end122-_ZL26rocblas_hemvn_kernel_upperILb0ELi64ELi4ELi33ELi32ELi16ElPK19rocblas_complex_numIdES3_PS1_EviT6_lT7_lT5_lS6_lS7_lS5_lT8_i
                                        ; -- End function
	.set _ZL26rocblas_hemvn_kernel_upperILb0ELi64ELi4ELi33ELi32ELi16ElPK19rocblas_complex_numIdES3_PS1_EviT6_lT7_lT5_lS6_lS7_lS5_lT8_i.num_vgpr, 248
	.set _ZL26rocblas_hemvn_kernel_upperILb0ELi64ELi4ELi33ELi32ELi16ElPK19rocblas_complex_numIdES3_PS1_EviT6_lT7_lT5_lS6_lS7_lS5_lT8_i.num_agpr, 0
	.set _ZL26rocblas_hemvn_kernel_upperILb0ELi64ELi4ELi33ELi32ELi16ElPK19rocblas_complex_numIdES3_PS1_EviT6_lT7_lT5_lS6_lS7_lS5_lT8_i.numbered_sgpr, 36
	.set _ZL26rocblas_hemvn_kernel_upperILb0ELi64ELi4ELi33ELi32ELi16ElPK19rocblas_complex_numIdES3_PS1_EviT6_lT7_lT5_lS6_lS7_lS5_lT8_i.num_named_barrier, 0
	.set _ZL26rocblas_hemvn_kernel_upperILb0ELi64ELi4ELi33ELi32ELi16ElPK19rocblas_complex_numIdES3_PS1_EviT6_lT7_lT5_lS6_lS7_lS5_lT8_i.private_seg_size, 0
	.set _ZL26rocblas_hemvn_kernel_upperILb0ELi64ELi4ELi33ELi32ELi16ElPK19rocblas_complex_numIdES3_PS1_EviT6_lT7_lT5_lS6_lS7_lS5_lT8_i.uses_vcc, 1
	.set _ZL26rocblas_hemvn_kernel_upperILb0ELi64ELi4ELi33ELi32ELi16ElPK19rocblas_complex_numIdES3_PS1_EviT6_lT7_lT5_lS6_lS7_lS5_lT8_i.uses_flat_scratch, 0
	.set _ZL26rocblas_hemvn_kernel_upperILb0ELi64ELi4ELi33ELi32ELi16ElPK19rocblas_complex_numIdES3_PS1_EviT6_lT7_lT5_lS6_lS7_lS5_lT8_i.has_dyn_sized_stack, 0
	.set _ZL26rocblas_hemvn_kernel_upperILb0ELi64ELi4ELi33ELi32ELi16ElPK19rocblas_complex_numIdES3_PS1_EviT6_lT7_lT5_lS6_lS7_lS5_lT8_i.has_recursion, 0
	.set _ZL26rocblas_hemvn_kernel_upperILb0ELi64ELi4ELi33ELi32ELi16ElPK19rocblas_complex_numIdES3_PS1_EviT6_lT7_lT5_lS6_lS7_lS5_lT8_i.has_indirect_call, 0
	.section	.AMDGPU.csdata,"",@progbits
; Kernel info:
; codeLenInByte = 11788
; TotalNumSgprs: 38
; NumVgprs: 248
; ScratchSize: 0
; MemoryBound: 1
; FloatMode: 240
; IeeeMode: 1
; LDSByteSize: 19200 bytes/workgroup (compile time only)
; SGPRBlocks: 0
; VGPRBlocks: 30
; NumSGPRsForWavesPerEU: 38
; NumVGPRsForWavesPerEU: 248
; Occupancy: 4
; WaveLimiterHint : 0
; COMPUTE_PGM_RSRC2:SCRATCH_EN: 0
; COMPUTE_PGM_RSRC2:USER_SGPR: 6
; COMPUTE_PGM_RSRC2:TRAP_HANDLER: 0
; COMPUTE_PGM_RSRC2:TGID_X_EN: 1
; COMPUTE_PGM_RSRC2:TGID_Y_EN: 0
; COMPUTE_PGM_RSRC2:TGID_Z_EN: 1
; COMPUTE_PGM_RSRC2:TIDIG_COMP_CNT: 1
	.section	.text._ZL26rocblas_hemvn_kernel_upperILb0ELi64ELi4ELi33ELi32ELi16EiPK19rocblas_complex_numIdES3_PS1_EviT6_lT7_lT5_lS6_lS7_lS5_lT8_i,"axG",@progbits,_ZL26rocblas_hemvn_kernel_upperILb0ELi64ELi4ELi33ELi32ELi16EiPK19rocblas_complex_numIdES3_PS1_EviT6_lT7_lT5_lS6_lS7_lS5_lT8_i,comdat
	.globl	_ZL26rocblas_hemvn_kernel_upperILb0ELi64ELi4ELi33ELi32ELi16EiPK19rocblas_complex_numIdES3_PS1_EviT6_lT7_lT5_lS6_lS7_lS5_lT8_i ; -- Begin function _ZL26rocblas_hemvn_kernel_upperILb0ELi64ELi4ELi33ELi32ELi16EiPK19rocblas_complex_numIdES3_PS1_EviT6_lT7_lT5_lS6_lS7_lS5_lT8_i
	.p2align	8
	.type	_ZL26rocblas_hemvn_kernel_upperILb0ELi64ELi4ELi33ELi32ELi16EiPK19rocblas_complex_numIdES3_PS1_EviT6_lT7_lT5_lS6_lS7_lS5_lT8_i,@function
_ZL26rocblas_hemvn_kernel_upperILb0ELi64ELi4ELi33ELi32ELi16EiPK19rocblas_complex_numIdES3_PS1_EviT6_lT7_lT5_lS6_lS7_lS5_lT8_i: ; @_ZL26rocblas_hemvn_kernel_upperILb0ELi64ELi4ELi33ELi32ELi16EiPK19rocblas_complex_numIdES3_PS1_EviT6_lT7_lT5_lS6_lS7_lS5_lT8_i
; %bb.0:
	s_load_dwordx2 s[2:3], s[4:5], 0x84
	s_add_u32 s0, s4, 0x78
	s_addc_u32 s1, s5, 0
	s_waitcnt lgkmcnt(0)
	s_lshr_b32 s8, s2, 16
	s_and_b32 s2, s2, 0xffff
	s_and_b32 s3, s3, 0xffff
	s_mul_i32 s2, s8, s2
	s_mul_i32 s2, s2, s3
	s_cmpk_lg_i32 s2, 0x100
	s_cbranch_scc1 .LBB123_156
; %bb.1:
	s_load_dwordx8 s[12:19], s[4:5], 0x8
	s_waitcnt lgkmcnt(0)
	s_mul_i32 s3, s15, s7
	s_mul_hi_u32 s8, s14, s7
	s_mul_i32 s2, s14, s7
	s_add_i32 s3, s8, s3
	s_lshl_b64 s[2:3], s[2:3], 4
	s_add_u32 s2, s12, s2
	s_addc_u32 s3, s13, s3
	s_load_dwordx4 s[8:11], s[2:3], 0x0
	s_waitcnt lgkmcnt(0)
	v_cmp_neq_f64_e64 s2, s[8:9], 0
	v_cmp_neq_f64_e64 s3, s[10:11], 0
	s_load_dwordx8 s[8:15], s[4:5], 0x50
	s_or_b32 s2, s2, s3
	s_mov_b32 s3, -1
	s_and_b32 vcc_lo, exec_lo, s2
	s_cbranch_vccnz .LBB123_3
; %bb.2:
	s_waitcnt lgkmcnt(0)
	s_mul_i32 s3, s13, s7
	s_mul_hi_u32 s13, s12, s7
	s_mul_i32 s12, s12, s7
	s_add_i32 s13, s13, s3
	s_lshl_b64 s[12:13], s[12:13], 4
	s_add_u32 s10, s10, s12
	s_addc_u32 s11, s11, s13
	s_load_dwordx4 s[20:23], s[10:11], 0x0
	s_waitcnt lgkmcnt(0)
	v_cmp_neq_f64_e64 s3, s[20:21], 1.0
	v_cmp_neq_f64_e64 s10, s[22:23], 0
	s_or_b32 s3, s3, s10
.LBB123_3:
	s_andn2_b32 vcc_lo, exec_lo, s3
	s_cbranch_vccnz .LBB123_156
; %bb.4:
	s_andn2_b32 vcc_lo, exec_lo, s2
	s_cbranch_vccnz .LBB123_156
; %bb.5:
	s_clause 0x2
	s_load_dwordx4 s[20:23], s[4:5], 0x30
	s_load_dwordx2 s[2:3], s[4:5], 0x40
	s_load_dword s26, s[4:5], 0x48
	s_waitcnt lgkmcnt(0)
	s_mul_i32 s9, s9, s7
	s_mul_hi_u32 s10, s8, s7
	s_mul_i32 s8, s8, s7
	s_add_i32 s9, s10, s9
	s_load_dword s24, s[0:1], 0x0
	s_lshl_b64 s[10:11], s[8:9], 4
	s_load_dword s9, s[4:5], 0x0
	s_add_u32 s8, s22, s10
	s_addc_u32 s10, s23, s11
	s_lshl_b64 s[2:3], s[2:3], 4
	s_add_u32 s2, s8, s2
	s_addc_u32 s3, s10, s3
	s_lshl_b32 s22, s6, 6
	s_waitcnt lgkmcnt(0)
	s_add_i32 s1, s24, -1
	v_add_nc_u32_e32 v167, s22, v0
	s_ashr_i32 s27, s9, 31
	s_lshr_b32 s0, s27, 26
	v_mul_lo_u32 v2, s26, v167
	s_add_i32 s0, s9, s0
	s_andn2_b32 s0, s0, 63
	s_sub_i32 s25, s9, s0
	v_cmp_eq_u32_e64 s0, 0, v1
	s_cmp_eq_u32 s6, s1
	v_ashrrev_i32_e32 v3, 31, v2
	s_cselect_b32 s10, s25, 0
	v_lshlrev_b64 v[2:3], 4, v[2:3]
	v_add_co_u32 v38, vcc_lo, s2, v2
	v_add_co_ci_u32_e64 v39, null, s3, v3, vcc_lo
	s_mov_b32 s3, -1
	s_and_saveexec_b32 s1, s0
	s_cbranch_execz .LBB123_10
; %bb.6:
	v_cmp_le_i32_e32 vcc_lo, s10, v0
	s_cmp_lg_u32 s10, 0
	v_lshl_add_u32 v2, v0, 4, 0x4700
	s_cselect_b32 s2, -1, 0
	s_and_b32 s2, s2, vcc_lo
	s_and_saveexec_b32 s8, s2
	s_xor_b32 s2, exec_lo, s8
	s_cbranch_execz .LBB123_8
; %bb.7:
	v_mov_b32_e32 v3, 0
	v_mov_b32_e32 v4, v3
	;; [unrolled: 1-line block ×4, first 2 shown]
	ds_write_b128 v2, v[3:6]
                                        ; implicit-def: $vgpr2
.LBB123_8:
	s_andn2_saveexec_b32 s2, s2
	s_cbranch_execz .LBB123_10
; %bb.9:
	global_load_dwordx4 v[3:6], v[38:39], off
	s_waitcnt vmcnt(0)
	ds_write2_b64 v2, v[3:4], v[5:6] offset1:1
.LBB123_10:
	s_or_b32 exec_lo, exec_lo, s1
	s_load_dword s12, s[4:5], 0x28
	v_lshl_add_u32 v44, v1, 6, v0
	v_and_b32_e32 v6, 31, v0
	s_mul_i32 s1, s21, s7
	s_mul_hi_u32 s2, s20, s7
	s_mul_i32 s4, s20, s7
	v_lshrrev_b32_e32 v13, 5, v44
	s_add_i32 s5, s2, s1
	v_lshlrev_b32_e32 v14, 4, v6
	s_lshl_b64 s[4:5], s[4:5], 4
	s_add_u32 s1, s16, s4
	s_addc_u32 s2, s17, s5
	s_lshl_b64 s[4:5], s[18:19], 4
	s_add_u32 s1, s1, s4
	s_addc_u32 s2, s2, s5
	s_ashr_i32 s23, s22, 31
	s_lshl_b64 s[4:5], s[22:23], 4
	s_waitcnt lgkmcnt(0)
	v_mad_u64_u32 v[2:3], null, s12, v13, v[6:7]
	s_add_u32 s8, s1, s4
	s_mul_i32 s4, s12, s22
	s_addc_u32 s2, s2, s5
	s_ashr_i32 s5, s4, 31
	v_cmp_gt_i32_e64 s1, s10, v6
	s_lshl_b64 s[4:5], s[4:5], 4
	v_ashrrev_i32_e32 v3, 31, v2
	s_cmp_eq_u32 s10, 0
                                        ; implicit-def: $vgpr7_vgpr8
	s_cselect_b32 s23, -1, 0
	s_cmp_lg_u32 s10, 0
	v_lshlrev_b64 v[40:41], 4, v[2:3]
	s_cselect_b32 s28, -1, 0
	v_add_co_u32 v2, vcc_lo, s8, v40
	v_add_co_ci_u32_e64 v3, null, s2, v41, vcc_lo
	s_and_b32 vcc_lo, exec_lo, s28
	v_add_co_u32 v2, s2, v2, s4
	v_add_co_ci_u32_e64 v3, null, s5, v3, s2
	s_cbranch_vccz .LBB123_28
; %bb.11:
	v_sub_co_u32 v4, vcc_lo, v2, v14
	s_ashr_i32 s11, s10, 31
	v_subrev_co_ci_u32_e64 v5, null, 0, v3, vcc_lo
	s_lshl_b64 s[2:3], s[10:11], 4
	v_mad_u32_u24 v8, 0x210, v13, v14
	v_add_co_u32 v4, vcc_lo, v4, s2
	v_add_co_ci_u32_e64 v5, null, s3, v5, vcc_lo
	s_mov_b32 s4, exec_lo
	v_add_co_u32 v4, vcc_lo, v4, -16
	v_add_co_ci_u32_e64 v5, null, -1, v5, vcc_lo
	v_cndmask_b32_e64 v4, v4, v2, s1
	v_cndmask_b32_e64 v5, v5, v3, s1
	v_cmpx_le_i32_e64 s10, v13
	s_xor_b32 s4, exec_lo, s4
	s_cbranch_execz .LBB123_13
; %bb.12:
	v_mov_b32_e32 v9, 0
	v_mov_b32_e32 v10, v9
	;; [unrolled: 1-line block ×4, first 2 shown]
	ds_write_b128 v8, v[9:12]
                                        ; implicit-def: $vgpr8
.LBB123_13:
	s_or_saveexec_b32 s4, s4
	v_mul_u32_u24_e32 v7, 0x210, v13
	s_xor_b32 exec_lo, exec_lo, s4
	s_cbranch_execz .LBB123_15
; %bb.14:
	global_load_dwordx4 v[9:12], v[4:5], off
	s_waitcnt vmcnt(0)
	ds_write2_b64 v8, v[9:10], v[11:12] offset1:1
.LBB123_15:
	s_or_b32 exec_lo, exec_lo, s4
	v_add_nc_u32_e32 v8, 8, v13
	v_cmp_le_i32_e32 vcc_lo, s10, v8
	v_add_nc_u32_e32 v8, v7, v14
	s_and_saveexec_b32 s4, vcc_lo
	s_xor_b32 s4, exec_lo, s4
	s_cbranch_execz .LBB123_17
; %bb.16:
	v_mov_b32_e32 v9, 0
	v_mov_b32_e32 v10, v9
	;; [unrolled: 1-line block ×4, first 2 shown]
	ds_write_b128 v8, v[9:12] offset:4224
.LBB123_17:
	s_andn2_saveexec_b32 s4, s4
	s_cbranch_execz .LBB123_19
; %bb.18:
	s_lshl_b32 s16, s12, 3
	v_add3_u32 v15, v7, v14, 0x1080
	s_ashr_i32 s17, s16, 31
	s_lshl_b64 s[16:17], s[16:17], 4
	v_add_co_u32 v9, vcc_lo, v4, s16
	v_add_co_ci_u32_e64 v10, null, s17, v5, vcc_lo
	global_load_dwordx4 v[9:12], v[9:10], off
	s_waitcnt vmcnt(0)
	ds_write2_b64 v15, v[9:10], v[11:12] offset1:1
.LBB123_19:
	s_or_b32 exec_lo, exec_lo, s4
	v_add_nc_u32_e32 v9, 16, v13
	s_mov_b32 s4, exec_lo
	v_cmpx_le_i32_e64 s10, v9
	s_xor_b32 s4, exec_lo, s4
	s_cbranch_execz .LBB123_21
; %bb.20:
	v_mov_b32_e32 v9, 0
	v_mov_b32_e32 v10, v9
	;; [unrolled: 1-line block ×4, first 2 shown]
	ds_write_b128 v8, v[9:12] offset:8448
.LBB123_21:
	s_andn2_saveexec_b32 s4, s4
	s_cbranch_execz .LBB123_23
; %bb.22:
	s_lshl_b32 s16, s12, 4
	v_add3_u32 v15, v7, v14, 0x2100
	s_ashr_i32 s17, s16, 31
	s_lshl_b64 s[16:17], s[16:17], 4
	v_add_co_u32 v9, vcc_lo, v4, s16
	v_add_co_ci_u32_e64 v10, null, s17, v5, vcc_lo
	global_load_dwordx4 v[9:12], v[9:10], off
	s_waitcnt vmcnt(0)
	ds_write2_b64 v15, v[9:10], v[11:12] offset1:1
.LBB123_23:
	s_or_b32 exec_lo, exec_lo, s4
	v_add_nc_u32_e32 v9, 24, v13
	s_mov_b32 s4, exec_lo
	v_cmpx_le_i32_e64 s10, v9
	s_xor_b32 s4, exec_lo, s4
	s_cbranch_execz .LBB123_25
; %bb.24:
	v_mov_b32_e32 v9, 0
                                        ; implicit-def: $vgpr7
	v_mov_b32_e32 v10, v9
	v_mov_b32_e32 v11, v9
	;; [unrolled: 1-line block ×3, first 2 shown]
	ds_write_b128 v8, v[9:12] offset:12672
.LBB123_25:
	s_andn2_saveexec_b32 s4, s4
	s_cbranch_execz .LBB123_27
; %bb.26:
	s_mul_i32 s16, s12, 24
	v_add3_u32 v7, v7, v14, 0x3180
	s_ashr_i32 s17, s16, 31
	s_lshl_b64 s[16:17], s[16:17], 4
	v_add_co_u32 v8, vcc_lo, v4, s16
	v_add_co_ci_u32_e64 v9, null, s17, v5, vcc_lo
	global_load_dwordx4 v[8:11], v[8:9], off
	s_waitcnt vmcnt(0)
	ds_write2_b64 v7, v[8:9], v[10:11] offset1:1
.LBB123_27:
	s_or_b32 exec_lo, exec_lo, s4
	v_add_co_u32 v4, vcc_lo, v4, v14
	v_add_co_ci_u32_e64 v5, null, 0, v5, vcc_lo
	v_sub_co_u32 v4, vcc_lo, v4, s2
	v_subrev_co_ci_u32_e64 v5, null, s3, v5, vcc_lo
	s_mov_b32 s3, 0
	v_add_co_u32 v4, vcc_lo, v4, 16
	v_add_co_ci_u32_e64 v5, null, 0, v5, vcc_lo
	v_cndmask_b32_e64 v7, v4, v2, s1
	v_cndmask_b32_e64 v8, v5, v3, s1
.LBB123_28:
	v_mul_u32_u24_e32 v18, 0x210, v13
	s_and_b32 vcc_lo, exec_lo, s3
	s_cbranch_vccz .LBB123_30
; %bb.29:
	s_lshl_b32 s2, s12, 3
	s_ashr_i32 s13, s12, 31
	s_ashr_i32 s3, s2, 31
	s_lshl_b64 s[2:3], s[2:3], 4
	v_add_co_u32 v4, vcc_lo, v2, s2
	v_add_co_ci_u32_e64 v5, null, s3, v3, vcc_lo
	s_lshl_b64 s[2:3], s[12:13], 7
	v_add_co_u32 v7, vcc_lo, v4, s2
	v_add_co_ci_u32_e64 v8, null, s3, v5, vcc_lo
	v_add_co_u32 v15, vcc_lo, v7, s2
	v_add_co_ci_u32_e64 v16, null, s3, v8, vcc_lo
	s_clause 0x3
	global_load_dwordx4 v[9:12], v[2:3], off
	global_load_dwordx4 v[19:22], v[4:5], off
	;; [unrolled: 1-line block ×4, first 2 shown]
	v_lshl_add_u32 v4, v6, 4, v18
	v_mov_b32_e32 v8, v3
	v_mov_b32_e32 v7, v2
	v_add_nc_u32_e32 v5, 0x1080, v4
	v_add_nc_u32_e32 v15, 0x2100, v4
	v_add_nc_u32_e32 v16, 0x3180, v4
	s_waitcnt vmcnt(3)
	ds_write2_b64 v4, v[9:10], v[11:12] offset1:1
	s_waitcnt vmcnt(2)
	ds_write2_b64 v5, v[19:20], v[21:22] offset1:1
	s_waitcnt vmcnt(1)
	ds_write2_b64 v15, v[23:24], v[25:26] offset1:1
	s_waitcnt vmcnt(0)
	ds_write2_b64 v16, v[27:28], v[29:30] offset1:1
.LBB123_30:
	v_lshlrev_b32_e32 v11, 2, v13
	v_lshl_or_b32 v2, v6, 9, v14
	v_mad_u32_u24 v15, 0x840, v13, v14
	s_waitcnt lgkmcnt(0)
	s_barrier
	v_cmp_gt_u32_e64 s2, v11, v6
	v_lshl_add_u32 v3, v11, 4, v2
	buffer_gl0_inv
	s_and_saveexec_b32 s1, s2
	s_cbranch_execz .LBB123_32
; %bb.31:
	ds_read_b128 v[19:22], v15
	s_waitcnt lgkmcnt(0)
	ds_write_b128 v3, v[19:22]
.LBB123_32:
	s_or_b32 exec_lo, exec_lo, s1
	v_or_b32_e32 v2, 1, v11
	v_cmp_ge_u32_e64 s3, v11, v6
	v_mad_u32_u24 v16, 0x210, v2, v14
	s_and_saveexec_b32 s1, s3
	s_cbranch_execz .LBB123_34
; %bb.33:
	ds_read_b128 v[19:22], v16
	s_waitcnt lgkmcnt(0)
	ds_write_b128 v3, v[19:22] offset:16
.LBB123_34:
	s_or_b32 exec_lo, exec_lo, s1
	v_or_b32_e32 v2, 2, v11
	v_cmp_gt_u32_e64 s4, v2, v6
	s_and_saveexec_b32 s1, s4
	s_cbranch_execz .LBB123_36
; %bb.35:
	v_mad_u32_u24 v2, 0x210, v2, v14
	ds_read_b128 v[19:22], v2
	s_waitcnt lgkmcnt(0)
	ds_write_b128 v3, v[19:22] offset:32
.LBB123_36:
	s_or_b32 exec_lo, exec_lo, s1
	v_or_b32_e32 v4, 3, v11
	s_mov_b32 s1, exec_lo
	v_cmp_gt_u32_e64 s5, v4, v6
	v_mul_u32_u24_e32 v2, 0x210, v4
	v_cmpx_le_u32_e64 v4, v6
	s_xor_b32 s1, exec_lo, s1
; %bb.37:
	v_mul_u32_u24_e32 v2, 0x210, v4
                                        ; implicit-def: $vgpr4
                                        ; implicit-def: $vgpr3
; %bb.38:
	s_andn2_saveexec_b32 s1, s1
	s_cbranch_execz .LBB123_40
; %bb.39:
	v_mad_u32_u24 v4, 0x210, v4, v14
	ds_read_b128 v[19:22], v4
	s_waitcnt lgkmcnt(0)
	ds_write_b128 v3, v[19:22] offset:48
.LBB123_40:
	s_or_b32 exec_lo, exec_lo, s1
	v_lshlrev_b32_e32 v12, 4, v11
	s_waitcnt lgkmcnt(0)
	s_barrier
	buffer_gl0_inv
	ds_read_b128 v[19:22], v15
	ds_read_b128 v[23:26], v12 offset:18176
	v_add_nc_u32_e32 v17, v14, v2
	ds_read_b128 v[2:5], v16 offset:528
	ds_read_b128 v[27:30], v12 offset:18192
	ds_read_b128 v[31:34], v16
	ds_read_b128 v[45:48], v17
	ds_read_b128 v[49:52], v12 offset:18208
	v_cmp_gt_u32_e64 s1, 32, v44
	s_waitcnt lgkmcnt(5)
	v_mul_f64 v[9:10], v[25:26], v[21:22]
	v_mul_f64 v[21:22], v[23:24], v[21:22]
	s_waitcnt lgkmcnt(2)
	v_mul_f64 v[35:36], v[29:30], v[33:34]
	v_mul_f64 v[33:34], v[27:28], v[33:34]
	v_fma_f64 v[9:10], v[23:24], v[19:20], -v[9:10]
	v_fma_f64 v[23:24], v[25:26], v[19:20], v[21:22]
	ds_read_b128 v[19:22], v12 offset:18224
	s_waitcnt lgkmcnt(1)
	v_mul_f64 v[25:26], v[51:52], v[4:5]
	v_mul_f64 v[4:5], v[49:50], v[4:5]
	v_fma_f64 v[27:28], v[27:28], v[31:32], -v[35:36]
	v_fma_f64 v[29:30], v[29:30], v[31:32], v[33:34]
	s_waitcnt lgkmcnt(0)
	s_barrier
	buffer_gl0_inv
	v_mul_f64 v[31:32], v[21:22], v[47:48]
	v_add_f64 v[9:10], v[9:10], 0
	v_add_f64 v[23:24], v[23:24], 0
	v_mul_f64 v[33:34], v[19:20], v[47:48]
	v_fma_f64 v[25:26], v[49:50], v[2:3], -v[25:26]
	v_fma_f64 v[2:3], v[51:52], v[2:3], v[4:5]
	v_fma_f64 v[19:20], v[19:20], v[45:46], -v[31:32]
	v_add_f64 v[4:5], v[9:10], v[27:28]
	v_add_f64 v[9:10], v[23:24], v[29:30]
	v_fma_f64 v[21:22], v[21:22], v[45:46], v[33:34]
	v_add_f64 v[4:5], v[4:5], v[25:26]
	v_add_f64 v[2:3], v[9:10], v[2:3]
	;; [unrolled: 1-line block ×4, first 2 shown]
	v_mul_u32_u24_e32 v2, 33, v6
	v_mov_b32_e32 v4, 0
	v_mov_b32_e32 v5, 0
	v_lshlrev_b32_e32 v45, 4, v2
	v_mov_b32_e32 v2, 0
	v_mov_b32_e32 v3, 0
	v_lshl_add_u32 v46, v13, 4, v45
	ds_write_b128 v46, v[19:22]
	s_waitcnt lgkmcnt(0)
	s_barrier
	buffer_gl0_inv
	s_and_saveexec_b32 s8, s1
	s_cbranch_execz .LBB123_42
; %bb.41:
	ds_read_b128 v[2:5], v45
	ds_read_b128 v[19:22], v45 offset:16
	s_waitcnt lgkmcnt(0)
	v_add_f64 v[9:10], v[19:20], v[2:3]
	v_add_f64 v[23:24], v[21:22], v[4:5]
	ds_read_b128 v[2:5], v45 offset:32
	ds_read_b128 v[19:22], v45 offset:48
	s_waitcnt lgkmcnt(1)
	v_add_f64 v[2:3], v[9:10], v[2:3]
	v_add_f64 v[4:5], v[23:24], v[4:5]
	s_waitcnt lgkmcnt(0)
	v_add_f64 v[9:10], v[2:3], v[19:20]
	v_add_f64 v[23:24], v[4:5], v[21:22]
	ds_read_b128 v[2:5], v45 offset:64
	ds_read_b128 v[19:22], v45 offset:80
	s_waitcnt lgkmcnt(1)
	v_add_f64 v[2:3], v[9:10], v[2:3]
	v_add_f64 v[4:5], v[23:24], v[4:5]
	;; [unrolled: 8-line block ×3, first 2 shown]
	s_waitcnt lgkmcnt(0)
	v_add_f64 v[2:3], v[2:3], v[19:20]
	v_add_f64 v[4:5], v[4:5], v[21:22]
.LBB123_42:
	s_or_b32 exec_lo, exec_lo, s8
	s_lshl_b32 s18, s12, 5
	v_mad_u32_u24 v19, 0x210, v13, v14
	s_ashr_i32 s19, s18, 31
	s_lshl_b64 s[16:17], s[18:19], 4
	s_barrier
	v_add_co_u32 v20, vcc_lo, v7, s16
	v_add_co_ci_u32_e64 v21, null, s17, v8, vcc_lo
	buffer_gl0_inv
	v_add_co_u32 v9, vcc_lo, 0x200, v20
	v_add_co_ci_u32_e64 v10, null, 0, v21, vcc_lo
	s_and_b32 vcc_lo, exec_lo, s28
	s_cbranch_vccz .LBB123_60
; %bb.43:
	v_sub_co_u32 v7, vcc_lo, v20, v14
	s_ashr_i32 s11, s10, 31
	v_subrev_co_ci_u32_e64 v8, null, 0, v21, vcc_lo
	s_lshl_b64 s[20:21], s[10:11], 4
	v_or_b32_e32 v22, 32, v6
	v_add_co_u32 v7, vcc_lo, v7, s20
	v_add_co_ci_u32_e64 v8, null, s21, v8, vcc_lo
	s_sub_i32 s11, s10, 32
	v_add_co_u32 v7, vcc_lo, v7, -16
	v_add_co_ci_u32_e64 v8, null, -1, v8, vcc_lo
	v_cmp_gt_i32_e32 vcc_lo, s10, v22
	v_cmp_le_i32_e64 s8, s11, v13
	v_cndmask_b32_e32 v8, v8, v10, vcc_lo
	v_cndmask_b32_e32 v7, v7, v9, vcc_lo
	s_and_saveexec_b32 s13, s8
	s_xor_b32 s8, exec_lo, s13
	s_cbranch_execz .LBB123_45
; %bb.44:
	v_mov_b32_e32 v22, 0
	v_mov_b32_e32 v23, v22
	;; [unrolled: 1-line block ×4, first 2 shown]
	ds_write_b128 v19, v[22:25]
.LBB123_45:
	s_andn2_saveexec_b32 s8, s8
	s_cbranch_execz .LBB123_47
; %bb.46:
	global_load_dwordx4 v[22:25], v[7:8], off
	s_waitcnt vmcnt(0)
	ds_write2_b64 v19, v[22:23], v[24:25] offset1:1
.LBB123_47:
	s_or_b32 exec_lo, exec_lo, s8
	v_add_nc_u32_e32 v22, 8, v13
	v_cmp_le_i32_e64 s8, s11, v22
	v_add_nc_u32_e32 v22, v18, v14
	s_and_saveexec_b32 s13, s8
	s_xor_b32 s8, exec_lo, s13
	s_cbranch_execz .LBB123_49
; %bb.48:
	v_mov_b32_e32 v23, 0
	v_mov_b32_e32 v24, v23
	v_mov_b32_e32 v25, v23
	v_mov_b32_e32 v26, v23
	ds_write_b128 v22, v[23:26] offset:4224
.LBB123_49:
	s_andn2_saveexec_b32 s13, s8
	s_cbranch_execz .LBB123_51
; %bb.50:
	s_lshl_b32 s30, s12, 3
	v_add3_u32 v27, v18, v14, 0x1080
	s_ashr_i32 s31, s30, 31
	s_lshl_b64 s[30:31], s[30:31], 4
	v_add_co_u32 v23, s8, v7, s30
	v_add_co_ci_u32_e64 v24, null, s31, v8, s8
	global_load_dwordx4 v[23:26], v[23:24], off
	s_waitcnt vmcnt(0)
	ds_write2_b64 v27, v[23:24], v[25:26] offset1:1
.LBB123_51:
	s_or_b32 exec_lo, exec_lo, s13
	v_add_nc_u32_e32 v23, 16, v13
	v_cmp_le_i32_e64 s8, s11, v23
	s_and_saveexec_b32 s13, s8
	s_xor_b32 s8, exec_lo, s13
	s_cbranch_execz .LBB123_53
; %bb.52:
	v_mov_b32_e32 v23, 0
	v_mov_b32_e32 v24, v23
	;; [unrolled: 1-line block ×4, first 2 shown]
	ds_write_b128 v22, v[23:26] offset:8448
.LBB123_53:
	s_andn2_saveexec_b32 s13, s8
	s_cbranch_execz .LBB123_55
; %bb.54:
	s_lshl_b32 s30, s12, 4
	v_add3_u32 v27, v18, v14, 0x2100
	s_ashr_i32 s31, s30, 31
	s_lshl_b64 s[30:31], s[30:31], 4
	v_add_co_u32 v23, s8, v7, s30
	v_add_co_ci_u32_e64 v24, null, s31, v8, s8
	global_load_dwordx4 v[23:26], v[23:24], off
	s_waitcnt vmcnt(0)
	ds_write2_b64 v27, v[23:24], v[25:26] offset1:1
.LBB123_55:
	s_or_b32 exec_lo, exec_lo, s13
	v_add_nc_u32_e32 v23, 24, v13
	v_cmp_le_i32_e64 s8, s11, v23
	s_and_saveexec_b32 s11, s8
	s_xor_b32 s8, exec_lo, s11
	s_cbranch_execz .LBB123_57
; %bb.56:
	v_mov_b32_e32 v23, 0
	v_mov_b32_e32 v24, v23
	;; [unrolled: 1-line block ×4, first 2 shown]
	ds_write_b128 v22, v[23:26] offset:12672
.LBB123_57:
	s_andn2_saveexec_b32 s11, s8
	s_cbranch_execz .LBB123_59
; %bb.58:
	s_mul_i32 s30, s12, 24
	v_add3_u32 v26, v18, v14, 0x3180
	s_ashr_i32 s31, s30, 31
	s_lshl_b64 s[30:31], s[30:31], 4
	v_add_co_u32 v22, s8, v7, s30
	v_add_co_ci_u32_e64 v23, null, s31, v8, s8
	global_load_dwordx4 v[22:25], v[22:23], off
	s_waitcnt vmcnt(0)
	ds_write2_b64 v26, v[22:23], v[24:25] offset1:1
.LBB123_59:
	s_or_b32 exec_lo, exec_lo, s11
	v_add_co_u32 v7, s8, v7, v14
	v_add_co_ci_u32_e64 v8, null, 0, v8, s8
	v_sub_co_u32 v7, s8, v7, s20
	v_subrev_co_ci_u32_e64 v8, null, s21, v8, s8
	v_add_co_u32 v7, s8, 0x210, v7
	v_add_co_ci_u32_e64 v8, null, 0, v8, s8
	v_cndmask_b32_e32 v7, v7, v9, vcc_lo
	v_cndmask_b32_e32 v8, v8, v10, vcc_lo
	s_branch .LBB123_62
.LBB123_60:
                                        ; implicit-def: $vgpr7_vgpr8
	s_cbranch_execz .LBB123_62
; %bb.61:
	s_lshl_b32 s20, s12, 3
	s_ashr_i32 s13, s12, 31
	s_ashr_i32 s21, s20, 31
	v_add_nc_u32_e32 v36, 0x1080, v19
	s_lshl_b64 s[20:21], s[20:21], 4
	v_add_nc_u32_e32 v37, 0x2100, v19
	v_add_co_u32 v7, vcc_lo, v20, s20
	v_add_co_ci_u32_e64 v8, null, s21, v21, vcc_lo
	s_lshl_b64 s[20:21], s[12:13], 7
	v_add_nc_u32_e32 v42, 0x3180, v19
	v_add_co_u32 v28, vcc_lo, v7, s20
	v_add_co_ci_u32_e64 v29, null, s21, v8, vcc_lo
	v_add_co_u32 v32, vcc_lo, v28, s20
	v_add_co_ci_u32_e64 v33, null, s21, v29, vcc_lo
	s_clause 0x3
	global_load_dwordx4 v[20:23], v[9:10], off
	global_load_dwordx4 v[24:27], v[7:8], off offset:512
	global_load_dwordx4 v[28:31], v[28:29], off offset:512
	;; [unrolled: 1-line block ×3, first 2 shown]
	v_mov_b32_e32 v7, v9
	v_mov_b32_e32 v8, v10
	s_waitcnt vmcnt(3)
	ds_write2_b64 v19, v[20:21], v[22:23] offset1:1
	s_waitcnt vmcnt(2)
	ds_write2_b64 v36, v[24:25], v[26:27] offset1:1
	;; [unrolled: 2-line block ×4, first 2 shown]
.LBB123_62:
	v_lshl_add_u32 v9, v11, 4, v45
	s_waitcnt lgkmcnt(0)
	s_barrier
	buffer_gl0_inv
	s_and_saveexec_b32 s8, s2
	s_cbranch_execnz .LBB123_87
; %bb.63:
	s_or_b32 exec_lo, exec_lo, s8
	s_and_saveexec_b32 s2, s3
	s_cbranch_execnz .LBB123_88
.LBB123_64:
	s_or_b32 exec_lo, exec_lo, s2
	v_add_nc_u32_e32 v20, 0x210, v16
	s_and_saveexec_b32 s2, s4
	s_cbranch_execnz .LBB123_89
.LBB123_65:
	s_or_b32 exec_lo, exec_lo, s2
	v_add_nc_u32_e32 v21, 0x4700, v12
	s_and_saveexec_b32 s2, s5
	s_cbranch_execz .LBB123_67
.LBB123_66:
	ds_read_b128 v[22:25], v17
	s_waitcnt lgkmcnt(0)
	ds_write_b128 v9, v[22:25] offset:48
.LBB123_67:
	s_or_b32 exec_lo, exec_lo, s2
	s_waitcnt lgkmcnt(0)
	s_barrier
	buffer_gl0_inv
	ds_read_b128 v[9:12], v15
	ds_read_b128 v[22:25], v21 offset:512
	ds_read_b128 v[26:29], v21 offset:528
	ds_read_b128 v[30:33], v16
	ds_read_b128 v[34:37], v21 offset:544
	ds_read_b128 v[47:50], v20
	v_cmp_eq_u32_e64 s2, 1, v13
	s_waitcnt lgkmcnt(4)
	v_mul_f64 v[42:43], v[24:25], v[11:12]
	v_mul_f64 v[11:12], v[22:23], v[11:12]
	s_waitcnt lgkmcnt(2)
	v_mul_f64 v[51:52], v[28:29], v[32:33]
	v_mul_f64 v[32:33], v[26:27], v[32:33]
	;; [unrolled: 3-line block ×3, first 2 shown]
	v_fma_f64 v[42:43], v[22:23], v[9:10], -v[42:43]
	v_fma_f64 v[53:54], v[24:25], v[9:10], v[11:12]
	v_fma_f64 v[26:27], v[26:27], v[30:31], -v[51:52]
	v_fma_f64 v[28:29], v[28:29], v[30:31], v[32:33]
	ds_read_b128 v[9:12], v21 offset:560
	ds_read_b128 v[22:25], v17
	v_fma_f64 v[34:35], v[34:35], v[47:48], -v[55:56]
	v_fma_f64 v[36:37], v[36:37], v[47:48], v[49:50]
	s_waitcnt lgkmcnt(0)
	s_barrier
	buffer_gl0_inv
	v_add_f64 v[30:31], v[42:43], 0
	v_add_f64 v[32:33], v[53:54], 0
	v_mul_f64 v[42:43], v[11:12], v[24:25]
	v_mul_f64 v[24:25], v[9:10], v[24:25]
	v_add_f64 v[26:27], v[30:31], v[26:27]
	v_add_f64 v[28:29], v[32:33], v[28:29]
	v_fma_f64 v[9:10], v[9:10], v[22:23], -v[42:43]
	v_fma_f64 v[11:12], v[11:12], v[22:23], v[24:25]
	v_add_f64 v[22:23], v[26:27], v[34:35]
	v_add_f64 v[24:25], v[28:29], v[36:37]
	;; [unrolled: 1-line block ×4, first 2 shown]
	ds_write_b128 v46, v[9:12]
	s_waitcnt lgkmcnt(0)
	s_barrier
	buffer_gl0_inv
	s_and_saveexec_b32 s3, s2
	s_cbranch_execz .LBB123_69
; %bb.68:
	ds_read_b128 v[2:5], v45
	ds_read_b128 v[9:12], v45 offset:16
	s_waitcnt lgkmcnt(0)
	v_add_f64 v[22:23], v[9:10], v[2:3]
	v_add_f64 v[24:25], v[11:12], v[4:5]
	ds_read_b128 v[2:5], v45 offset:32
	ds_read_b128 v[9:12], v45 offset:48
	s_waitcnt lgkmcnt(1)
	v_add_f64 v[2:3], v[22:23], v[2:3]
	v_add_f64 v[4:5], v[24:25], v[4:5]
	s_waitcnt lgkmcnt(0)
	v_add_f64 v[22:23], v[2:3], v[9:10]
	v_add_f64 v[24:25], v[4:5], v[11:12]
	ds_read_b128 v[2:5], v45 offset:64
	ds_read_b128 v[9:12], v45 offset:80
	s_waitcnt lgkmcnt(1)
	v_add_f64 v[2:3], v[22:23], v[2:3]
	v_add_f64 v[4:5], v[24:25], v[4:5]
	;; [unrolled: 8-line block ×3, first 2 shown]
	s_waitcnt lgkmcnt(0)
	v_add_f64 v[2:3], v[2:3], v[9:10]
	v_add_f64 v[4:5], v[4:5], v[11:12]
.LBB123_69:
	s_or_b32 exec_lo, exec_lo, s3
	v_add_co_u32 v9, vcc_lo, 0xfffffe00, v7
	v_add_co_ci_u32_e64 v10, null, -1, v8, vcc_lo
	s_and_b32 vcc_lo, exec_lo, s28
	s_barrier
	buffer_gl0_inv
	s_cbranch_vccz .LBB123_90
; %bb.70:
	v_sub_co_u32 v11, vcc_lo, v7, v14
	s_ashr_i32 s11, s10, 31
	v_subrev_co_ci_u32_e64 v12, null, 0, v8, vcc_lo
	s_lshl_b64 s[4:5], s[10:11], 4
	s_sub_i32 s8, s10, 32
	v_add_co_u32 v11, vcc_lo, v11, s4
	v_add_co_ci_u32_e64 v12, null, s5, v12, vcc_lo
	v_cmp_le_i32_e64 s3, s8, v13
	v_add_co_u32 v11, vcc_lo, 0xfffffdf0, v11
	v_add_co_ci_u32_e64 v12, null, -1, v12, vcc_lo
	v_cmp_gt_i32_e32 vcc_lo, s10, v6
	v_cndmask_b32_e32 v12, v12, v10, vcc_lo
	v_cndmask_b32_e32 v11, v11, v9, vcc_lo
	s_and_saveexec_b32 s11, s3
	s_xor_b32 s3, exec_lo, s11
	s_cbranch_execz .LBB123_72
; %bb.71:
	v_mov_b32_e32 v22, 0
	v_mov_b32_e32 v23, v22
	;; [unrolled: 1-line block ×4, first 2 shown]
	ds_write_b128 v19, v[22:25]
.LBB123_72:
	s_andn2_saveexec_b32 s3, s3
	s_cbranch_execz .LBB123_74
; %bb.73:
	global_load_dwordx4 v[22:25], v[11:12], off
	s_waitcnt vmcnt(0)
	ds_write2_b64 v19, v[22:23], v[24:25] offset1:1
.LBB123_74:
	s_or_b32 exec_lo, exec_lo, s3
	v_add_nc_u32_e32 v6, 8, v13
	v_add_nc_u32_e32 v24, v18, v14
	v_cmp_le_i32_e64 s3, s8, v6
	s_and_saveexec_b32 s11, s3
	s_xor_b32 s3, exec_lo, s11
	s_cbranch_execz .LBB123_76
; %bb.75:
	v_mov_b32_e32 v25, 0
	v_mov_b32_e32 v26, v25
	;; [unrolled: 1-line block ×4, first 2 shown]
	ds_write_b128 v24, v[25:28] offset:4224
.LBB123_76:
	s_andn2_saveexec_b32 s11, s3
	s_cbranch_execz .LBB123_78
; %bb.77:
	s_lshl_b32 s20, s12, 3
	s_ashr_i32 s21, s20, 31
	s_lshl_b64 s[20:21], s[20:21], 4
	v_add_co_u32 v22, s3, v11, s20
	v_add_co_ci_u32_e64 v23, null, s21, v12, s3
	global_load_dwordx4 v[25:28], v[22:23], off
	v_add3_u32 v22, v18, v14, 0x1080
	s_waitcnt vmcnt(0)
	ds_write2_b64 v22, v[25:26], v[27:28] offset1:1
.LBB123_78:
	s_or_b32 exec_lo, exec_lo, s11
	v_add_nc_u32_e32 v23, 16, v13
	v_cmp_le_i32_e64 s3, s8, v23
	s_and_saveexec_b32 s11, s3
	s_xor_b32 s3, exec_lo, s11
	s_cbranch_execz .LBB123_80
; %bb.79:
	v_mov_b32_e32 v25, 0
	v_mov_b32_e32 v26, v25
	;; [unrolled: 1-line block ×4, first 2 shown]
	ds_write_b128 v24, v[25:28] offset:8448
.LBB123_80:
	s_andn2_saveexec_b32 s11, s3
	s_cbranch_execz .LBB123_82
; %bb.81:
	s_lshl_b32 s20, s12, 4
	v_add3_u32 v22, v18, v14, 0x2100
	s_ashr_i32 s21, s20, 31
	s_lshl_b64 s[20:21], s[20:21], 4
	v_add_co_u32 v25, s3, v11, s20
	v_add_co_ci_u32_e64 v26, null, s21, v12, s3
	global_load_dwordx4 v[25:28], v[25:26], off
	s_waitcnt vmcnt(0)
	ds_write2_b64 v22, v[25:26], v[27:28] offset1:1
.LBB123_82:
	s_or_b32 exec_lo, exec_lo, s11
	v_add_nc_u32_e32 v22, 24, v13
	v_cmp_le_i32_e64 s3, s8, v22
	s_and_saveexec_b32 s8, s3
	s_xor_b32 s3, exec_lo, s8
	s_cbranch_execz .LBB123_84
; %bb.83:
	v_mov_b32_e32 v25, 0
                                        ; implicit-def: $vgpr18
	v_mov_b32_e32 v26, v25
	v_mov_b32_e32 v27, v25
	;; [unrolled: 1-line block ×3, first 2 shown]
	ds_write_b128 v24, v[25:28] offset:12672
.LBB123_84:
	s_andn2_saveexec_b32 s8, s3
	s_cbranch_execz .LBB123_86
; %bb.85:
	s_mul_i32 s20, s12, 24
	v_add3_u32 v18, v18, v14, 0x3180
	s_ashr_i32 s21, s20, 31
	s_lshl_b64 s[20:21], s[20:21], 4
	v_add_co_u32 v24, s3, v11, s20
	v_add_co_ci_u32_e64 v25, null, s21, v12, s3
	global_load_dwordx4 v[24:27], v[24:25], off
	s_waitcnt vmcnt(0)
	ds_write2_b64 v18, v[24:25], v[26:27] offset1:1
.LBB123_86:
	s_or_b32 exec_lo, exec_lo, s8
	v_add_co_u32 v11, s3, v11, v14
	v_add_co_ci_u32_e64 v12, null, 0, v12, s3
	v_sub_co_u32 v11, s3, v11, s4
	v_subrev_co_ci_u32_e64 v12, null, s5, v12, s3
	v_add_co_u32 v11, s3, v11, 16
	v_add_co_ci_u32_e64 v12, null, 0, v12, s3
	v_cndmask_b32_e32 v42, v11, v9, vcc_lo
	v_cndmask_b32_e32 v43, v12, v10, vcc_lo
	s_branch .LBB123_92
.LBB123_87:
	ds_read_b128 v[20:23], v15
	s_waitcnt lgkmcnt(0)
	ds_write_b128 v9, v[20:23]
	s_or_b32 exec_lo, exec_lo, s8
	s_and_saveexec_b32 s2, s3
	s_cbranch_execz .LBB123_64
.LBB123_88:
	ds_read_b128 v[20:23], v16
	s_waitcnt lgkmcnt(0)
	ds_write_b128 v9, v[20:23] offset:16
	s_or_b32 exec_lo, exec_lo, s2
	v_add_nc_u32_e32 v20, 0x210, v16
	s_and_saveexec_b32 s2, s4
	s_cbranch_execz .LBB123_65
.LBB123_89:
	ds_read_b128 v[21:24], v20
	s_waitcnt lgkmcnt(0)
	ds_write_b128 v9, v[21:24] offset:32
	s_or_b32 exec_lo, exec_lo, s2
	v_add_nc_u32_e32 v21, 0x4700, v12
	s_and_saveexec_b32 s2, s5
	s_cbranch_execnz .LBB123_66
	s_branch .LBB123_67
.LBB123_90:
                                        ; implicit-def: $vgpr42_vgpr43
                                        ; implicit-def: $vgpr6
                                        ; implicit-def: $vgpr23
                                        ; implicit-def: $vgpr22
	s_cbranch_execz .LBB123_92
; %bb.91:
	s_lshl_b32 s4, s12, 3
	s_ashr_i32 s13, s12, 31
	s_ashr_i32 s5, s4, 31
	v_mov_b32_e32 v43, v10
	s_lshl_b64 s[4:5], s[4:5], 4
	v_mov_b32_e32 v42, v9
	v_add_co_u32 v6, vcc_lo, v7, s4
	v_add_co_ci_u32_e64 v7, null, s5, v8, vcc_lo
	s_lshl_b64 s[4:5], s[12:13], 7
	v_add_nc_u32_e32 v8, 0x2100, v19
	v_add_co_u32 v11, vcc_lo, v6, s4
	v_add_co_ci_u32_e64 v12, null, s5, v7, vcc_lo
	v_add_co_u32 v22, vcc_lo, v11, s4
	v_add_co_ci_u32_e64 v23, null, s5, v12, vcc_lo
	s_clause 0x3
	global_load_dwordx4 v[24:27], v[9:10], off
	global_load_dwordx4 v[28:31], v[6:7], off offset:-512
	global_load_dwordx4 v[32:35], v[11:12], off offset:-512
	;; [unrolled: 1-line block ×3, first 2 shown]
	v_add_nc_u32_e32 v6, 8, v13
	v_add_nc_u32_e32 v23, 16, v13
	;; [unrolled: 1-line block ×5, first 2 shown]
	s_waitcnt vmcnt(3)
	ds_write2_b64 v19, v[24:25], v[26:27] offset1:1
	s_waitcnt vmcnt(2)
	ds_write2_b64 v7, v[28:29], v[30:31] offset1:1
	;; [unrolled: 2-line block ×4, first 2 shown]
.LBB123_92:
	v_lshlrev_b32_e32 v11, 4, v13
	s_waitcnt lgkmcnt(0)
	s_barrier
	buffer_gl0_inv
	v_lshlrev_b32_e32 v6, 4, v6
	v_add_nc_u32_e32 v7, v45, v11
	ds_read_b128 v[7:10], v7
	ds_read_b128 v[11:14], v11 offset:18176
	v_add_nc_u32_e32 v18, v45, v6
	ds_read_b128 v[24:27], v18
	ds_read_b128 v[28:31], v6 offset:18176
	v_lshlrev_b32_e32 v6, 4, v23
	v_add_nc_u32_e32 v23, v45, v6
	ds_read_b128 v[32:35], v23
	ds_read_b128 v[47:50], v6 offset:18176
	s_waitcnt lgkmcnt(4)
	v_mul_f64 v[18:19], v[9:10], v[13:14]
	v_mul_f64 v[13:14], v[7:8], v[13:14]
	s_waitcnt lgkmcnt(2)
	v_mul_f64 v[36:37], v[26:27], v[30:31]
	v_mul_f64 v[30:31], v[24:25], v[30:31]
	v_fma_f64 v[18:19], v[7:8], v[11:12], -v[18:19]
	v_fma_f64 v[51:52], v[9:10], v[11:12], v[13:14]
	v_lshlrev_b32_e32 v10, 4, v22
	s_waitcnt lgkmcnt(0)
	v_mul_f64 v[22:23], v[34:35], v[49:50]
	v_mul_f64 v[49:50], v[32:33], v[49:50]
	v_fma_f64 v[24:25], v[24:25], v[28:29], -v[36:37]
	v_add_nc_u32_e32 v6, v45, v10
	v_fma_f64 v[26:27], v[26:27], v[28:29], v[30:31]
	ds_read_b128 v[6:9], v6
	ds_read_b128 v[10:13], v10 offset:18176
	v_add_f64 v[18:19], v[18:19], 0
	v_add_f64 v[28:29], v[51:52], 0
	v_fma_f64 v[22:23], v[32:33], v[47:48], -v[22:23]
	v_fma_f64 v[32:33], v[34:35], v[47:48], v[49:50]
	s_waitcnt lgkmcnt(0)
	v_mul_f64 v[30:31], v[8:9], v[12:13]
	v_mul_f64 v[12:13], v[6:7], v[12:13]
	v_add_f64 v[18:19], v[18:19], v[24:25]
	v_add_f64 v[24:25], v[28:29], v[26:27]
	v_fma_f64 v[6:7], v[6:7], v[10:11], -v[30:31]
	v_fma_f64 v[8:9], v[8:9], v[10:11], v[12:13]
	v_add_f64 v[10:11], v[18:19], v[22:23]
	v_add_f64 v[12:13], v[24:25], v[32:33]
	ds_read_b128 v[30:33], v21 offset:512
	ds_read_b128 v[22:25], v21 offset:528
	v_add_f64 v[47:48], v[10:11], v[6:7]
	v_add_f64 v[49:50], v[12:13], v[8:9]
	ds_read_b128 v[10:13], v21 offset:544
	ds_read_b128 v[6:9], v21 offset:560
	ds_read_b128 v[34:37], v15
	ds_read_b128 v[26:29], v16
	;; [unrolled: 1-line block ×4, first 2 shown]
	s_waitcnt lgkmcnt(0)
	s_barrier
	buffer_gl0_inv
	ds_write_b128 v46, v[47:50]
	s_waitcnt lgkmcnt(0)
	s_barrier
	buffer_gl0_inv
	s_and_saveexec_b32 s3, s2
	s_cbranch_execz .LBB123_94
; %bb.93:
	ds_read_b128 v[47:50], v45
	ds_read_b128 v[51:54], v45 offset:16
	s_waitcnt lgkmcnt(1)
	v_add_f64 v[2:3], v[2:3], v[47:48]
	v_add_f64 v[4:5], v[4:5], v[49:50]
	s_waitcnt lgkmcnt(0)
	v_add_f64 v[51:52], v[2:3], v[51:52]
	v_add_f64 v[53:54], v[4:5], v[53:54]
	ds_read_b128 v[2:5], v45 offset:32
	ds_read_b128 v[47:50], v45 offset:48
	s_waitcnt lgkmcnt(1)
	v_add_f64 v[2:3], v[51:52], v[2:3]
	v_add_f64 v[4:5], v[53:54], v[4:5]
	s_waitcnt lgkmcnt(0)
	v_add_f64 v[51:52], v[2:3], v[47:48]
	v_add_f64 v[53:54], v[4:5], v[49:50]
	ds_read_b128 v[2:5], v45 offset:64
	;; [unrolled: 8-line block ×3, first 2 shown]
	ds_read_b128 v[47:50], v45 offset:112
	s_waitcnt lgkmcnt(1)
	v_add_f64 v[2:3], v[51:52], v[2:3]
	v_add_f64 v[4:5], v[53:54], v[4:5]
	s_waitcnt lgkmcnt(0)
	v_add_f64 v[2:3], v[2:3], v[47:48]
	v_add_f64 v[4:5], v[4:5], v[49:50]
.LBB123_94:
	s_or_b32 exec_lo, exec_lo, s3
	v_mul_f64 v[47:48], v[32:33], v[36:37]
	v_mul_f64 v[36:37], v[30:31], v[36:37]
	;; [unrolled: 1-line block ×4, first 2 shown]
	s_barrier
	buffer_gl0_inv
	v_fma_f64 v[30:31], v[30:31], v[34:35], -v[47:48]
	v_fma_f64 v[32:33], v[32:33], v[34:35], v[36:37]
	v_mul_f64 v[34:35], v[12:13], v[20:21]
	v_mul_f64 v[20:21], v[10:11], v[20:21]
	v_fma_f64 v[22:23], v[22:23], v[26:27], -v[49:50]
	v_fma_f64 v[24:25], v[24:25], v[26:27], v[28:29]
	v_add_f64 v[26:27], v[30:31], 0
	v_add_f64 v[28:29], v[32:33], 0
	v_mul_f64 v[30:31], v[8:9], v[16:17]
	v_mul_f64 v[16:17], v[6:7], v[16:17]
	v_fma_f64 v[10:11], v[10:11], v[18:19], -v[34:35]
	v_fma_f64 v[12:13], v[12:13], v[18:19], v[20:21]
	v_add_f64 v[18:19], v[26:27], v[22:23]
	v_add_f64 v[20:21], v[28:29], v[24:25]
	v_fma_f64 v[6:7], v[6:7], v[14:15], -v[30:31]
	v_fma_f64 v[8:9], v[8:9], v[14:15], v[16:17]
	v_add_f64 v[10:11], v[18:19], v[10:11]
	v_add_f64 v[12:13], v[20:21], v[12:13]
	v_add_f64 v[6:7], v[10:11], v[6:7]
	v_add_f64 v[8:9], v[12:13], v[8:9]
	ds_write_b128 v46, v[6:9]
	s_waitcnt lgkmcnt(0)
	s_barrier
	buffer_gl0_inv
	s_and_saveexec_b32 s2, s1
	s_cbranch_execz .LBB123_96
; %bb.95:
	ds_read_b128 v[6:9], v45
	ds_read_b128 v[10:13], v45 offset:16
	s_waitcnt lgkmcnt(1)
	v_add_f64 v[2:3], v[2:3], v[6:7]
	v_add_f64 v[4:5], v[4:5], v[8:9]
	s_waitcnt lgkmcnt(0)
	v_add_f64 v[10:11], v[2:3], v[10:11]
	v_add_f64 v[12:13], v[4:5], v[12:13]
	ds_read_b128 v[2:5], v45 offset:32
	ds_read_b128 v[6:9], v45 offset:48
	s_waitcnt lgkmcnt(1)
	v_add_f64 v[2:3], v[10:11], v[2:3]
	v_add_f64 v[4:5], v[12:13], v[4:5]
	s_waitcnt lgkmcnt(0)
	v_add_f64 v[10:11], v[2:3], v[6:7]
	v_add_f64 v[12:13], v[4:5], v[8:9]
	ds_read_b128 v[2:5], v45 offset:64
	;; [unrolled: 8-line block ×3, first 2 shown]
	ds_read_b128 v[6:9], v45 offset:112
	s_waitcnt lgkmcnt(1)
	v_add_f64 v[2:3], v[10:11], v[2:3]
	v_add_f64 v[4:5], v[12:13], v[4:5]
	s_waitcnt lgkmcnt(0)
	v_add_f64 v[2:3], v[2:3], v[6:7]
	v_add_f64 v[4:5], v[4:5], v[8:9]
.LBB123_96:
	s_or_b32 exec_lo, exec_lo, s2
	s_mul_hi_u32 s1, s9, s7
	s_mul_i32 s27, s27, s7
	s_mul_i32 s2, s9, s7
	s_add_i32 s1, s1, s27
	s_mul_hi_u32 s3, s2, s24
	s_mul_i32 s1, s1, s24
	s_mul_i32 s2, s2, s24
	s_add_i32 s3, s3, s1
	s_mul_hi_i32 s5, s9, s6
	s_lshl_b64 s[2:3], s[2:3], 4
	s_mul_i32 s4, s9, s6
	s_add_u32 s1, s14, s2
	s_addc_u32 s8, s15, s3
	s_lshl_b64 s[2:3], s[4:5], 4
	v_lshlrev_b32_e32 v170, 4, v0
	s_add_u32 s7, s1, s2
	s_addc_u32 s11, s8, s3
	s_add_i32 s2, s6, 1
	s_cmp_ge_u32 s2, s24
	s_barrier
	buffer_gl0_inv
	s_cbranch_scc1 .LBB123_154
; %bb.97:
	v_lshlrev_b32_e32 v171, 2, v1
	v_lshrrev_b32_e32 v8, 4, v44
	s_mul_i32 s4, s26, s22
	v_and_b32_e32 v9, 15, v0
	v_and_b32_e32 v11, 48, v0
	v_mad_u64_u32 v[6:7], null, s12, v171, v[0:1]
	v_lshlrev_b32_e32 v10, 6, v8
	s_ashr_i32 s5, s4, 31
	v_mul_i32_i24_e32 v12, 0xffffffd0, v8
	s_lshl_b64 s[4:5], s[4:5], 4
	s_lshl_b32 s14, s12, 4
	v_mad_u32_u24 v178, 0x430, v9, v10
	v_ashrrev_i32_e32 v7, 31, v6
	v_lshlrev_b32_e32 v10, 4, v11
	v_or_b32_e32 v11, 0xf0, v170
	v_sub_co_u32 v172, vcc_lo, v38, s4
	v_subrev_co_ci_u32_e64 v173, null, s5, v39, vcc_lo
	v_add_co_u32 v8, vcc_lo, s18, v6
	v_mad_u32_u24 v179, 0x430, v9, v10
	v_mad_u32_u24 v180, 0x430, v9, v11
	v_add_co_ci_u32_e64 v9, null, s19, v7, vcc_lo
	v_lshlrev_b64 v[6:7], 4, v[6:7]
	s_mul_i32 s30, s12, 3
	s_ashr_i32 s13, s12, 31
	v_lshlrev_b64 v[8:9], 4, v[8:9]
	s_ashr_i32 s31, s30, 31
	v_sub_co_u32 v195, vcc_lo, 0, v40
	s_lshl_b32 s21, s26, 6
	s_ashr_i32 s15, s14, 31
	v_mad_i64_i32 v[10:11], null, s14, 48, v[8:9]
	s_lshl_b32 s28, s12, 1
	s_mul_i32 s26, s26, s2
	s_lshl_b64 s[2:3], s[12:13], 4
	v_sub_co_ci_u32_e64 v196, null, 0, v41, vcc_lo
	v_add_co_u32 v13, vcc_lo, s16, v6
	s_mul_i32 s5, s12, 0x300
	s_lshl_b64 s[18:19], s[30:31], 4
	s_lshl_b64 s[12:13], s[12:13], 5
	s_add_i32 s20, s24, -2
	s_ashr_i32 s29, s28, 31
	s_lshl_b32 s4, s26, 6
	s_lshl_b64 s[8:9], s[14:15], 6
	v_add_co_ci_u32_e64 v14, null, s17, v7, vcc_lo
	v_add_co_u32 v15, vcc_lo, v10, s18
	s_add_u32 s30, s12, s16
	s_mul_hi_i32 s22, s14, 48
	s_addc_u32 s31, s13, s17
	v_add_co_ci_u32_e64 v16, null, s19, v11, vcc_lo
	v_add_co_u32 v17, vcc_lo, s30, v6
	s_add_u32 s5, s5, s12
	s_addc_u32 s12, s22, s13
	v_add_co_ci_u32_e64 v18, null, s31, v7, vcc_lo
	v_add_co_u32 v8, vcc_lo, s5, v8
	s_add_u32 s5, s2, s16
	v_add_co_ci_u32_e64 v9, null, s12, v9, vcc_lo
	s_addc_u32 s22, s3, s17
	v_add_co_u32 v19, vcc_lo, s5, v6
	s_lshl_b64 s[12:13], s[28:29], 4
	v_add_co_ci_u32_e64 v20, null, s22, v7, vcc_lo
	v_add_co_u32 v21, vcc_lo, v10, s12
	s_add_u32 s26, s16, s12
	v_add_co_ci_u32_e64 v22, null, s13, v11, vcc_lo
	s_addc_u32 s27, s17, s13
	v_add_co_u32 v23, vcc_lo, s26, v6
	v_add_co_ci_u32_e64 v24, null, s27, v7, vcc_lo
	v_add_co_u32 v25, vcc_lo, v10, s2
	s_add_u32 s26, s16, s18
	v_add_co_ci_u32_e64 v26, null, s3, v11, vcc_lo
	s_addc_u32 s27, s17, s19
	v_add_co_u32 v27, vcc_lo, s26, v6
	v_add_co_ci_u32_e64 v28, null, s27, v7, vcc_lo
	s_lshl_b64 s[26:27], s[14:15], 4
	v_add_co_u32 v197, vcc_lo, v42, v10
	s_add_u32 s28, s16, s26
	s_addc_u32 s29, s17, s27
	s_lshl_b64 s[14:15], s[14:15], 5
	v_add_co_ci_u32_e64 v198, null, v43, v11, vcc_lo
	s_add_u32 s16, s14, s16
	s_addc_u32 s17, s15, s17
	v_add_co_u32 v10, vcc_lo, s28, v6
	s_add_u32 s33, s16, s18
	s_addc_u32 s34, s17, s19
	v_add_co_ci_u32_e64 v11, null, s29, v7, vcc_lo
	v_add_co_u32 v29, vcc_lo, s33, v6
	s_add_u32 s5, s5, s26
	s_addc_u32 s22, s22, s27
	v_add_co_ci_u32_e64 v30, null, s34, v7, vcc_lo
	v_add_co_u32 v31, vcc_lo, s5, v6
	s_add_u32 s5, s30, s14
	v_add_co_ci_u32_e64 v32, null, s22, v7, vcc_lo
	s_addc_u32 s14, s31, s15
	v_add_co_u32 v33, vcc_lo, s5, v6
	s_add_u32 s5, s28, s12
	v_add_co_ci_u32_e64 v34, null, s14, v7, vcc_lo
	s_addc_u32 s14, s29, s13
	;; [unrolled: 4-line block ×4, first 2 shown]
	v_add_co_u32 v39, vcc_lo, s5, v6
	s_add_u32 s2, s16, s2
	s_addc_u32 s3, s17, s3
	v_add_co_ci_u32_e64 v40, null, s12, v7, vcc_lo
	v_add_co_u32 v41, vcc_lo, s2, v6
	s_add_u32 s2, s28, s18
	v_cmp_gt_u32_e64 s1, 64, v44
	v_add_co_ci_u32_e64 v44, null, s3, v7, vcc_lo
	s_addc_u32 s3, s29, s19
	v_add_co_u32 v45, vcc_lo, s2, v6
	v_add_co_ci_u32_e64 v46, null, s3, v7, vcc_lo
	v_add_co_u32 v6, vcc_lo, s16, v6
	v_add_co_ci_u32_e64 v7, null, s17, v7, vcc_lo
	;; [unrolled: 2-line block ×31, first 2 shown]
	v_add_co_u32 v236, vcc_lo, v6, 8
	v_add_nc_u32_e32 v174, 0x4300, v170
	v_lshl_add_u32 v175, v1, 6, 0x4300
	v_add_nc_u32_e32 v176, 0x4700, v170
	v_mad_u32_u24 v177, 0x10c0, v1, v170
	v_or_b32_e32 v181, 1, v171
	v_or_b32_e32 v182, 2, v171
	;; [unrolled: 1-line block ×3, first 2 shown]
	v_add_nc_u32_e32 v184, 16, v171
	v_add_nc_u32_e32 v185, 17, v171
	v_add_nc_u32_e32 v186, 18, v171
	v_add_nc_u32_e32 v187, 19, v171
	v_add_nc_u32_e32 v188, 32, v171
	v_add_nc_u32_e32 v189, 33, v171
	v_add_nc_u32_e32 v190, 34, v171
	v_add_nc_u32_e32 v191, 35, v171
	v_add_nc_u32_e32 v192, 48, v171
	v_add_nc_u32_e32 v193, 49, v171
	v_add_nc_u32_e32 v194, 50, v171
	v_add_nc_u32_e32 v199, 51, v171
	v_add_nc_u32_e32 v168, 64, v167
	v_add_co_ci_u32_e64 v237, null, 0, v7, vcc_lo
	v_add_nc_u32_e32 v238, v178, v12
	v_mov_b32_e32 v6, 0
	s_cmp_eq_u32 s20, s6
	s_cselect_b32 s3, s25, 0
	s_and_saveexec_b32 s2, s0
	s_cbranch_execz .LBB123_102
.LBB123_98:
	v_cmp_le_i32_e32 vcc_lo, s3, v0
	s_cmp_lg_u32 s3, 0
	s_cselect_b32 s5, -1, 0
	s_and_b32 s5, s5, vcc_lo
	s_and_saveexec_b32 s12, s5
	s_xor_b32 s5, exec_lo, s12
	s_cbranch_execz .LBB123_100
; %bb.99:
	v_mov_b32_e32 v7, v6
	v_mov_b32_e32 v8, v6
	;; [unrolled: 1-line block ×3, first 2 shown]
	ds_write_b128 v174, v[6:9]
.LBB123_100:
	s_andn2_saveexec_b32 s5, s5
	s_cbranch_execz .LBB123_102
; %bb.101:
	s_ashr_i32 s5, s4, 31
	s_lshl_b64 s[12:13], s[4:5], 4
	v_add_co_u32 v7, vcc_lo, v172, s12
	v_add_co_ci_u32_e64 v8, null, s13, v173, vcc_lo
	global_load_dwordx4 v[7:10], v[7:8], off
	s_waitcnt vmcnt(0)
	ds_write2_b64 v174, v[7:8], v[9:10] offset1:1
.LBB123_102:                            ; =>This Inner Loop Header: Depth=1
	s_or_b32 exec_lo, exec_lo, s2
	s_cmp_eq_u32 s3, 0
	v_add_co_u32 v19, vcc_lo, v216, v195
	s_cselect_b32 s5, -1, 0
	s_cmp_lg_u32 s3, 0
	v_add_co_ci_u32_e64 v20, null, v217, v196, vcc_lo
	s_cselect_b32 s2, -1, 0
	s_waitcnt lgkmcnt(0)
	s_and_b32 vcc_lo, exec_lo, s2
	s_barrier
	buffer_gl0_inv
	s_cbranch_vccz .LBB123_110
; %bb.103:                              ;   in Loop: Header=BB123_102 Depth=1
	v_mov_b32_e32 v7, 0
	v_mov_b32_e32 v11, 0
	;; [unrolled: 1-line block ×6, first 2 shown]
	s_mov_b32 s12, exec_lo
	v_cmpx_gt_i32_e64 s3, v171
	s_cbranch_execz .LBB123_105
; %bb.104:                              ;   in Loop: Header=BB123_102 Depth=1
	global_load_dwordx4 v[11:14], v[19:20], off offset:-8
.LBB123_105:                            ;   in Loop: Header=BB123_102 Depth=1
	s_or_b32 exec_lo, exec_lo, s12
	v_mov_b32_e32 v9, 0
	v_mov_b32_e32 v10, 0
	s_mov_b32 s12, exec_lo
	v_cmpx_gt_i32_e64 s3, v181
	s_cbranch_execz .LBB123_107
; %bb.106:                              ;   in Loop: Header=BB123_102 Depth=1
	v_add_co_u32 v7, vcc_lo, v220, v195
	v_add_co_ci_u32_e64 v8, null, v221, v196, vcc_lo
	global_load_dwordx4 v[7:10], v[7:8], off offset:-8
.LBB123_107:                            ;   in Loop: Header=BB123_102 Depth=1
	s_or_b32 exec_lo, exec_lo, s12
	v_mov_b32_e32 v15, 0
	v_mov_b32_e32 v17, 0
	v_mov_b32_e32 v16, 0
	v_mov_b32_e32 v18, 0
	s_mov_b32 s12, exec_lo
	v_cmpx_gt_i32_e64 s3, v182
	s_cbranch_execz .LBB123_109
; %bb.108:                              ;   in Loop: Header=BB123_102 Depth=1
	v_add_co_u32 v15, vcc_lo, v222, v195
	v_add_co_ci_u32_e64 v16, null, v223, v196, vcc_lo
	global_load_dwordx4 v[15:18], v[15:16], off offset:-8
.LBB123_109:                            ;   in Loop: Header=BB123_102 Depth=1
	s_or_b32 exec_lo, exec_lo, s12
	v_cmp_gt_i32_e64 s12, s3, v183
	s_branch .LBB123_112
.LBB123_110:                            ;   in Loop: Header=BB123_102 Depth=1
	s_mov_b32 s12, 0
                                        ; implicit-def: $vgpr17_vgpr18
                                        ; implicit-def: $vgpr9_vgpr10
                                        ; implicit-def: $vgpr13_vgpr14
	s_cbranch_execz .LBB123_112
; %bb.111:                              ;   in Loop: Header=BB123_102 Depth=1
	s_waitcnt vmcnt(0)
	v_add_co_u32 v7, vcc_lo, v220, v195
	v_add_co_ci_u32_e64 v8, null, v221, v196, vcc_lo
	v_add_co_u32 v15, vcc_lo, v202, v195
	v_add_co_ci_u32_e64 v16, null, v203, v196, vcc_lo
	global_load_dwordx4 v[11:14], v[19:20], off offset:-8
	global_load_dwordx4 v[7:10], v[7:8], off offset:-8
	global_load_dwordx4 v[15:18], v[15:16], off
	s_or_b32 s12, s12, exec_lo
.LBB123_112:                            ;   in Loop: Header=BB123_102 Depth=1
	v_mov_b32_e32 v19, 0
	v_mov_b32_e32 v21, 0
	;; [unrolled: 1-line block ×4, first 2 shown]
	s_and_saveexec_b32 s13, s12
	s_cbranch_execz .LBB123_114
; %bb.113:                              ;   in Loop: Header=BB123_102 Depth=1
	v_add_co_u32 v19, vcc_lo, v224, v195
	v_add_co_ci_u32_e64 v20, null, v225, v196, vcc_lo
	global_load_dwordx4 v[19:22], v[19:20], off offset:-8
.LBB123_114:                            ;   in Loop: Header=BB123_102 Depth=1
	s_or_b32 exec_lo, exec_lo, s13
	ds_read_b128 v[23:26], v176
	v_cndmask_b32_e64 v95, 0, 1, s2
	s_waitcnt vmcnt(0) lgkmcnt(0)
	v_mul_f64 v[27:28], v[13:14], v[25:26]
	v_mul_f64 v[29:30], v[11:12], v[25:26]
	;; [unrolled: 1-line block ×8, first 2 shown]
	v_fma_f64 v[39:40], v[11:12], v[23:24], -v[27:28]
	v_fma_f64 v[41:42], v[13:14], v[23:24], v[29:30]
	v_fma_f64 v[43:44], v[7:8], v[23:24], -v[31:32]
	v_fma_f64 v[45:46], v[9:10], v[23:24], v[33:34]
	;; [unrolled: 2-line block ×4, first 2 shown]
	ds_read_b128 v[35:38], v175
	ds_read_b128 v[31:34], v175 offset:16
	ds_read_b128 v[27:30], v175 offset:32
	;; [unrolled: 1-line block ×3, first 2 shown]
	ds_write_b128 v177, v[39:42]
	ds_write_b128 v177, v[43:46] offset:1072
	ds_write_b128 v177, v[47:50] offset:2144
	;; [unrolled: 1-line block ×3, first 2 shown]
	s_waitcnt lgkmcnt(0)
	s_barrier
	buffer_gl0_inv
	ds_read_b128 v[131:134], v178
	ds_read_b128 v[127:130], v178 offset:16
	ds_read_b128 v[123:126], v178 offset:32
	;; [unrolled: 1-line block ×3, first 2 shown]
	v_add_co_u32 v51, vcc_lo, v226, v195
	v_add_co_ci_u32_e64 v52, null, v227, v196, vcc_lo
	s_andn2_b32 vcc_lo, exec_lo, s2
	s_waitcnt lgkmcnt(0)
	s_barrier
	buffer_gl0_inv
	s_cbranch_vccnz .LBB123_122
; %bb.115:                              ;   in Loop: Header=BB123_102 Depth=1
	v_mov_b32_e32 v39, 0
	v_mov_b32_e32 v43, 0
	;; [unrolled: 1-line block ×6, first 2 shown]
	s_mov_b32 s2, exec_lo
	v_cmpx_gt_i32_e64 s3, v184
	s_cbranch_execz .LBB123_117
; %bb.116:                              ;   in Loop: Header=BB123_102 Depth=1
	global_load_dwordx4 v[43:46], v[51:52], off offset:-8
.LBB123_117:                            ;   in Loop: Header=BB123_102 Depth=1
	s_or_b32 exec_lo, exec_lo, s2
	v_mov_b32_e32 v41, 0
	v_mov_b32_e32 v42, 0
	s_mov_b32 s2, exec_lo
	v_cmpx_gt_i32_e64 s3, v185
	s_cbranch_execz .LBB123_119
; %bb.118:                              ;   in Loop: Header=BB123_102 Depth=1
	v_add_co_u32 v39, vcc_lo, v228, v195
	v_add_co_ci_u32_e64 v40, null, v229, v196, vcc_lo
	global_load_dwordx4 v[39:42], v[39:40], off offset:-8
.LBB123_119:                            ;   in Loop: Header=BB123_102 Depth=1
	s_or_b32 exec_lo, exec_lo, s2
	v_mov_b32_e32 v47, 0
	v_mov_b32_e32 v49, 0
	;; [unrolled: 1-line block ×4, first 2 shown]
	s_mov_b32 s2, exec_lo
	v_cmpx_gt_i32_e64 s3, v186
	s_cbranch_execz .LBB123_121
; %bb.120:                              ;   in Loop: Header=BB123_102 Depth=1
	v_add_co_u32 v47, vcc_lo, v232, v195
	v_add_co_ci_u32_e64 v48, null, v233, v196, vcc_lo
	global_load_dwordx4 v[47:50], v[47:48], off offset:-8
.LBB123_121:                            ;   in Loop: Header=BB123_102 Depth=1
	s_or_b32 exec_lo, exec_lo, s2
	v_cmp_gt_i32_e64 s2, s3, v187
	s_branch .LBB123_124
.LBB123_122:                            ;   in Loop: Header=BB123_102 Depth=1
	s_mov_b32 s2, 0
                                        ; implicit-def: $vgpr49_vgpr50
                                        ; implicit-def: $vgpr41_vgpr42
                                        ; implicit-def: $vgpr45_vgpr46
	s_cbranch_execz .LBB123_124
; %bb.123:                              ;   in Loop: Header=BB123_102 Depth=1
	s_waitcnt vmcnt(0)
	v_add_co_u32 v39, vcc_lo, v228, v195
	v_add_co_ci_u32_e64 v40, null, v229, v196, vcc_lo
	v_add_co_u32 v47, vcc_lo, v212, v195
	v_add_co_ci_u32_e64 v48, null, v213, v196, vcc_lo
	global_load_dwordx4 v[43:46], v[51:52], off offset:-8
	global_load_dwordx4 v[39:42], v[39:40], off offset:-8
	global_load_dwordx4 v[47:50], v[47:48], off
	s_or_b32 s2, s2, exec_lo
.LBB123_124:                            ;   in Loop: Header=BB123_102 Depth=1
	v_mov_b32_e32 v51, 0
	v_mov_b32_e32 v53, 0
	;; [unrolled: 1-line block ×4, first 2 shown]
	s_and_saveexec_b32 s12, s2
	s_cbranch_execz .LBB123_126
; %bb.125:                              ;   in Loop: Header=BB123_102 Depth=1
	v_add_co_u32 v51, vcc_lo, v234, v195
	v_add_co_ci_u32_e64 v52, null, v235, v196, vcc_lo
	global_load_dwordx4 v[51:54], v[51:52], off offset:-8
.LBB123_126:                            ;   in Loop: Header=BB123_102 Depth=1
	s_or_b32 exec_lo, exec_lo, s12
	ds_read_b128 v[55:58], v176
	v_cmp_ne_u32_e32 vcc_lo, 1, v95
	s_and_b32 vcc_lo, exec_lo, vcc_lo
	s_waitcnt vmcnt(0) lgkmcnt(0)
	v_mul_f64 v[59:60], v[45:46], v[57:58]
	v_mul_f64 v[61:62], v[43:44], v[57:58]
	;; [unrolled: 1-line block ×8, first 2 shown]
	v_fma_f64 v[71:72], v[43:44], v[55:56], -v[59:60]
	v_fma_f64 v[73:74], v[45:46], v[55:56], v[61:62]
	v_fma_f64 v[75:76], v[39:40], v[55:56], -v[63:64]
	v_fma_f64 v[77:78], v[41:42], v[55:56], v[65:66]
	;; [unrolled: 2-line block ×4, first 2 shown]
	ds_read_b128 v[67:70], v175 offset:256
	ds_read_b128 v[63:66], v175 offset:272
	;; [unrolled: 1-line block ×4, first 2 shown]
	ds_write_b128 v177, v[71:74]
	ds_write_b128 v177, v[75:78] offset:1072
	ds_write_b128 v177, v[79:82] offset:2144
	;; [unrolled: 1-line block ×3, first 2 shown]
	s_waitcnt lgkmcnt(0)
	s_barrier
	buffer_gl0_inv
	ds_read_b128 v[147:150], v178
	ds_read_b128 v[143:146], v178 offset:16
	ds_read_b128 v[139:142], v178 offset:32
	;; [unrolled: 1-line block ×3, first 2 shown]
	v_add_co_u32 v83, s2, v236, v195
	v_add_co_ci_u32_e64 v84, null, v237, v196, s2
	s_waitcnt lgkmcnt(0)
	s_barrier
	buffer_gl0_inv
	s_cbranch_vccnz .LBB123_134
; %bb.127:                              ;   in Loop: Header=BB123_102 Depth=1
	v_mov_b32_e32 v71, 0
	v_mov_b32_e32 v75, 0
	;; [unrolled: 1-line block ×6, first 2 shown]
	s_mov_b32 s2, exec_lo
	v_cmpx_gt_i32_e64 s3, v188
	s_cbranch_execz .LBB123_129
; %bb.128:                              ;   in Loop: Header=BB123_102 Depth=1
	global_load_dwordx4 v[75:78], v[83:84], off offset:-8
.LBB123_129:                            ;   in Loop: Header=BB123_102 Depth=1
	s_or_b32 exec_lo, exec_lo, s2
	v_mov_b32_e32 v73, 0
	v_mov_b32_e32 v74, 0
	s_mov_b32 s2, exec_lo
	v_cmpx_gt_i32_e64 s3, v189
	s_cbranch_execz .LBB123_131
; %bb.130:                              ;   in Loop: Header=BB123_102 Depth=1
	v_add_co_u32 v71, vcc_lo, v214, v195
	v_add_co_ci_u32_e64 v72, null, v215, v196, vcc_lo
	global_load_dwordx4 v[71:74], v[71:72], off
.LBB123_131:                            ;   in Loop: Header=BB123_102 Depth=1
	s_or_b32 exec_lo, exec_lo, s2
	v_mov_b32_e32 v79, 0
	v_mov_b32_e32 v81, 0
	;; [unrolled: 1-line block ×4, first 2 shown]
	s_mov_b32 s2, exec_lo
	v_cmpx_gt_i32_e64 s3, v190
	s_cbranch_execz .LBB123_133
; %bb.132:                              ;   in Loop: Header=BB123_102 Depth=1
	v_add_co_u32 v79, vcc_lo, v210, v195
	v_add_co_ci_u32_e64 v80, null, v211, v196, vcc_lo
	global_load_dwordx4 v[79:82], v[79:80], off
.LBB123_133:                            ;   in Loop: Header=BB123_102 Depth=1
	s_or_b32 exec_lo, exec_lo, s2
	v_cmp_gt_i32_e64 s2, s3, v191
	s_branch .LBB123_136
.LBB123_134:                            ;   in Loop: Header=BB123_102 Depth=1
	s_mov_b32 s2, 0
                                        ; implicit-def: $vgpr81_vgpr82
                                        ; implicit-def: $vgpr73_vgpr74
                                        ; implicit-def: $vgpr77_vgpr78
	s_cbranch_execz .LBB123_136
; %bb.135:                              ;   in Loop: Header=BB123_102 Depth=1
	s_waitcnt vmcnt(0)
	v_add_co_u32 v71, vcc_lo, v214, v195
	v_add_co_ci_u32_e64 v72, null, v215, v196, vcc_lo
	v_add_co_u32 v79, vcc_lo, v230, v195
	v_add_co_ci_u32_e64 v80, null, v231, v196, vcc_lo
	global_load_dwordx4 v[75:78], v[83:84], off offset:-8
	global_load_dwordx4 v[71:74], v[71:72], off
	global_load_dwordx4 v[79:82], v[79:80], off offset:-8
	s_or_b32 s2, s2, exec_lo
.LBB123_136:                            ;   in Loop: Header=BB123_102 Depth=1
	v_mov_b32_e32 v83, 0
	v_mov_b32_e32 v85, 0
	;; [unrolled: 1-line block ×4, first 2 shown]
	s_and_saveexec_b32 s12, s2
	s_cbranch_execz .LBB123_138
; %bb.137:                              ;   in Loop: Header=BB123_102 Depth=1
	v_add_co_u32 v83, vcc_lo, v208, v195
	v_add_co_ci_u32_e64 v84, null, v209, v196, vcc_lo
	global_load_dwordx4 v[83:86], v[83:84], off
.LBB123_138:                            ;   in Loop: Header=BB123_102 Depth=1
	s_or_b32 exec_lo, exec_lo, s12
	ds_read_b128 v[87:90], v176
	v_cmp_ne_u32_e32 vcc_lo, 1, v95
	s_and_b32 vcc_lo, exec_lo, vcc_lo
	s_waitcnt vmcnt(0) lgkmcnt(0)
	v_mul_f64 v[91:92], v[77:78], v[89:90]
	v_mul_f64 v[93:94], v[75:76], v[89:90]
	;; [unrolled: 1-line block ×8, first 2 shown]
	v_fma_f64 v[107:108], v[75:76], v[87:88], -v[91:92]
	v_fma_f64 v[109:110], v[77:78], v[87:88], v[93:94]
	v_fma_f64 v[111:112], v[71:72], v[87:88], -v[96:97]
	v_fma_f64 v[113:114], v[73:74], v[87:88], v[98:99]
	;; [unrolled: 2-line block ×4, first 2 shown]
	ds_read_b128 v[103:106], v175 offset:512
	ds_read_b128 v[99:102], v175 offset:528
	;; [unrolled: 1-line block ×4, first 2 shown]
	ds_write_b128 v177, v[107:110]
	ds_write_b128 v177, v[111:114] offset:1072
	ds_write_b128 v177, v[115:118] offset:2144
	;; [unrolled: 1-line block ×3, first 2 shown]
	s_waitcnt lgkmcnt(0)
	s_barrier
	buffer_gl0_inv
	ds_read_b128 v[163:166], v178
	ds_read_b128 v[159:162], v178 offset:16
	ds_read_b128 v[155:158], v178 offset:32
	ds_read_b128 v[151:154], v178 offset:48
	v_add_co_u32 v115, s2, v197, v195
	v_add_co_ci_u32_e64 v116, null, v198, v196, s2
	s_waitcnt lgkmcnt(0)
	s_barrier
	buffer_gl0_inv
	s_cbranch_vccnz .LBB123_146
; %bb.139:                              ;   in Loop: Header=BB123_102 Depth=1
	v_mov_b32_e32 v95, 0
	v_mov_b32_e32 v107, 0
	v_mov_b32_e32 v109, 0
	v_mov_b32_e32 v96, 0
	v_mov_b32_e32 v108, 0
	v_mov_b32_e32 v110, 0
	s_mov_b32 s2, exec_lo
	v_cmpx_gt_i32_e64 s3, v192
	s_cbranch_execz .LBB123_141
; %bb.140:                              ;   in Loop: Header=BB123_102 Depth=1
	global_load_dwordx4 v[107:110], v[115:116], off
.LBB123_141:                            ;   in Loop: Header=BB123_102 Depth=1
	s_or_b32 exec_lo, exec_lo, s2
	v_mov_b32_e32 v97, 0
	v_mov_b32_e32 v98, 0
	s_mov_b32 s2, exec_lo
	v_cmpx_gt_i32_e64 s3, v193
	s_cbranch_execz .LBB123_143
; %bb.142:                              ;   in Loop: Header=BB123_102 Depth=1
	v_add_co_u32 v95, vcc_lo, v206, v195
	v_add_co_ci_u32_e64 v96, null, v207, v196, vcc_lo
	global_load_dwordx4 v[95:98], v[95:96], off
.LBB123_143:                            ;   in Loop: Header=BB123_102 Depth=1
	s_or_b32 exec_lo, exec_lo, s2
	v_mov_b32_e32 v111, 0
	v_mov_b32_e32 v113, 0
	;; [unrolled: 1-line block ×4, first 2 shown]
	s_mov_b32 s2, exec_lo
	v_cmpx_gt_i32_e64 s3, v194
	s_cbranch_execz .LBB123_145
; %bb.144:                              ;   in Loop: Header=BB123_102 Depth=1
	v_add_co_u32 v111, vcc_lo, v204, v195
	v_add_co_ci_u32_e64 v112, null, v205, v196, vcc_lo
	global_load_dwordx4 v[111:114], v[111:112], off
.LBB123_145:                            ;   in Loop: Header=BB123_102 Depth=1
	s_or_b32 exec_lo, exec_lo, s2
	v_cmp_gt_i32_e64 s2, s3, v199
	s_branch .LBB123_148
.LBB123_146:                            ;   in Loop: Header=BB123_102 Depth=1
	s_mov_b32 s2, 0
                                        ; implicit-def: $vgpr113_vgpr114
                                        ; implicit-def: $vgpr97_vgpr98
                                        ; implicit-def: $vgpr109_vgpr110
	s_cbranch_execz .LBB123_148
; %bb.147:                              ;   in Loop: Header=BB123_102 Depth=1
	s_waitcnt vmcnt(0)
	v_add_co_u32 v95, vcc_lo, v206, v195
	v_add_co_ci_u32_e64 v96, null, v207, v196, vcc_lo
	v_add_co_u32 v111, vcc_lo, v218, v195
	v_add_co_ci_u32_e64 v112, null, v219, v196, vcc_lo
	global_load_dwordx4 v[107:110], v[115:116], off
	global_load_dwordx4 v[95:98], v[95:96], off
	global_load_dwordx4 v[111:114], v[111:112], off offset:-8
	s_or_b32 s2, s2, exec_lo
.LBB123_148:                            ;   in Loop: Header=BB123_102 Depth=1
	v_mov_b32_e32 v115, 0
	v_mov_b32_e32 v117, 0
	;; [unrolled: 1-line block ×4, first 2 shown]
	s_and_saveexec_b32 s12, s2
	s_cbranch_execz .LBB123_150
; %bb.149:                              ;   in Loop: Header=BB123_102 Depth=1
	v_add_co_u32 v115, vcc_lo, v200, v195
	v_add_co_ci_u32_e64 v116, null, v201, v196, vcc_lo
	global_load_dwordx4 v[115:118], v[115:116], off
.LBB123_150:                            ;   in Loop: Header=BB123_102 Depth=1
	s_or_b32 exec_lo, exec_lo, s12
	v_add_f64 v[147:148], v[147:148], 0
	v_add_f64 v[149:150], v[149:150], 0
	;; [unrolled: 1-line block ×6, first 2 shown]
	v_cmp_gt_i32_e32 vcc_lo, s3, v0
	s_or_b32 s2, s5, vcc_lo
	s_and_b32 s3, s1, s2
	v_add_f64 v[143:144], v[147:148], v[143:144]
	v_add_f64 v[145:146], v[149:150], v[145:146]
	;; [unrolled: 1-line block ×16, first 2 shown]
	ds_read_b128 v[143:146], v176
	ds_read_b128 v[131:134], v175 offset:768
	ds_read_b128 v[127:130], v175 offset:784
	;; [unrolled: 1-line block ×4, first 2 shown]
	v_add_f64 v[151:152], v[155:156], v[151:152]
	v_add_f64 v[153:154], v[157:158], v[153:154]
	s_waitcnt vmcnt(0) lgkmcnt(4)
	v_mul_f64 v[147:148], v[109:110], v[145:146]
	v_mul_f64 v[149:150], v[107:108], v[145:146]
	v_fma_f64 v[147:148], v[107:108], v[143:144], -v[147:148]
	v_fma_f64 v[149:150], v[109:110], v[143:144], v[149:150]
	ds_write_b128 v177, v[147:150]
	v_mul_f64 v[147:148], v[97:98], v[145:146]
	v_mul_f64 v[149:150], v[95:96], v[145:146]
	v_fma_f64 v[147:148], v[95:96], v[143:144], -v[147:148]
	v_fma_f64 v[149:150], v[97:98], v[143:144], v[149:150]
	ds_write_b128 v177, v[147:150] offset:1072
	v_mul_f64 v[147:148], v[113:114], v[145:146]
	v_mul_f64 v[149:150], v[111:112], v[145:146]
	v_fma_f64 v[147:148], v[111:112], v[143:144], -v[147:148]
	v_fma_f64 v[149:150], v[113:114], v[143:144], v[149:150]
	ds_write_b128 v177, v[147:150] offset:2144
	;; [unrolled: 5-line block ×3, first 2 shown]
	s_waitcnt lgkmcnt(0)
	s_barrier
	buffer_gl0_inv
	ds_read_b128 v[143:146], v178
	ds_read_b128 v[147:150], v178 offset:16
	ds_read_b128 v[155:158], v178 offset:32
	;; [unrolled: 1-line block ×3, first 2 shown]
	s_waitcnt lgkmcnt(0)
	s_barrier
	buffer_gl0_inv
	v_add_f64 v[143:144], v[143:144], 0
	v_add_f64 v[145:146], v[145:146], 0
	;; [unrolled: 1-line block ×8, first 2 shown]
	ds_write_b128 v238, v[139:142]
	ds_write_b128 v238, v[135:138] offset:256
	ds_write_b128 v238, v[151:154] offset:512
	;; [unrolled: 1-line block ×3, first 2 shown]
	s_waitcnt lgkmcnt(0)
	s_barrier
	buffer_gl0_inv
	s_and_saveexec_b32 s2, s3
	s_cbranch_execz .LBB123_152
; %bb.151:                              ;   in Loop: Header=BB123_102 Depth=1
	ds_read_b128 v[135:138], v179
	ds_read_b128 v[139:142], v179 offset:16
	v_ashrrev_i32_e32 v169, 31, v168
	s_waitcnt lgkmcnt(0)
	v_add_f64 v[143:144], v[139:140], v[135:136]
	v_add_f64 v[145:146], v[141:142], v[137:138]
	ds_read_b128 v[135:138], v179 offset:32
	ds_read_b128 v[139:142], v179 offset:48
	s_waitcnt lgkmcnt(1)
	v_add_f64 v[135:136], v[143:144], v[135:136]
	v_add_f64 v[137:138], v[145:146], v[137:138]
	s_waitcnt lgkmcnt(0)
	v_add_f64 v[143:144], v[135:136], v[139:140]
	v_add_f64 v[145:146], v[137:138], v[141:142]
	ds_read_b128 v[135:138], v179 offset:64
	ds_read_b128 v[139:142], v179 offset:80
	s_waitcnt lgkmcnt(1)
	v_add_f64 v[135:136], v[143:144], v[135:136]
	v_add_f64 v[137:138], v[145:146], v[137:138]
	;; [unrolled: 8-line block ×6, first 2 shown]
	s_waitcnt lgkmcnt(0)
	v_add_f64 v[143:144], v[135:136], v[139:140]
	v_add_f64 v[145:146], v[137:138], v[141:142]
	ds_read_b128 v[135:138], v179 offset:224
	ds_read_b128 v[139:142], v180
	s_waitcnt lgkmcnt(1)
	v_add_f64 v[135:136], v[143:144], v[135:136]
	v_add_f64 v[137:138], v[145:146], v[137:138]
	s_waitcnt lgkmcnt(0)
	v_add_f64 v[135:136], v[135:136], v[139:140]
	v_add_f64 v[137:138], v[137:138], v[141:142]
	v_lshlrev_b64 v[139:140], 4, v[168:169]
	v_add_co_u32 v139, vcc_lo, s7, v139
	v_add_co_ci_u32_e64 v140, null, s11, v140, vcc_lo
	global_store_dwordx4 v[139:140], v[135:138], off
.LBB123_152:                            ;   in Loop: Header=BB123_102 Depth=1
	s_or_b32 exec_lo, exec_lo, s2
	v_mul_f64 v[135:136], v[13:14], v[37:38]
	v_mul_f64 v[37:38], v[11:12], v[37:38]
	;; [unrolled: 1-line block ×4, first 2 shown]
	v_add_co_u32 v216, vcc_lo, v216, s8
	v_add_co_ci_u32_e64 v217, null, s9, v217, vcc_lo
	v_add_co_u32 v200, vcc_lo, v200, s8
	v_add_co_ci_u32_e64 v201, null, s9, v201, vcc_lo
	;; [unrolled: 2-line block ×4, first 2 shown]
	v_add_co_u32 v220, vcc_lo, v220, s8
	v_fma_f64 v[11:12], v[11:12], v[35:36], -v[135:136]
	v_fma_f64 v[13:14], v[13:14], v[35:36], v[37:38]
	v_mul_f64 v[35:36], v[17:18], v[29:30]
	v_mul_f64 v[29:30], v[15:16], v[29:30]
	v_fma_f64 v[7:8], v[7:8], v[31:32], -v[137:138]
	v_fma_f64 v[9:10], v[9:10], v[31:32], v[33:34]
	v_add_co_ci_u32_e64 v221, null, s9, v221, vcc_lo
	v_add_co_u32 v204, vcc_lo, v204, s8
	v_add_co_ci_u32_e64 v205, null, s9, v205, vcc_lo
	v_add_co_u32 v222, vcc_lo, v222, s8
	;; [unrolled: 2-line block ×4, first 2 shown]
	v_add_f64 v[2:3], v[2:3], v[11:12]
	v_add_f64 v[4:5], v[4:5], v[13:14]
	v_mul_f64 v[11:12], v[21:22], v[25:26]
	v_mul_f64 v[13:14], v[19:20], v[25:26]
	v_fma_f64 v[15:16], v[15:16], v[27:28], -v[35:36]
	v_fma_f64 v[17:18], v[17:18], v[27:28], v[29:30]
	v_add_co_ci_u32_e64 v225, null, s9, v225, vcc_lo
	v_add_co_u32 v197, vcc_lo, v197, s8
	v_add_co_ci_u32_e64 v198, null, s9, v198, vcc_lo
	v_add_co_u32 v226, vcc_lo, v226, s8
	;; [unrolled: 2-line block ×4, first 2 shown]
	v_add_f64 v[2:3], v[2:3], v[7:8]
	v_add_f64 v[4:5], v[4:5], v[9:10]
	v_mul_f64 v[7:8], v[45:46], v[69:70]
	v_mul_f64 v[9:10], v[43:44], v[69:70]
	v_fma_f64 v[11:12], v[19:20], v[23:24], -v[11:12]
	v_fma_f64 v[13:14], v[21:22], v[23:24], v[13:14]
	v_mul_f64 v[19:20], v[117:118], v[121:122]
	v_mul_f64 v[21:22], v[115:116], v[121:122]
	v_add_co_ci_u32_e64 v229, null, s9, v229, vcc_lo
	v_add_co_u32 v230, vcc_lo, v230, s8
	v_add_co_ci_u32_e64 v231, null, s9, v231, vcc_lo
	v_add_co_u32 v232, vcc_lo, v232, s8
	;; [unrolled: 2-line block ×3, first 2 shown]
	v_add_co_ci_u32_e64 v211, null, s9, v211, vcc_lo
	v_add_f64 v[2:3], v[2:3], v[15:16]
	v_add_f64 v[4:5], v[4:5], v[17:18]
	v_mul_f64 v[15:16], v[41:42], v[65:66]
	v_mul_f64 v[17:18], v[39:40], v[65:66]
	v_fma_f64 v[7:8], v[43:44], v[67:68], -v[7:8]
	v_fma_f64 v[9:10], v[45:46], v[67:68], v[9:10]
	v_add_co_u32 v212, vcc_lo, v212, s8
	v_add_co_ci_u32_e64 v213, null, s9, v213, vcc_lo
	v_add_co_u32 v214, vcc_lo, v214, s8
	v_add_co_ci_u32_e64 v215, null, s9, v215, vcc_lo
	;; [unrolled: 2-line block ×3, first 2 shown]
	v_add_co_u32 v236, vcc_lo, v236, s8
	v_add_nc_u32_e32 v168, 64, v168
	v_add_co_ci_u32_e64 v237, null, s9, v237, vcc_lo
	v_add_f64 v[2:3], v[2:3], v[11:12]
	v_add_f64 v[4:5], v[4:5], v[13:14]
	v_mul_f64 v[11:12], v[49:50], v[61:62]
	v_mul_f64 v[13:14], v[47:48], v[61:62]
	v_fma_f64 v[15:16], v[39:40], v[63:64], -v[15:16]
	v_fma_f64 v[17:18], v[41:42], v[63:64], v[17:18]
	s_add_i32 s3, s6, 2
	s_add_i32 s2, s6, 1
	;; [unrolled: 1-line block ×3, first 2 shown]
	s_cmp_ge_u32 s3, s24
	s_waitcnt_vscnt null, 0x0
	s_barrier
	buffer_gl0_inv
	v_add_f64 v[2:3], v[2:3], v[7:8]
	v_add_f64 v[4:5], v[4:5], v[9:10]
	v_mul_f64 v[7:8], v[53:54], v[57:58]
	v_mul_f64 v[9:10], v[51:52], v[57:58]
	v_fma_f64 v[11:12], v[47:48], v[59:60], -v[11:12]
	v_fma_f64 v[13:14], v[49:50], v[59:60], v[13:14]
	v_add_f64 v[2:3], v[2:3], v[15:16]
	v_add_f64 v[4:5], v[4:5], v[17:18]
	v_mul_f64 v[15:16], v[77:78], v[105:106]
	v_mul_f64 v[17:18], v[75:76], v[105:106]
	v_fma_f64 v[7:8], v[51:52], v[55:56], -v[7:8]
	v_fma_f64 v[9:10], v[53:54], v[55:56], v[9:10]
	v_add_f64 v[2:3], v[2:3], v[11:12]
	v_add_f64 v[4:5], v[4:5], v[13:14]
	v_mul_f64 v[11:12], v[73:74], v[101:102]
	v_mul_f64 v[13:14], v[71:72], v[101:102]
	v_fma_f64 v[15:16], v[75:76], v[103:104], -v[15:16]
	v_fma_f64 v[17:18], v[77:78], v[103:104], v[17:18]
	v_add_f64 v[2:3], v[2:3], v[7:8]
	v_add_f64 v[4:5], v[4:5], v[9:10]
	v_mul_f64 v[7:8], v[81:82], v[93:94]
	v_mul_f64 v[9:10], v[79:80], v[93:94]
	v_fma_f64 v[11:12], v[71:72], v[99:100], -v[11:12]
	v_fma_f64 v[13:14], v[73:74], v[99:100], v[13:14]
	v_add_f64 v[2:3], v[2:3], v[15:16]
	v_add_f64 v[4:5], v[4:5], v[17:18]
	v_mul_f64 v[15:16], v[85:86], v[89:90]
	v_mul_f64 v[17:18], v[83:84], v[89:90]
	v_fma_f64 v[7:8], v[79:80], v[91:92], -v[7:8]
	v_fma_f64 v[9:10], v[81:82], v[91:92], v[9:10]
	v_add_f64 v[2:3], v[2:3], v[11:12]
	v_add_f64 v[4:5], v[4:5], v[13:14]
	v_mul_f64 v[11:12], v[109:110], v[133:134]
	v_mul_f64 v[13:14], v[107:108], v[133:134]
	v_fma_f64 v[15:16], v[83:84], v[87:88], -v[15:16]
	v_fma_f64 v[17:18], v[85:86], v[87:88], v[17:18]
	v_add_f64 v[2:3], v[2:3], v[7:8]
	v_add_f64 v[4:5], v[4:5], v[9:10]
	v_mul_f64 v[7:8], v[97:98], v[129:130]
	v_mul_f64 v[9:10], v[95:96], v[129:130]
	v_fma_f64 v[11:12], v[107:108], v[131:132], -v[11:12]
	v_fma_f64 v[13:14], v[109:110], v[131:132], v[13:14]
	v_add_f64 v[2:3], v[2:3], v[15:16]
	v_add_f64 v[4:5], v[4:5], v[17:18]
	v_mul_f64 v[15:16], v[113:114], v[125:126]
	v_mul_f64 v[17:18], v[111:112], v[125:126]
	v_fma_f64 v[7:8], v[95:96], v[127:128], -v[7:8]
	v_fma_f64 v[9:10], v[97:98], v[127:128], v[9:10]
	v_add_f64 v[2:3], v[2:3], v[11:12]
	v_add_f64 v[4:5], v[4:5], v[13:14]
	v_fma_f64 v[11:12], v[111:112], v[123:124], -v[15:16]
	v_fma_f64 v[13:14], v[113:114], v[123:124], v[17:18]
	v_add_f64 v[2:3], v[2:3], v[7:8]
	v_add_f64 v[4:5], v[4:5], v[9:10]
	v_fma_f64 v[7:8], v[115:116], v[119:120], -v[19:20]
	v_fma_f64 v[9:10], v[117:118], v[119:120], v[21:22]
	v_add_f64 v[2:3], v[2:3], v[11:12]
	v_add_f64 v[4:5], v[4:5], v[13:14]
	;; [unrolled: 1-line block ×4, first 2 shown]
	s_cbranch_scc1 .LBB123_154
; %bb.153:                              ;   in Loop: Header=BB123_102 Depth=1
	s_mov_b32 s6, s2
	s_cmp_eq_u32 s20, s6
	s_cselect_b32 s3, s25, 0
	s_and_saveexec_b32 s2, s0
	s_cbranch_execnz .LBB123_98
	s_branch .LBB123_102
.LBB123_154:
	v_cmp_gt_i32_e32 vcc_lo, s10, v0
	v_mad_u32_u24 v1, 0x430, v1, v170
	s_or_b32 s1, s23, vcc_lo
	ds_write_b128 v1, v[2:5]
	s_and_b32 s0, s0, s1
	s_waitcnt lgkmcnt(0)
	s_barrier
	buffer_gl0_inv
	s_and_saveexec_b32 s1, s0
	s_cbranch_execz .LBB123_156
; %bb.155:
	ds_read_b128 v[0:3], v170 offset:1072
	ds_read_b128 v[4:7], v170
	v_ashrrev_i32_e32 v168, 31, v167
	s_waitcnt lgkmcnt(0)
	v_add_f64 v[8:9], v[0:1], v[4:5]
	v_add_f64 v[10:11], v[2:3], v[6:7]
	ds_read_b128 v[0:3], v170 offset:2144
	ds_read_b128 v[4:7], v170 offset:3216
	s_waitcnt lgkmcnt(1)
	v_add_f64 v[0:1], v[8:9], v[0:1]
	v_add_f64 v[2:3], v[10:11], v[2:3]
	s_waitcnt lgkmcnt(0)
	v_add_f64 v[0:1], v[0:1], v[4:5]
	v_add_f64 v[2:3], v[2:3], v[6:7]
	v_lshlrev_b64 v[4:5], 4, v[167:168]
	v_add_co_u32 v4, vcc_lo, s7, v4
	v_add_co_ci_u32_e64 v5, null, s11, v5, vcc_lo
	global_store_dwordx4 v[4:5], v[0:3], off
.LBB123_156:
	s_endpgm
	.section	.rodata,"a",@progbits
	.p2align	6, 0x0
	.amdhsa_kernel _ZL26rocblas_hemvn_kernel_upperILb0ELi64ELi4ELi33ELi32ELi16EiPK19rocblas_complex_numIdES3_PS1_EviT6_lT7_lT5_lS6_lS7_lS5_lT8_i
		.amdhsa_group_segment_fixed_size 19200
		.amdhsa_private_segment_fixed_size 0
		.amdhsa_kernarg_size 376
		.amdhsa_user_sgpr_count 6
		.amdhsa_user_sgpr_private_segment_buffer 1
		.amdhsa_user_sgpr_dispatch_ptr 0
		.amdhsa_user_sgpr_queue_ptr 0
		.amdhsa_user_sgpr_kernarg_segment_ptr 1
		.amdhsa_user_sgpr_dispatch_id 0
		.amdhsa_user_sgpr_flat_scratch_init 0
		.amdhsa_user_sgpr_private_segment_size 0
		.amdhsa_wavefront_size32 1
		.amdhsa_uses_dynamic_stack 0
		.amdhsa_system_sgpr_private_segment_wavefront_offset 0
		.amdhsa_system_sgpr_workgroup_id_x 1
		.amdhsa_system_sgpr_workgroup_id_y 0
		.amdhsa_system_sgpr_workgroup_id_z 1
		.amdhsa_system_sgpr_workgroup_info 0
		.amdhsa_system_vgpr_workitem_id 1
		.amdhsa_next_free_vgpr 239
		.amdhsa_next_free_sgpr 35
		.amdhsa_reserve_vcc 1
		.amdhsa_reserve_flat_scratch 0
		.amdhsa_float_round_mode_32 0
		.amdhsa_float_round_mode_16_64 0
		.amdhsa_float_denorm_mode_32 3
		.amdhsa_float_denorm_mode_16_64 3
		.amdhsa_dx10_clamp 1
		.amdhsa_ieee_mode 1
		.amdhsa_fp16_overflow 0
		.amdhsa_workgroup_processor_mode 1
		.amdhsa_memory_ordered 1
		.amdhsa_forward_progress 1
		.amdhsa_shared_vgpr_count 0
		.amdhsa_exception_fp_ieee_invalid_op 0
		.amdhsa_exception_fp_denorm_src 0
		.amdhsa_exception_fp_ieee_div_zero 0
		.amdhsa_exception_fp_ieee_overflow 0
		.amdhsa_exception_fp_ieee_underflow 0
		.amdhsa_exception_fp_ieee_inexact 0
		.amdhsa_exception_int_div_zero 0
	.end_amdhsa_kernel
	.section	.text._ZL26rocblas_hemvn_kernel_upperILb0ELi64ELi4ELi33ELi32ELi16EiPK19rocblas_complex_numIdES3_PS1_EviT6_lT7_lT5_lS6_lS7_lS5_lT8_i,"axG",@progbits,_ZL26rocblas_hemvn_kernel_upperILb0ELi64ELi4ELi33ELi32ELi16EiPK19rocblas_complex_numIdES3_PS1_EviT6_lT7_lT5_lS6_lS7_lS5_lT8_i,comdat
.Lfunc_end123:
	.size	_ZL26rocblas_hemvn_kernel_upperILb0ELi64ELi4ELi33ELi32ELi16EiPK19rocblas_complex_numIdES3_PS1_EviT6_lT7_lT5_lS6_lS7_lS5_lT8_i, .Lfunc_end123-_ZL26rocblas_hemvn_kernel_upperILb0ELi64ELi4ELi33ELi32ELi16EiPK19rocblas_complex_numIdES3_PS1_EviT6_lT7_lT5_lS6_lS7_lS5_lT8_i
                                        ; -- End function
	.set _ZL26rocblas_hemvn_kernel_upperILb0ELi64ELi4ELi33ELi32ELi16EiPK19rocblas_complex_numIdES3_PS1_EviT6_lT7_lT5_lS6_lS7_lS5_lT8_i.num_vgpr, 239
	.set _ZL26rocblas_hemvn_kernel_upperILb0ELi64ELi4ELi33ELi32ELi16EiPK19rocblas_complex_numIdES3_PS1_EviT6_lT7_lT5_lS6_lS7_lS5_lT8_i.num_agpr, 0
	.set _ZL26rocblas_hemvn_kernel_upperILb0ELi64ELi4ELi33ELi32ELi16EiPK19rocblas_complex_numIdES3_PS1_EviT6_lT7_lT5_lS6_lS7_lS5_lT8_i.numbered_sgpr, 35
	.set _ZL26rocblas_hemvn_kernel_upperILb0ELi64ELi4ELi33ELi32ELi16EiPK19rocblas_complex_numIdES3_PS1_EviT6_lT7_lT5_lS6_lS7_lS5_lT8_i.num_named_barrier, 0
	.set _ZL26rocblas_hemvn_kernel_upperILb0ELi64ELi4ELi33ELi32ELi16EiPK19rocblas_complex_numIdES3_PS1_EviT6_lT7_lT5_lS6_lS7_lS5_lT8_i.private_seg_size, 0
	.set _ZL26rocblas_hemvn_kernel_upperILb0ELi64ELi4ELi33ELi32ELi16EiPK19rocblas_complex_numIdES3_PS1_EviT6_lT7_lT5_lS6_lS7_lS5_lT8_i.uses_vcc, 1
	.set _ZL26rocblas_hemvn_kernel_upperILb0ELi64ELi4ELi33ELi32ELi16EiPK19rocblas_complex_numIdES3_PS1_EviT6_lT7_lT5_lS6_lS7_lS5_lT8_i.uses_flat_scratch, 0
	.set _ZL26rocblas_hemvn_kernel_upperILb0ELi64ELi4ELi33ELi32ELi16EiPK19rocblas_complex_numIdES3_PS1_EviT6_lT7_lT5_lS6_lS7_lS5_lT8_i.has_dyn_sized_stack, 0
	.set _ZL26rocblas_hemvn_kernel_upperILb0ELi64ELi4ELi33ELi32ELi16EiPK19rocblas_complex_numIdES3_PS1_EviT6_lT7_lT5_lS6_lS7_lS5_lT8_i.has_recursion, 0
	.set _ZL26rocblas_hemvn_kernel_upperILb0ELi64ELi4ELi33ELi32ELi16EiPK19rocblas_complex_numIdES3_PS1_EviT6_lT7_lT5_lS6_lS7_lS5_lT8_i.has_indirect_call, 0
	.section	.AMDGPU.csdata,"",@progbits
; Kernel info:
; codeLenInByte = 12000
; TotalNumSgprs: 37
; NumVgprs: 239
; ScratchSize: 0
; MemoryBound: 1
; FloatMode: 240
; IeeeMode: 1
; LDSByteSize: 19200 bytes/workgroup (compile time only)
; SGPRBlocks: 0
; VGPRBlocks: 29
; NumSGPRsForWavesPerEU: 37
; NumVGPRsForWavesPerEU: 239
; Occupancy: 4
; WaveLimiterHint : 1
; COMPUTE_PGM_RSRC2:SCRATCH_EN: 0
; COMPUTE_PGM_RSRC2:USER_SGPR: 6
; COMPUTE_PGM_RSRC2:TRAP_HANDLER: 0
; COMPUTE_PGM_RSRC2:TGID_X_EN: 1
; COMPUTE_PGM_RSRC2:TGID_Y_EN: 0
; COMPUTE_PGM_RSRC2:TGID_Z_EN: 1
; COMPUTE_PGM_RSRC2:TIDIG_COMP_CNT: 1
	.section	.text._ZL26rocblas_hemvn_kernel_upperILb0ELi64ELi4ELi33ELi32ELi16El19rocblas_complex_numIdEPKS1_PS1_EviT6_lT7_lT5_lS6_lS7_lS5_lT8_i,"axG",@progbits,_ZL26rocblas_hemvn_kernel_upperILb0ELi64ELi4ELi33ELi32ELi16El19rocblas_complex_numIdEPKS1_PS1_EviT6_lT7_lT5_lS6_lS7_lS5_lT8_i,comdat
	.globl	_ZL26rocblas_hemvn_kernel_upperILb0ELi64ELi4ELi33ELi32ELi16El19rocblas_complex_numIdEPKS1_PS1_EviT6_lT7_lT5_lS6_lS7_lS5_lT8_i ; -- Begin function _ZL26rocblas_hemvn_kernel_upperILb0ELi64ELi4ELi33ELi32ELi16El19rocblas_complex_numIdEPKS1_PS1_EviT6_lT7_lT5_lS6_lS7_lS5_lT8_i
	.p2align	8
	.type	_ZL26rocblas_hemvn_kernel_upperILb0ELi64ELi4ELi33ELi32ELi16El19rocblas_complex_numIdEPKS1_PS1_EviT6_lT7_lT5_lS6_lS7_lS5_lT8_i,@function
_ZL26rocblas_hemvn_kernel_upperILb0ELi64ELi4ELi33ELi32ELi16El19rocblas_complex_numIdEPKS1_PS1_EviT6_lT7_lT5_lS6_lS7_lS5_lT8_i: ; @_ZL26rocblas_hemvn_kernel_upperILb0ELi64ELi4ELi33ELi32ELi16El19rocblas_complex_numIdEPKS1_PS1_EviT6_lT7_lT5_lS6_lS7_lS5_lT8_i
; %bb.0:
	s_load_dwordx2 s[2:3], s[4:5], 0x94
	s_add_u32 s0, s4, 0x88
	s_addc_u32 s1, s5, 0
	s_waitcnt lgkmcnt(0)
	s_lshr_b32 s8, s2, 16
	s_and_b32 s2, s2, 0xffff
	s_and_b32 s3, s3, 0xffff
	s_mul_i32 s2, s8, s2
	s_mul_i32 s2, s2, s3
	s_cmpk_lg_i32 s2, 0x100
	s_cbranch_scc1 .LBB124_156
; %bb.1:
	s_load_dwordx4 s[8:11], s[4:5], 0x8
	s_waitcnt lgkmcnt(0)
	v_cmp_neq_f64_e64 s2, s[8:9], 0
	v_cmp_neq_f64_e64 s3, s[10:11], 0
	s_or_b32 s2, s2, s3
	s_mov_b32 s3, -1
	s_and_b32 vcc_lo, exec_lo, s2
	s_cbranch_vccnz .LBB124_3
; %bb.2:
	s_load_dwordx4 s[8:11], s[4:5], 0x60
	s_waitcnt lgkmcnt(0)
	v_cmp_neq_f64_e64 s3, s[8:9], 1.0
	v_cmp_neq_f64_e64 s8, s[10:11], 0
	s_or_b32 s3, s3, s8
.LBB124_3:
	s_andn2_b32 vcc_lo, exec_lo, s3
	s_cbranch_vccnz .LBB124_156
; %bb.4:
	s_andn2_b32 vcc_lo, exec_lo, s2
	s_cbranch_vccnz .LBB124_156
; %bb.5:
	s_clause 0x1
	s_load_dwordx16 s[8:23], s[4:5], 0x20
	s_load_dword s24, s[4:5], 0x0
	s_waitcnt lgkmcnt(0)
	s_mul_i32 s3, s23, s7
	s_mul_hi_u32 s23, s22, s7
	s_mul_i32 s2, s22, s7
	s_add_i32 s3, s23, s3
	s_load_dword s22, s[0:1], 0x0
	s_lshl_b64 s[2:3], s[2:3], 4
	s_add_u32 s16, s16, s2
	s_addc_u32 s17, s17, s3
	s_lshl_b64 s[2:3], s[18:19], 4
	s_add_u32 s2, s16, s2
	s_addc_u32 s3, s17, s3
	s_lshl_b32 s18, s6, 6
	s_ashr_i32 s25, s24, 31
	v_add_nc_u32_e32 v167, s18, v0
	s_lshr_b32 s0, s25, 26
	s_add_i32 s0, s24, s0
	v_ashrrev_i32_e32 v168, 31, v167
	v_mul_lo_u32 v4, s21, v167
	v_mad_u64_u32 v[2:3], null, s20, v167, 0
	s_andn2_b32 s0, s0, 63
	v_mul_lo_u32 v5, s20, v168
	s_waitcnt lgkmcnt(0)
	s_add_i32 s1, s22, -1
	s_sub_i32 s23, s24, s0
	v_cmp_eq_u32_e64 s0, 0, v1
	s_cmp_eq_u32 s6, s1
	s_cselect_b32 s16, s23, 0
	v_add3_u32 v3, v3, v5, v4
	v_lshlrev_b64 v[2:3], 4, v[2:3]
	v_add_co_u32 v40, vcc_lo, s2, v2
	v_add_co_ci_u32_e64 v41, null, s3, v3, vcc_lo
	s_mov_b32 s3, -1
	s_and_saveexec_b32 s1, s0
	s_cbranch_execz .LBB124_10
; %bb.6:
	v_cmp_le_i32_e32 vcc_lo, s16, v0
	s_cmp_lg_u32 s16, 0
	v_lshl_add_u32 v2, v0, 4, 0x4700
	s_cselect_b32 s2, -1, 0
	s_and_b32 s2, s2, vcc_lo
	s_and_saveexec_b32 s17, s2
	s_xor_b32 s2, exec_lo, s17
	s_cbranch_execz .LBB124_8
; %bb.7:
	v_mov_b32_e32 v3, 0
	v_mov_b32_e32 v4, v3
	;; [unrolled: 1-line block ×4, first 2 shown]
	ds_write_b128 v2, v[3:6]
                                        ; implicit-def: $vgpr2
.LBB124_8:
	s_andn2_saveexec_b32 s2, s2
	s_cbranch_execz .LBB124_10
; %bb.9:
	global_load_dwordx4 v[3:6], v[40:41], off
	s_waitcnt vmcnt(0)
	ds_write2_b64 v2, v[3:4], v[5:6] offset1:1
.LBB124_10:
	s_or_b32 exec_lo, exec_lo, s1
	v_lshl_add_u32 v44, v1, 6, v0
	v_and_b32_e32 v6, 31, v0
	v_mov_b32_e32 v7, 0
	s_mul_i32 s1, s15, s7
	s_mul_hi_u32 s2, s14, s7
	v_lshrrev_b32_e32 v13, 5, v44
	s_mul_i32 s14, s14, s7
	s_add_i32 s15, s2, s1
	s_mul_hi_u32 s1, s12, s18
	s_lshl_b64 s[14:15], s[14:15], 4
	v_mad_u64_u32 v[2:3], null, s12, v13, v[6:7]
	s_add_u32 s2, s8, s14
	s_addc_u32 s14, s9, s15
	s_lshl_b64 s[8:9], s[10:11], 4
	s_mul_i32 s15, s13, s18
	s_add_u32 s2, s2, s8
	s_addc_u32 s9, s14, s9
	v_mad_u64_u32 v[3:4], null, s13, v13, v[3:4]
	s_ashr_i32 s19, s18, 31
	s_mul_i32 s8, s12, s18
	s_lshl_b64 s[10:11], s[18:19], 4
	s_mul_i32 s14, s12, s19
	s_add_u32 s2, s2, s10
	s_addc_u32 s10, s9, s11
	v_lshlrev_b64 v[38:39], 4, v[2:3]
	s_add_i32 s1, s1, s14
	v_lshlrev_b32_e32 v15, 4, v6
	s_add_i32 s9, s1, s15
	v_cmp_gt_i32_e64 s1, s16, v6
	s_lshl_b64 s[8:9], s[8:9], 4
	v_add_co_u32 v2, vcc_lo, s2, v38
	v_add_co_ci_u32_e64 v3, null, s10, v39, vcc_lo
	s_cmp_eq_u32 s16, 0
	v_add_co_u32 v2, s2, v2, s8
	s_cselect_b32 s11, -1, 0
	s_cmp_lg_u32 s16, 0
	v_add_co_ci_u32_e64 v3, null, s9, v3, s2
	v_lshlrev_b32_e32 v14, 4, v6
	s_cselect_b32 s26, -1, 0
                                        ; implicit-def: $vgpr7_vgpr8
	s_and_b32 vcc_lo, exec_lo, s26
	s_cbranch_vccz .LBB124_28
; %bb.11:
	v_sub_co_u32 v4, vcc_lo, v2, v15
	s_ashr_i32 s17, s16, 31
	v_subrev_co_ci_u32_e64 v5, null, 0, v3, vcc_lo
	s_lshl_b64 s[2:3], s[16:17], 4
	v_mad_u32_u24 v8, 0x210, v13, v14
	v_add_co_u32 v4, vcc_lo, v4, s2
	v_add_co_ci_u32_e64 v5, null, s3, v5, vcc_lo
	s_mov_b32 s8, exec_lo
	v_add_co_u32 v4, vcc_lo, v4, -16
	v_add_co_ci_u32_e64 v5, null, -1, v5, vcc_lo
	v_cndmask_b32_e64 v4, v4, v2, s1
	v_cndmask_b32_e64 v5, v5, v3, s1
	v_cmpx_le_i32_e64 s16, v13
	s_xor_b32 s8, exec_lo, s8
	s_cbranch_execz .LBB124_13
; %bb.12:
	v_mov_b32_e32 v9, 0
	v_mov_b32_e32 v10, v9
	v_mov_b32_e32 v11, v9
	v_mov_b32_e32 v12, v9
	ds_write_b128 v8, v[9:12]
                                        ; implicit-def: $vgpr8
.LBB124_13:
	s_or_saveexec_b32 s8, s8
	v_mul_u32_u24_e32 v7, 0x210, v13
	s_xor_b32 exec_lo, exec_lo, s8
	s_cbranch_execz .LBB124_15
; %bb.14:
	global_load_dwordx4 v[9:12], v[4:5], off
	s_waitcnt vmcnt(0)
	ds_write2_b64 v8, v[9:10], v[11:12] offset1:1
.LBB124_15:
	s_or_b32 exec_lo, exec_lo, s8
	v_add_nc_u32_e32 v8, 8, v13
	v_cmp_le_i32_e32 vcc_lo, s16, v8
	v_add_nc_u32_e32 v8, v7, v14
	s_and_saveexec_b32 s8, vcc_lo
	s_xor_b32 s8, exec_lo, s8
	s_cbranch_execz .LBB124_17
; %bb.16:
	v_mov_b32_e32 v9, 0
	v_mov_b32_e32 v10, v9
	;; [unrolled: 1-line block ×4, first 2 shown]
	ds_write_b128 v8, v[9:12] offset:4224
.LBB124_17:
	s_andn2_saveexec_b32 s8, s8
	s_cbranch_execz .LBB124_19
; %bb.18:
	s_lshl_b64 s[14:15], s[12:13], 7
	v_add3_u32 v16, v7, v14, 0x1080
	v_add_co_u32 v9, vcc_lo, v4, s14
	v_add_co_ci_u32_e64 v10, null, s15, v5, vcc_lo
	global_load_dwordx4 v[9:12], v[9:10], off
	s_waitcnt vmcnt(0)
	ds_write2_b64 v16, v[9:10], v[11:12] offset1:1
.LBB124_19:
	s_or_b32 exec_lo, exec_lo, s8
	v_add_nc_u32_e32 v9, 16, v13
	s_mov_b32 s8, exec_lo
	v_cmpx_le_i32_e64 s16, v9
	s_xor_b32 s8, exec_lo, s8
	s_cbranch_execz .LBB124_21
; %bb.20:
	v_mov_b32_e32 v9, 0
	v_mov_b32_e32 v10, v9
	;; [unrolled: 1-line block ×4, first 2 shown]
	ds_write_b128 v8, v[9:12] offset:8448
.LBB124_21:
	s_andn2_saveexec_b32 s8, s8
	s_cbranch_execz .LBB124_23
; %bb.22:
	s_lshl_b64 s[14:15], s[12:13], 8
	v_add3_u32 v16, v7, v14, 0x2100
	v_add_co_u32 v9, vcc_lo, v4, s14
	v_add_co_ci_u32_e64 v10, null, s15, v5, vcc_lo
	global_load_dwordx4 v[9:12], v[9:10], off
	s_waitcnt vmcnt(0)
	ds_write2_b64 v16, v[9:10], v[11:12] offset1:1
.LBB124_23:
	s_or_b32 exec_lo, exec_lo, s8
	v_add_nc_u32_e32 v9, 24, v13
	s_mov_b32 s8, exec_lo
	v_cmpx_le_i32_e64 s16, v9
	s_xor_b32 s8, exec_lo, s8
	s_cbranch_execz .LBB124_25
; %bb.24:
	v_mov_b32_e32 v9, 0
                                        ; implicit-def: $vgpr7
	v_mov_b32_e32 v10, v9
	v_mov_b32_e32 v11, v9
	;; [unrolled: 1-line block ×3, first 2 shown]
	ds_write_b128 v8, v[9:12] offset:12672
.LBB124_25:
	s_andn2_saveexec_b32 s8, s8
	s_cbranch_execz .LBB124_27
; %bb.26:
	v_mad_u64_u32 v[8:9], null, 0x180, s12, v[4:5]
	v_add3_u32 v7, v7, v14, 0x3180
	v_mad_u64_u32 v[9:10], null, 0x180, s13, v[9:10]
	global_load_dwordx4 v[8:11], v[8:9], off
	s_waitcnt vmcnt(0)
	ds_write2_b64 v7, v[8:9], v[10:11] offset1:1
.LBB124_27:
	s_or_b32 exec_lo, exec_lo, s8
	v_add_co_u32 v4, vcc_lo, v4, v15
	v_add_co_ci_u32_e64 v5, null, 0, v5, vcc_lo
	v_sub_co_u32 v4, vcc_lo, v4, s2
	v_subrev_co_ci_u32_e64 v5, null, s3, v5, vcc_lo
	s_mov_b32 s3, 0
	v_add_co_u32 v4, vcc_lo, v4, 16
	v_add_co_ci_u32_e64 v5, null, 0, v5, vcc_lo
	v_cndmask_b32_e64 v7, v4, v2, s1
	v_cndmask_b32_e64 v8, v5, v3, s1
.LBB124_28:
	s_and_b32 vcc_lo, exec_lo, s3
	s_cbranch_vccz .LBB124_30
; %bb.29:
	s_lshl_b64 s[2:3], s[12:13], 7
	v_add_co_u32 v4, vcc_lo, v2, s2
	v_add_co_ci_u32_e64 v5, null, s3, v3, vcc_lo
	v_add_co_u32 v7, vcc_lo, v4, s2
	v_add_co_ci_u32_e64 v8, null, s3, v5, vcc_lo
	;; [unrolled: 2-line block ×3, first 2 shown]
	s_clause 0x3
	global_load_dwordx4 v[9:12], v[2:3], off
	global_load_dwordx4 v[16:19], v[4:5], off
	;; [unrolled: 1-line block ×4, first 2 shown]
	v_mul_u32_u24_e32 v4, 0x210, v13
	v_mov_b32_e32 v8, v3
	v_mov_b32_e32 v7, v2
	v_lshl_add_u32 v4, v6, 4, v4
	v_add_nc_u32_e32 v5, 0x1080, v4
	v_add_nc_u32_e32 v28, 0x2100, v4
	;; [unrolled: 1-line block ×3, first 2 shown]
	s_waitcnt vmcnt(3)
	ds_write2_b64 v4, v[9:10], v[11:12] offset1:1
	s_waitcnt vmcnt(2)
	ds_write2_b64 v5, v[16:17], v[18:19] offset1:1
	;; [unrolled: 2-line block ×4, first 2 shown]
.LBB124_30:
	v_lshlrev_b32_e32 v11, 2, v13
	v_lshl_or_b32 v2, v6, 9, v14
	v_mad_u32_u24 v16, 0x840, v13, v14
	s_waitcnt lgkmcnt(0)
	s_barrier
	v_cmp_gt_u32_e64 s2, v11, v6
	v_lshl_add_u32 v3, v11, 4, v2
	buffer_gl0_inv
	s_and_saveexec_b32 s1, s2
	s_cbranch_execz .LBB124_32
; %bb.31:
	ds_read_b128 v[17:20], v16
	s_waitcnt lgkmcnt(0)
	ds_write_b128 v3, v[17:20]
.LBB124_32:
	s_or_b32 exec_lo, exec_lo, s1
	v_or_b32_e32 v2, 1, v11
	v_cmp_ge_u32_e64 s3, v11, v6
	v_mad_u32_u24 v17, 0x210, v2, v14
	s_and_saveexec_b32 s1, s3
	s_cbranch_execz .LBB124_34
; %bb.33:
	ds_read_b128 v[18:21], v17
	s_waitcnt lgkmcnt(0)
	ds_write_b128 v3, v[18:21] offset:16
.LBB124_34:
	s_or_b32 exec_lo, exec_lo, s1
	v_or_b32_e32 v2, 2, v11
	v_cmp_gt_u32_e64 s8, v2, v6
	s_and_saveexec_b32 s1, s8
	s_cbranch_execz .LBB124_36
; %bb.35:
	v_mad_u32_u24 v2, 0x210, v2, v14
	ds_read_b128 v[18:21], v2
	s_waitcnt lgkmcnt(0)
	ds_write_b128 v3, v[18:21] offset:32
.LBB124_36:
	s_or_b32 exec_lo, exec_lo, s1
	v_or_b32_e32 v4, 3, v11
	s_mov_b32 s1, exec_lo
	v_cmp_gt_u32_e64 s9, v4, v6
	v_mul_u32_u24_e32 v2, 0x210, v4
	v_cmpx_le_u32_e64 v4, v6
	s_xor_b32 s1, exec_lo, s1
; %bb.37:
	v_mul_u32_u24_e32 v2, 0x210, v4
                                        ; implicit-def: $vgpr4
                                        ; implicit-def: $vgpr3
; %bb.38:
	s_andn2_saveexec_b32 s1, s1
	s_cbranch_execz .LBB124_40
; %bb.39:
	v_mad_u32_u24 v4, 0x210, v4, v14
	ds_read_b128 v[18:21], v4
	s_waitcnt lgkmcnt(0)
	ds_write_b128 v3, v[18:21] offset:48
.LBB124_40:
	s_or_b32 exec_lo, exec_lo, s1
	v_lshlrev_b32_e32 v12, 4, v11
	s_waitcnt lgkmcnt(0)
	s_barrier
	buffer_gl0_inv
	ds_read_b128 v[18:21], v16
	ds_read_b128 v[22:25], v12 offset:18176
	v_add_nc_u32_e32 v47, v14, v2
	ds_read_b128 v[2:5], v17 offset:528
	ds_read_b128 v[26:29], v12 offset:18192
	ds_read_b128 v[30:33], v17
	ds_read_b128 v[34:37], v47
	ds_read_b128 v[48:51], v12 offset:18208
	v_cmp_gt_u32_e64 s1, 32, v44
	s_waitcnt lgkmcnt(5)
	v_mul_f64 v[9:10], v[24:25], v[20:21]
	v_mul_f64 v[20:21], v[22:23], v[20:21]
	s_waitcnt lgkmcnt(2)
	v_mul_f64 v[42:43], v[28:29], v[32:33]
	v_mul_f64 v[32:33], v[26:27], v[32:33]
	v_fma_f64 v[9:10], v[22:23], v[18:19], -v[9:10]
	v_fma_f64 v[22:23], v[24:25], v[18:19], v[20:21]
	ds_read_b128 v[18:21], v12 offset:18224
	s_waitcnt lgkmcnt(1)
	v_mul_f64 v[24:25], v[50:51], v[4:5]
	v_mul_f64 v[4:5], v[48:49], v[4:5]
	v_fma_f64 v[26:27], v[26:27], v[30:31], -v[42:43]
	v_fma_f64 v[28:29], v[28:29], v[30:31], v[32:33]
	s_waitcnt lgkmcnt(0)
	s_barrier
	buffer_gl0_inv
	v_mul_f64 v[30:31], v[20:21], v[36:37]
	v_add_f64 v[9:10], v[9:10], 0
	v_add_f64 v[22:23], v[22:23], 0
	v_mul_f64 v[32:33], v[18:19], v[36:37]
	v_fma_f64 v[24:25], v[48:49], v[2:3], -v[24:25]
	v_fma_f64 v[2:3], v[50:51], v[2:3], v[4:5]
	v_fma_f64 v[18:19], v[18:19], v[34:35], -v[30:31]
	v_add_f64 v[4:5], v[9:10], v[26:27]
	v_add_f64 v[9:10], v[22:23], v[28:29]
	v_fma_f64 v[20:21], v[20:21], v[34:35], v[32:33]
	v_add_f64 v[4:5], v[4:5], v[24:25]
	v_add_f64 v[2:3], v[9:10], v[2:3]
	;; [unrolled: 1-line block ×4, first 2 shown]
	v_mul_u32_u24_e32 v2, 33, v6
	v_mov_b32_e32 v4, 0
	v_mov_b32_e32 v5, 0
	v_lshlrev_b32_e32 v45, 4, v2
	v_mov_b32_e32 v2, 0
	v_mov_b32_e32 v3, 0
	v_lshl_add_u32 v46, v13, 4, v45
	ds_write_b128 v46, v[18:21]
	s_waitcnt lgkmcnt(0)
	s_barrier
	buffer_gl0_inv
	s_and_saveexec_b32 s10, s1
	s_cbranch_execz .LBB124_42
; %bb.41:
	ds_read_b128 v[2:5], v45
	ds_read_b128 v[18:21], v45 offset:16
	s_waitcnt lgkmcnt(0)
	v_add_f64 v[9:10], v[18:19], v[2:3]
	v_add_f64 v[22:23], v[20:21], v[4:5]
	ds_read_b128 v[2:5], v45 offset:32
	ds_read_b128 v[18:21], v45 offset:48
	s_waitcnt lgkmcnt(1)
	v_add_f64 v[2:3], v[9:10], v[2:3]
	v_add_f64 v[4:5], v[22:23], v[4:5]
	s_waitcnt lgkmcnt(0)
	v_add_f64 v[9:10], v[2:3], v[18:19]
	v_add_f64 v[22:23], v[4:5], v[20:21]
	ds_read_b128 v[2:5], v45 offset:64
	ds_read_b128 v[18:21], v45 offset:80
	s_waitcnt lgkmcnt(1)
	v_add_f64 v[2:3], v[9:10], v[2:3]
	v_add_f64 v[4:5], v[22:23], v[4:5]
	;; [unrolled: 8-line block ×3, first 2 shown]
	s_waitcnt lgkmcnt(0)
	v_add_f64 v[2:3], v[2:3], v[18:19]
	v_add_f64 v[4:5], v[4:5], v[20:21]
.LBB124_42:
	s_or_b32 exec_lo, exec_lo, s10
	s_lshl_b64 s[14:15], s[12:13], 9
	v_mad_u32_u24 v18, 0x210, v13, v14
	v_add_co_u32 v19, vcc_lo, v7, s14
	v_add_co_ci_u32_e64 v20, null, s15, v8, vcc_lo
	v_add_co_u32 v9, vcc_lo, 0x200, v19
	v_add_co_ci_u32_e64 v10, null, 0, v20, vcc_lo
	s_and_b32 vcc_lo, exec_lo, s26
	s_barrier
	buffer_gl0_inv
	s_cbranch_vccz .LBB124_60
; %bb.43:
	v_sub_co_u32 v7, vcc_lo, v19, v15
	s_ashr_i32 s17, s16, 31
	v_subrev_co_ci_u32_e64 v8, null, 0, v20, vcc_lo
	s_lshl_b64 s[14:15], s[16:17], 4
	v_or_b32_e32 v21, 32, v6
	v_add_co_u32 v7, vcc_lo, v7, s14
	v_add_co_ci_u32_e64 v8, null, s15, v8, vcc_lo
	s_sub_i32 s17, s16, 32
	v_add_co_u32 v7, vcc_lo, v7, -16
	v_add_co_ci_u32_e64 v8, null, -1, v8, vcc_lo
	v_cmp_gt_i32_e32 vcc_lo, s16, v21
	v_cmp_le_i32_e64 s10, s17, v13
	v_cndmask_b32_e32 v8, v8, v10, vcc_lo
	v_cndmask_b32_e32 v7, v7, v9, vcc_lo
	s_and_saveexec_b32 s27, s10
	s_xor_b32 s10, exec_lo, s27
	s_cbranch_execz .LBB124_45
; %bb.44:
	v_mov_b32_e32 v21, 0
	v_mov_b32_e32 v22, v21
	;; [unrolled: 1-line block ×4, first 2 shown]
	ds_write_b128 v18, v[21:24]
.LBB124_45:
	s_andn2_saveexec_b32 s10, s10
	s_cbranch_execz .LBB124_47
; %bb.46:
	global_load_dwordx4 v[21:24], v[7:8], off
	s_waitcnt vmcnt(0)
	ds_write2_b64 v18, v[21:22], v[23:24] offset1:1
.LBB124_47:
	s_or_b32 exec_lo, exec_lo, s10
	v_add_nc_u32_e32 v21, 8, v13
	v_cmp_le_i32_e64 s10, s17, v21
	v_mad_u32_u24 v21, 0x210, v21, v14
	s_and_saveexec_b32 s27, s10
	s_xor_b32 s10, exec_lo, s27
	s_cbranch_execz .LBB124_49
; %bb.48:
	v_mov_b32_e32 v22, 0
	v_mov_b32_e32 v23, v22
	;; [unrolled: 1-line block ×4, first 2 shown]
	ds_write_b128 v21, v[22:25]
                                        ; implicit-def: $vgpr21
.LBB124_49:
	s_andn2_saveexec_b32 s27, s10
	s_cbranch_execz .LBB124_51
; %bb.50:
	s_lshl_b64 s[28:29], s[12:13], 7
	v_add_co_u32 v22, s10, v7, s28
	v_add_co_ci_u32_e64 v23, null, s29, v8, s10
	global_load_dwordx4 v[22:25], v[22:23], off
	s_waitcnt vmcnt(0)
	ds_write2_b64 v21, v[22:23], v[24:25] offset1:1
.LBB124_51:
	s_or_b32 exec_lo, exec_lo, s27
	v_add_nc_u32_e32 v21, 16, v13
	v_cmp_le_i32_e64 s10, s17, v21
	v_mad_u32_u24 v21, 0x210, v21, v14
	s_and_saveexec_b32 s27, s10
	s_xor_b32 s10, exec_lo, s27
	s_cbranch_execz .LBB124_53
; %bb.52:
	v_mov_b32_e32 v22, 0
	v_mov_b32_e32 v23, v22
	;; [unrolled: 1-line block ×4, first 2 shown]
	ds_write_b128 v21, v[22:25]
                                        ; implicit-def: $vgpr21
.LBB124_53:
	s_andn2_saveexec_b32 s27, s10
	s_cbranch_execz .LBB124_55
; %bb.54:
	s_lshl_b64 s[28:29], s[12:13], 8
	v_add_co_u32 v22, s10, v7, s28
	v_add_co_ci_u32_e64 v23, null, s29, v8, s10
	global_load_dwordx4 v[22:25], v[22:23], off
	s_waitcnt vmcnt(0)
	ds_write2_b64 v21, v[22:23], v[24:25] offset1:1
.LBB124_55:
	s_or_b32 exec_lo, exec_lo, s27
	v_add_nc_u32_e32 v21, 24, v13
	v_cmp_le_i32_e64 s10, s17, v21
	v_mad_u32_u24 v21, 0x210, v21, v14
	s_and_saveexec_b32 s17, s10
	s_xor_b32 s10, exec_lo, s17
	s_cbranch_execz .LBB124_57
; %bb.56:
	v_mov_b32_e32 v22, 0
	v_mov_b32_e32 v23, v22
	;; [unrolled: 1-line block ×4, first 2 shown]
	ds_write_b128 v21, v[22:25]
                                        ; implicit-def: $vgpr21
.LBB124_57:
	s_andn2_saveexec_b32 s10, s10
	s_cbranch_execz .LBB124_59
; %bb.58:
	v_mad_u64_u32 v[22:23], null, 0x180, s12, v[7:8]
	v_mad_u64_u32 v[23:24], null, 0x180, s13, v[23:24]
	global_load_dwordx4 v[22:25], v[22:23], off
	s_waitcnt vmcnt(0)
	ds_write2_b64 v21, v[22:23], v[24:25] offset1:1
.LBB124_59:
	s_or_b32 exec_lo, exec_lo, s10
	v_add_co_u32 v7, s10, v7, v15
	v_add_co_ci_u32_e64 v8, null, 0, v8, s10
	v_sub_co_u32 v7, s10, v7, s14
	v_subrev_co_ci_u32_e64 v8, null, s15, v8, s10
	v_add_co_u32 v7, s10, 0x210, v7
	v_add_co_ci_u32_e64 v8, null, 0, v8, s10
	v_cndmask_b32_e32 v7, v7, v9, vcc_lo
	v_cndmask_b32_e32 v8, v8, v10, vcc_lo
	s_branch .LBB124_62
.LBB124_60:
                                        ; implicit-def: $vgpr7_vgpr8
	s_cbranch_execz .LBB124_62
; %bb.61:
	s_lshl_b64 s[14:15], s[12:13], 7
	v_add_nc_u32_e32 v35, 0x1080, v18
	v_add_co_u32 v7, vcc_lo, v19, s14
	v_add_co_ci_u32_e64 v8, null, s15, v20, vcc_lo
	v_add_nc_u32_e32 v36, 0x2100, v18
	v_add_co_u32 v27, vcc_lo, v7, s14
	v_add_co_ci_u32_e64 v28, null, s15, v8, vcc_lo
	v_add_nc_u32_e32 v37, 0x3180, v18
	v_add_co_u32 v31, vcc_lo, v27, s14
	v_add_co_ci_u32_e64 v32, null, s15, v28, vcc_lo
	s_clause 0x3
	global_load_dwordx4 v[19:22], v[9:10], off
	global_load_dwordx4 v[23:26], v[7:8], off offset:512
	global_load_dwordx4 v[27:30], v[27:28], off offset:512
	;; [unrolled: 1-line block ×3, first 2 shown]
	v_mov_b32_e32 v7, v9
	v_mov_b32_e32 v8, v10
	s_waitcnt vmcnt(3)
	ds_write2_b64 v18, v[19:20], v[21:22] offset1:1
	s_waitcnt vmcnt(2)
	ds_write2_b64 v35, v[23:24], v[25:26] offset1:1
	s_waitcnt vmcnt(1)
	ds_write2_b64 v36, v[27:28], v[29:30] offset1:1
	s_waitcnt vmcnt(0)
	ds_write2_b64 v37, v[31:32], v[33:34] offset1:1
.LBB124_62:
	v_lshl_add_u32 v9, v11, 4, v45
	s_waitcnt lgkmcnt(0)
	s_barrier
	buffer_gl0_inv
	s_and_saveexec_b32 s10, s2
	s_cbranch_execnz .LBB124_87
; %bb.63:
	s_or_b32 exec_lo, exec_lo, s10
	s_and_saveexec_b32 s2, s3
	s_cbranch_execnz .LBB124_88
.LBB124_64:
	s_or_b32 exec_lo, exec_lo, s2
	v_add_nc_u32_e32 v19, 0x210, v17
	s_and_saveexec_b32 s2, s8
	s_cbranch_execnz .LBB124_89
.LBB124_65:
	s_or_b32 exec_lo, exec_lo, s2
	v_add_nc_u32_e32 v20, 0x4700, v12
	s_and_saveexec_b32 s2, s9
	s_cbranch_execz .LBB124_67
.LBB124_66:
	ds_read_b128 v[21:24], v47
	s_waitcnt lgkmcnt(0)
	ds_write_b128 v9, v[21:24] offset:48
.LBB124_67:
	s_or_b32 exec_lo, exec_lo, s2
	s_waitcnt lgkmcnt(0)
	s_barrier
	buffer_gl0_inv
	ds_read_b128 v[9:12], v16
	ds_read_b128 v[21:24], v20 offset:512
	ds_read_b128 v[25:28], v20 offset:528
	ds_read_b128 v[29:32], v17
	ds_read_b128 v[33:36], v20 offset:544
	ds_read_b128 v[48:51], v19
	v_cmp_eq_u32_e64 s2, 1, v13
	s_waitcnt lgkmcnt(4)
	v_mul_f64 v[42:43], v[23:24], v[11:12]
	v_mul_f64 v[11:12], v[21:22], v[11:12]
	s_waitcnt lgkmcnt(2)
	v_mul_f64 v[52:53], v[27:28], v[31:32]
	v_mul_f64 v[31:32], v[25:26], v[31:32]
	;; [unrolled: 3-line block ×3, first 2 shown]
	v_fma_f64 v[42:43], v[21:22], v[9:10], -v[42:43]
	v_fma_f64 v[54:55], v[23:24], v[9:10], v[11:12]
	v_fma_f64 v[25:26], v[25:26], v[29:30], -v[52:53]
	v_fma_f64 v[27:28], v[27:28], v[29:30], v[31:32]
	ds_read_b128 v[9:12], v20 offset:560
	ds_read_b128 v[21:24], v47
	v_fma_f64 v[33:34], v[33:34], v[48:49], -v[56:57]
	v_fma_f64 v[35:36], v[35:36], v[48:49], v[50:51]
	s_waitcnt lgkmcnt(0)
	s_barrier
	buffer_gl0_inv
	v_add_f64 v[29:30], v[42:43], 0
	v_add_f64 v[31:32], v[54:55], 0
	v_mul_f64 v[42:43], v[11:12], v[23:24]
	v_mul_f64 v[23:24], v[9:10], v[23:24]
	v_add_f64 v[25:26], v[29:30], v[25:26]
	v_add_f64 v[27:28], v[31:32], v[27:28]
	v_fma_f64 v[9:10], v[9:10], v[21:22], -v[42:43]
	v_fma_f64 v[11:12], v[11:12], v[21:22], v[23:24]
	v_add_f64 v[21:22], v[25:26], v[33:34]
	v_add_f64 v[23:24], v[27:28], v[35:36]
	;; [unrolled: 1-line block ×4, first 2 shown]
	ds_write_b128 v46, v[9:12]
	s_waitcnt lgkmcnt(0)
	s_barrier
	buffer_gl0_inv
	s_and_saveexec_b32 s3, s2
	s_cbranch_execz .LBB124_69
; %bb.68:
	ds_read_b128 v[2:5], v45
	ds_read_b128 v[9:12], v45 offset:16
	s_waitcnt lgkmcnt(0)
	v_add_f64 v[21:22], v[9:10], v[2:3]
	v_add_f64 v[23:24], v[11:12], v[4:5]
	ds_read_b128 v[2:5], v45 offset:32
	ds_read_b128 v[9:12], v45 offset:48
	s_waitcnt lgkmcnt(1)
	v_add_f64 v[2:3], v[21:22], v[2:3]
	v_add_f64 v[4:5], v[23:24], v[4:5]
	s_waitcnt lgkmcnt(0)
	v_add_f64 v[21:22], v[2:3], v[9:10]
	v_add_f64 v[23:24], v[4:5], v[11:12]
	ds_read_b128 v[2:5], v45 offset:64
	ds_read_b128 v[9:12], v45 offset:80
	s_waitcnt lgkmcnt(1)
	v_add_f64 v[2:3], v[21:22], v[2:3]
	v_add_f64 v[4:5], v[23:24], v[4:5]
	;; [unrolled: 8-line block ×3, first 2 shown]
	s_waitcnt lgkmcnt(0)
	v_add_f64 v[2:3], v[2:3], v[9:10]
	v_add_f64 v[4:5], v[4:5], v[11:12]
.LBB124_69:
	s_or_b32 exec_lo, exec_lo, s3
	v_add_co_u32 v9, vcc_lo, 0xfffffe00, v7
	v_add_co_ci_u32_e64 v10, null, -1, v8, vcc_lo
	s_and_b32 vcc_lo, exec_lo, s26
	s_barrier
	buffer_gl0_inv
	s_cbranch_vccz .LBB124_90
; %bb.70:
	v_sub_co_u32 v11, vcc_lo, v7, v15
	s_ashr_i32 s17, s16, 31
	v_subrev_co_ci_u32_e64 v12, null, 0, v8, vcc_lo
	s_lshl_b64 s[8:9], s[16:17], 4
	s_sub_i32 s10, s16, 32
	v_add_co_u32 v11, vcc_lo, v11, s8
	v_add_co_ci_u32_e64 v12, null, s9, v12, vcc_lo
	v_cmp_le_i32_e64 s3, s10, v13
	v_add_co_u32 v11, vcc_lo, 0xfffffdf0, v11
	v_add_co_ci_u32_e64 v12, null, -1, v12, vcc_lo
	v_cmp_gt_i32_e32 vcc_lo, s16, v6
	v_cndmask_b32_e32 v12, v12, v10, vcc_lo
	v_cndmask_b32_e32 v11, v11, v9, vcc_lo
	s_and_saveexec_b32 s14, s3
	s_xor_b32 s3, exec_lo, s14
	s_cbranch_execz .LBB124_72
; %bb.71:
	v_mov_b32_e32 v21, 0
	v_mov_b32_e32 v22, v21
	;; [unrolled: 1-line block ×4, first 2 shown]
	ds_write_b128 v18, v[21:24]
.LBB124_72:
	s_andn2_saveexec_b32 s3, s3
	s_cbranch_execz .LBB124_74
; %bb.73:
	global_load_dwordx4 v[21:24], v[11:12], off
	s_waitcnt vmcnt(0)
	ds_write2_b64 v18, v[21:22], v[23:24] offset1:1
.LBB124_74:
	s_or_b32 exec_lo, exec_lo, s3
	v_add_nc_u32_e32 v6, 8, v13
	v_cmp_le_i32_e64 s3, s10, v6
	v_mad_u32_u24 v21, 0x210, v6, v14
	s_and_saveexec_b32 s14, s3
	s_xor_b32 s3, exec_lo, s14
	s_cbranch_execz .LBB124_76
; %bb.75:
	v_mov_b32_e32 v22, 0
	v_mov_b32_e32 v23, v22
	;; [unrolled: 1-line block ×4, first 2 shown]
	ds_write_b128 v21, v[22:25]
                                        ; implicit-def: $vgpr21
.LBB124_76:
	s_andn2_saveexec_b32 s14, s3
	s_cbranch_execz .LBB124_78
; %bb.77:
	s_lshl_b64 s[26:27], s[12:13], 7
	v_add_co_u32 v22, s3, v11, s26
	v_add_co_ci_u32_e64 v23, null, s27, v12, s3
	global_load_dwordx4 v[22:25], v[22:23], off
	s_waitcnt vmcnt(0)
	ds_write2_b64 v21, v[22:23], v[24:25] offset1:1
.LBB124_78:
	s_or_b32 exec_lo, exec_lo, s14
	v_add_nc_u32_e32 v22, 16, v13
	v_cmp_le_i32_e64 s3, s10, v22
	v_mad_u32_u24 v21, 0x210, v22, v14
	s_and_saveexec_b32 s14, s3
	s_xor_b32 s3, exec_lo, s14
	s_cbranch_execz .LBB124_80
; %bb.79:
	v_mov_b32_e32 v23, 0
	v_mov_b32_e32 v24, v23
	;; [unrolled: 1-line block ×4, first 2 shown]
	ds_write_b128 v21, v[23:26]
                                        ; implicit-def: $vgpr21
.LBB124_80:
	s_andn2_saveexec_b32 s14, s3
	s_cbranch_execz .LBB124_82
; %bb.81:
	s_lshl_b64 s[26:27], s[12:13], 8
	v_add_co_u32 v23, s3, v11, s26
	v_add_co_ci_u32_e64 v24, null, s27, v12, s3
	global_load_dwordx4 v[23:26], v[23:24], off
	s_waitcnt vmcnt(0)
	ds_write2_b64 v21, v[23:24], v[25:26] offset1:1
.LBB124_82:
	s_or_b32 exec_lo, exec_lo, s14
	v_add_nc_u32_e32 v21, 24, v13
	v_cmp_le_i32_e64 s3, s10, v21
	v_mad_u32_u24 v23, 0x210, v21, v14
	s_and_saveexec_b32 s10, s3
	s_xor_b32 s3, exec_lo, s10
	s_cbranch_execz .LBB124_84
; %bb.83:
	v_mov_b32_e32 v24, 0
	v_mov_b32_e32 v25, v24
	;; [unrolled: 1-line block ×4, first 2 shown]
	ds_write_b128 v23, v[24:27]
                                        ; implicit-def: $vgpr23
.LBB124_84:
	s_andn2_saveexec_b32 s3, s3
	s_cbranch_execz .LBB124_86
; %bb.85:
	v_mad_u64_u32 v[24:25], null, 0x180, s12, v[11:12]
	v_mad_u64_u32 v[25:26], null, 0x180, s13, v[25:26]
	global_load_dwordx4 v[24:27], v[24:25], off
	s_waitcnt vmcnt(0)
	ds_write2_b64 v23, v[24:25], v[26:27] offset1:1
.LBB124_86:
	s_or_b32 exec_lo, exec_lo, s3
	v_add_co_u32 v11, s3, v11, v15
	v_add_co_ci_u32_e64 v12, null, 0, v12, s3
	v_sub_co_u32 v11, s3, v11, s8
	v_subrev_co_ci_u32_e64 v12, null, s9, v12, s3
	v_add_co_u32 v11, s3, v11, 16
	v_add_co_ci_u32_e64 v12, null, 0, v12, s3
	v_cndmask_b32_e32 v42, v11, v9, vcc_lo
	v_cndmask_b32_e32 v43, v12, v10, vcc_lo
	s_branch .LBB124_92
.LBB124_87:
	ds_read_b128 v[19:22], v16
	s_waitcnt lgkmcnt(0)
	ds_write_b128 v9, v[19:22]
	s_or_b32 exec_lo, exec_lo, s10
	s_and_saveexec_b32 s2, s3
	s_cbranch_execz .LBB124_64
.LBB124_88:
	ds_read_b128 v[19:22], v17
	s_waitcnt lgkmcnt(0)
	ds_write_b128 v9, v[19:22] offset:16
	s_or_b32 exec_lo, exec_lo, s2
	v_add_nc_u32_e32 v19, 0x210, v17
	s_and_saveexec_b32 s2, s8
	s_cbranch_execz .LBB124_65
.LBB124_89:
	ds_read_b128 v[20:23], v19
	s_waitcnt lgkmcnt(0)
	ds_write_b128 v9, v[20:23] offset:32
	s_or_b32 exec_lo, exec_lo, s2
	v_add_nc_u32_e32 v20, 0x4700, v12
	s_and_saveexec_b32 s2, s9
	s_cbranch_execnz .LBB124_66
	s_branch .LBB124_67
.LBB124_90:
                                        ; implicit-def: $vgpr42_vgpr43
                                        ; implicit-def: $vgpr6
                                        ; implicit-def: $vgpr22
                                        ; implicit-def: $vgpr21
	s_cbranch_execz .LBB124_92
; %bb.91:
	s_lshl_b64 s[8:9], s[12:13], 7
	v_mov_b32_e32 v43, v10
	v_add_co_u32 v6, vcc_lo, v7, s8
	v_add_co_ci_u32_e64 v7, null, s9, v8, vcc_lo
	v_mov_b32_e32 v42, v9
	v_add_co_u32 v11, vcc_lo, v6, s8
	v_add_co_ci_u32_e64 v12, null, s9, v7, vcc_lo
	v_add_co_u32 v21, vcc_lo, v11, s8
	v_add_co_ci_u32_e64 v22, null, s9, v12, vcc_lo
	s_clause 0x3
	global_load_dwordx4 v[23:26], v[9:10], off
	global_load_dwordx4 v[27:30], v[6:7], off offset:-512
	global_load_dwordx4 v[31:34], v[11:12], off offset:-512
	;; [unrolled: 1-line block ×3, first 2 shown]
	v_add_nc_u32_e32 v6, 8, v13
	v_add_nc_u32_e32 v22, 16, v13
	;; [unrolled: 1-line block ×3, first 2 shown]
	v_mad_u32_u24 v7, 0x210, v6, v14
	v_add_nc_u32_e32 v8, 0x1080, v7
	v_add_nc_u32_e32 v11, 0x2100, v7
	s_waitcnt vmcnt(3)
	ds_write2_b64 v18, v[23:24], v[25:26] offset1:1
	s_waitcnt vmcnt(2)
	ds_write2_b64 v7, v[27:28], v[29:30] offset1:1
	;; [unrolled: 2-line block ×4, first 2 shown]
.LBB124_92:
	v_lshlrev_b32_e32 v11, 4, v13
	s_waitcnt lgkmcnt(0)
	s_barrier
	buffer_gl0_inv
	v_lshlrev_b32_e32 v6, 4, v6
	v_add_nc_u32_e32 v7, v45, v11
	ds_read_b128 v[7:10], v7
	ds_read_b128 v[11:14], v11 offset:18176
	v_add_nc_u32_e32 v15, v45, v6
	ds_read_b128 v[23:26], v15
	ds_read_b128 v[27:30], v6 offset:18176
	v_lshlrev_b32_e32 v6, 4, v22
	v_add_nc_u32_e32 v15, v45, v6
	ds_read_b128 v[31:34], v15
	ds_read_b128 v[48:51], v6 offset:18176
	s_waitcnt lgkmcnt(4)
	v_mul_f64 v[35:36], v[9:10], v[13:14]
	v_mul_f64 v[13:14], v[7:8], v[13:14]
	s_waitcnt lgkmcnt(2)
	v_mul_f64 v[52:53], v[25:26], v[29:30]
	v_mul_f64 v[29:30], v[23:24], v[29:30]
	v_fma_f64 v[35:36], v[7:8], v[11:12], -v[35:36]
	v_fma_f64 v[14:15], v[9:10], v[11:12], v[13:14]
	v_lshlrev_b32_e32 v10, 4, v21
	s_waitcnt lgkmcnt(0)
	v_mul_f64 v[21:22], v[33:34], v[50:51]
	v_mul_f64 v[50:51], v[31:32], v[50:51]
	v_fma_f64 v[23:24], v[23:24], v[27:28], -v[52:53]
	v_add_nc_u32_e32 v6, v45, v10
	v_fma_f64 v[25:26], v[25:26], v[27:28], v[29:30]
	ds_read_b128 v[6:9], v6
	ds_read_b128 v[10:13], v10 offset:18176
	v_add_f64 v[27:28], v[35:36], 0
	v_add_f64 v[14:15], v[14:15], 0
	v_fma_f64 v[21:22], v[31:32], v[48:49], -v[21:22]
	v_fma_f64 v[31:32], v[33:34], v[48:49], v[50:51]
	s_waitcnt lgkmcnt(0)
	v_mul_f64 v[29:30], v[8:9], v[12:13]
	v_mul_f64 v[12:13], v[6:7], v[12:13]
	v_add_f64 v[23:24], v[27:28], v[23:24]
	v_add_f64 v[14:15], v[14:15], v[25:26]
	v_fma_f64 v[6:7], v[6:7], v[10:11], -v[29:30]
	v_fma_f64 v[8:9], v[8:9], v[10:11], v[12:13]
	v_add_f64 v[10:11], v[23:24], v[21:22]
	v_add_f64 v[12:13], v[14:15], v[31:32]
	ds_read_b128 v[30:33], v20 offset:512
	ds_read_b128 v[22:25], v20 offset:528
	v_add_f64 v[48:49], v[10:11], v[6:7]
	v_add_f64 v[50:51], v[12:13], v[8:9]
	ds_read_b128 v[10:13], v20 offset:544
	ds_read_b128 v[6:9], v20 offset:560
	ds_read_b128 v[34:37], v16
	ds_read_b128 v[26:29], v17
	;; [unrolled: 1-line block ×4, first 2 shown]
	s_waitcnt lgkmcnt(0)
	s_barrier
	buffer_gl0_inv
	ds_write_b128 v46, v[48:51]
	s_waitcnt lgkmcnt(0)
	s_barrier
	buffer_gl0_inv
	s_and_saveexec_b32 s3, s2
	s_cbranch_execz .LBB124_94
; %bb.93:
	ds_read_b128 v[47:50], v45
	ds_read_b128 v[51:54], v45 offset:16
	s_waitcnt lgkmcnt(1)
	v_add_f64 v[2:3], v[2:3], v[47:48]
	v_add_f64 v[4:5], v[4:5], v[49:50]
	s_waitcnt lgkmcnt(0)
	v_add_f64 v[51:52], v[2:3], v[51:52]
	v_add_f64 v[53:54], v[4:5], v[53:54]
	ds_read_b128 v[2:5], v45 offset:32
	ds_read_b128 v[47:50], v45 offset:48
	s_waitcnt lgkmcnt(1)
	v_add_f64 v[2:3], v[51:52], v[2:3]
	v_add_f64 v[4:5], v[53:54], v[4:5]
	s_waitcnt lgkmcnt(0)
	v_add_f64 v[51:52], v[2:3], v[47:48]
	v_add_f64 v[53:54], v[4:5], v[49:50]
	ds_read_b128 v[2:5], v45 offset:64
	;; [unrolled: 8-line block ×3, first 2 shown]
	ds_read_b128 v[47:50], v45 offset:112
	s_waitcnt lgkmcnt(1)
	v_add_f64 v[2:3], v[51:52], v[2:3]
	v_add_f64 v[4:5], v[53:54], v[4:5]
	s_waitcnt lgkmcnt(0)
	v_add_f64 v[2:3], v[2:3], v[47:48]
	v_add_f64 v[4:5], v[4:5], v[49:50]
.LBB124_94:
	s_or_b32 exec_lo, exec_lo, s3
	v_mul_f64 v[47:48], v[32:33], v[36:37]
	v_mul_f64 v[36:37], v[30:31], v[36:37]
	v_mul_f64 v[49:50], v[24:25], v[28:29]
	v_mul_f64 v[28:29], v[22:23], v[28:29]
	s_barrier
	buffer_gl0_inv
	v_fma_f64 v[30:31], v[30:31], v[34:35], -v[47:48]
	v_fma_f64 v[32:33], v[32:33], v[34:35], v[36:37]
	v_mul_f64 v[34:35], v[12:13], v[20:21]
	v_mul_f64 v[20:21], v[10:11], v[20:21]
	v_fma_f64 v[22:23], v[22:23], v[26:27], -v[49:50]
	v_fma_f64 v[24:25], v[24:25], v[26:27], v[28:29]
	v_add_f64 v[26:27], v[30:31], 0
	v_add_f64 v[28:29], v[32:33], 0
	v_mul_f64 v[30:31], v[8:9], v[16:17]
	v_mul_f64 v[16:17], v[6:7], v[16:17]
	v_fma_f64 v[10:11], v[10:11], v[18:19], -v[34:35]
	v_fma_f64 v[12:13], v[12:13], v[18:19], v[20:21]
	v_add_f64 v[18:19], v[26:27], v[22:23]
	v_add_f64 v[20:21], v[28:29], v[24:25]
	v_fma_f64 v[6:7], v[6:7], v[14:15], -v[30:31]
	v_fma_f64 v[8:9], v[8:9], v[14:15], v[16:17]
	v_add_f64 v[10:11], v[18:19], v[10:11]
	v_add_f64 v[12:13], v[20:21], v[12:13]
	;; [unrolled: 1-line block ×4, first 2 shown]
	ds_write_b128 v46, v[6:9]
	s_waitcnt lgkmcnt(0)
	s_barrier
	buffer_gl0_inv
	s_and_saveexec_b32 s2, s1
	s_cbranch_execz .LBB124_96
; %bb.95:
	ds_read_b128 v[6:9], v45
	ds_read_b128 v[10:13], v45 offset:16
	s_waitcnt lgkmcnt(1)
	v_add_f64 v[2:3], v[2:3], v[6:7]
	v_add_f64 v[4:5], v[4:5], v[8:9]
	s_waitcnt lgkmcnt(0)
	v_add_f64 v[10:11], v[2:3], v[10:11]
	v_add_f64 v[12:13], v[4:5], v[12:13]
	ds_read_b128 v[2:5], v45 offset:32
	ds_read_b128 v[6:9], v45 offset:48
	s_waitcnt lgkmcnt(1)
	v_add_f64 v[2:3], v[10:11], v[2:3]
	v_add_f64 v[4:5], v[12:13], v[4:5]
	s_waitcnt lgkmcnt(0)
	v_add_f64 v[10:11], v[2:3], v[6:7]
	v_add_f64 v[12:13], v[4:5], v[8:9]
	ds_read_b128 v[2:5], v45 offset:64
	;; [unrolled: 8-line block ×3, first 2 shown]
	ds_read_b128 v[6:9], v45 offset:112
	s_waitcnt lgkmcnt(1)
	v_add_f64 v[2:3], v[10:11], v[2:3]
	v_add_f64 v[4:5], v[12:13], v[4:5]
	s_waitcnt lgkmcnt(0)
	v_add_f64 v[2:3], v[2:3], v[6:7]
	v_add_f64 v[4:5], v[4:5], v[8:9]
.LBB124_96:
	s_or_b32 exec_lo, exec_lo, s2
	s_load_dwordx2 s[2:3], s[4:5], 0x78
	s_mul_hi_u32 s1, s24, s7
	s_mul_i32 s25, s25, s7
	s_mul_i32 s4, s24, s7
	s_add_i32 s1, s1, s25
	s_mul_hi_u32 s5, s4, s22
	s_mul_i32 s1, s1, s22
	s_mul_i32 s4, s4, s22
	s_add_i32 s5, s5, s1
	s_mul_hi_i32 s9, s24, s6
	s_lshl_b64 s[4:5], s[4:5], 4
	s_mul_i32 s8, s24, s6
	v_lshlrev_b32_e32 v169, 4, v0
	s_waitcnt lgkmcnt(0)
	s_barrier
	buffer_gl0_inv
	s_add_u32 s1, s2, s4
	s_addc_u32 s2, s3, s5
	s_lshl_b64 s[4:5], s[8:9], 4
	s_add_u32 s3, s1, s4
	s_addc_u32 s7, s2, s5
	s_add_i32 s1, s6, 1
	s_cmp_ge_u32 s1, s22
	s_cbranch_scc1 .LBB124_154
; %bb.97:
	v_and_b32_e32 v8, 48, v0
	v_lshlrev_b32_e32 v15, 6, v1
	v_lshrrev_b32_e32 v6, 4, v44
	v_and_b32_e32 v7, 15, v0
	v_or_b32_e32 v10, 0xf0, v169
	v_lshlrev_b32_e32 v8, 4, v8
	v_add_nc_u32_e32 v11, 0x530, v15
	v_lshlrev_b32_e32 v9, 6, v6
	v_mul_i32_i24_e32 v16, 0xffffffd0, v6
	v_mad_u32_u24 v179, 0x430, v7, v10
	v_mad_u32_u24 v178, 0x430, v7, v8
	v_add_nc_u32_e32 v8, 0x200, v15
	v_mad_u32_u24 v177, 0x430, v7, v9
	s_mul_i32 s1, s20, s19
	s_mul_hi_u32 s2, s20, s18
	s_mul_i32 s4, s21, s18
	v_mad_u64_u32 v[6:7], null, s12, v8, 0
	s_add_i32 s1, s2, s1
	v_add_nc_u32_e32 v13, 0x220, v15
	s_add_i32 s5, s1, s4
	s_mul_i32 s4, s20, s18
	v_add_nc_u32_e32 v18, 0x210, v15
	s_lshl_b64 s[4:5], s[4:5], 4
	v_mad_u64_u32 v[7:8], null, s13, v8, v[7:8]
	v_mad_u64_u32 v[8:9], null, s12, v11, 0
	v_sub_co_u32 v171, vcc_lo, v40, s4
	v_subrev_co_ci_u32_e64 v172, null, s5, v41, vcc_lo
	v_sub_co_u32 v6, vcc_lo, v6, v38
	v_sub_co_ci_u32_e64 v14, null, v7, v39, vcc_lo
	v_mov_b32_e32 v7, v9
	v_mad_u64_u32 v[9:10], null, s12, v13, 0
	v_or_b32_e32 v17, 8, v6
	v_add_nc_u32_e32 v174, 0x4300, v15
	v_mad_u64_u32 v[11:12], null, s13, v11, v[7:8]
	v_lshlrev_b32_e32 v170, 2, v1
	v_add_co_u32 v195, vcc_lo, v42, v17
	v_add_co_ci_u32_e64 v196, null, v43, v14, vcc_lo
	v_mov_b32_e32 v7, v10
	v_add_nc_u32_e32 v14, 0x520, v15
	v_sub_co_u32 v12, vcc_lo, v8, v38
	v_sub_co_ci_u32_e64 v17, null, v11, v39, vcc_lo
	v_mad_u64_u32 v[7:8], null, s13, v13, v[7:8]
	v_mad_u64_u32 v[10:11], null, s12, v14, 0
	v_add_co_u32 v197, vcc_lo, v42, v12
	v_mad_u64_u32 v[12:13], null, s12, v18, 0
	v_add_co_ci_u32_e64 v198, null, v43, v17, vcc_lo
	v_sub_co_u32 v8, vcc_lo, v9, v38
	v_sub_co_ci_u32_e64 v9, null, v7, v39, vcc_lo
	v_mov_b32_e32 v7, v11
	v_add_co_u32 v199, vcc_lo, v42, v8
	v_mov_b32_e32 v8, v13
	v_add_nc_u32_e32 v11, 0x510, v15
	v_add_co_ci_u32_e64 v200, null, v43, v9, vcc_lo
	v_add_nc_u32_e32 v17, 0x230, v15
	v_mad_u64_u32 v[13:14], null, s13, v14, v[7:8]
	v_mad_u64_u32 v[7:8], null, s13, v18, v[8:9]
	;; [unrolled: 1-line block ×3, first 2 shown]
	v_sub_co_u32 v12, vcc_lo, v12, v38
	v_sub_co_u32 v14, s2, v10, v38
	v_sub_co_ci_u32_e64 v18, null, v7, v39, vcc_lo
	v_mov_b32_e32 v7, v9
	v_mad_u64_u32 v[9:10], null, s12, v17, 0
	v_sub_co_ci_u32_e64 v13, null, v13, v39, s2
	v_or_b32_e32 v19, 8, v12
	v_mad_u64_u32 v[11:12], null, s13, v11, v[7:8]
	v_add_co_u32 v201, vcc_lo, v42, v14
	v_mov_b32_e32 v7, v10
	v_add_co_ci_u32_e64 v202, null, v43, v13, vcc_lo
	v_add_co_u32 v203, vcc_lo, v42, v19
	v_add_co_ci_u32_e64 v204, null, v43, v18, vcc_lo
	v_sub_co_u32 v12, vcc_lo, v8, v38
	v_add_nc_u32_e32 v14, 0x500, v15
	v_mad_u64_u32 v[7:8], null, s13, v17, v[7:8]
	v_add_nc_u32_e32 v17, 0x300, v15
	v_sub_co_ci_u32_e64 v13, null, v11, v39, vcc_lo
	v_mad_u64_u32 v[10:11], null, s12, v14, 0
	v_sub_co_u32 v18, vcc_lo, v9, v38
	v_mad_u64_u32 v[8:9], null, s12, v17, 0
	v_add_co_u32 v205, s2, v42, v12
	v_or_b32_e32 v18, 8, v18
	v_add_co_ci_u32_e64 v206, null, v43, v13, s2
	v_sub_co_ci_u32_e64 v13, null, v7, v39, vcc_lo
	v_mad_u64_u32 v[11:12], null, s13, v14, v[11:12]
	v_mov_b32_e32 v7, v9
	v_add_co_u32 v207, vcc_lo, v42, v18
	v_add_co_ci_u32_e64 v208, null, v43, v13, vcc_lo
	v_mad_u64_u32 v[12:13], null, s13, v17, v[7:8]
	v_sub_co_u32 v13, vcc_lo, v10, v38
	v_sub_co_ci_u32_e64 v11, null, v11, v39, vcc_lo
	v_add_nc_u32_e32 v14, 0x430, v15
	v_sub_co_u32 v9, vcc_lo, v8, v38
	v_add_nc_u32_e32 v17, 0x310, v15
	v_sub_co_ci_u32_e64 v12, null, v12, v39, vcc_lo
	v_mad_u64_u32 v[7:8], null, s12, v14, 0
	v_or_b32_e32 v18, 8, v9
	v_mad_u64_u32 v[9:10], null, s12, v17, 0
	v_add_co_u32 v209, vcc_lo, v42, v13
	v_add_co_ci_u32_e64 v210, null, v43, v11, vcc_lo
	v_add_co_u32 v211, vcc_lo, v42, v18
	v_add_co_ci_u32_e64 v212, null, v43, v12, vcc_lo
	v_mad_u64_u32 v[11:12], null, s13, v14, v[8:9]
	v_add_nc_u32_e32 v14, 0x420, v15
	v_add_nc_u32_e32 v173, 0x4300, v169
	;; [unrolled: 1-line block ×3, first 2 shown]
	v_mad_u32_u24 v176, 0x10c0, v1, v169
	v_cmp_gt_u32_e64 s1, 64, v44
	v_or_b32_e32 v180, 1, v170
	v_mad_u64_u32 v[12:13], null, s13, v17, v[10:11]
	v_sub_co_u32 v10, vcc_lo, v9, v38
	v_mad_u64_u32 v[8:9], null, s12, v14, 0
	v_add_nc_u32_e32 v17, 0x320, v15
	v_sub_co_u32 v13, s2, v7, v38
	v_sub_co_ci_u32_e64 v11, null, v11, v39, s2
	v_or_b32_e32 v19, 8, v10
	v_mov_b32_e32 v7, v9
	v_mad_u64_u32 v[9:10], null, s12, v17, 0
	v_sub_co_ci_u32_e64 v18, null, v12, v39, vcc_lo
	v_add_co_u32 v213, vcc_lo, v42, v13
	v_add_co_ci_u32_e64 v214, null, v43, v11, vcc_lo
	v_mad_u64_u32 v[11:12], null, s13, v14, v[7:8]
	v_mov_b32_e32 v7, v10
	v_add_nc_u32_e32 v12, 0x410, v15
	v_add_co_u32 v215, vcc_lo, v42, v19
	v_add_co_ci_u32_e64 v216, null, v43, v18, vcc_lo
	v_sub_co_u32 v13, vcc_lo, v8, v38
	v_sub_co_ci_u32_e64 v14, null, v11, v39, vcc_lo
	v_mad_u64_u32 v[7:8], null, s13, v17, v[7:8]
	v_mad_u64_u32 v[10:11], null, s12, v12, 0
	v_sub_co_u32 v8, vcc_lo, v9, v38
	v_add_co_u32 v217, s2, v42, v13
	v_sub_co_ci_u32_e64 v13, null, v7, v39, vcc_lo
	v_mov_b32_e32 v7, v11
	v_add_nc_u32_e32 v17, 0x330, v15
	v_add_nc_u32_e32 v15, 0x400, v15
	v_add_co_ci_u32_e64 v218, null, v43, v14, s2
	v_or_b32_e32 v14, 8, v8
	v_mad_u64_u32 v[7:8], null, s13, v12, v[7:8]
	v_mad_u64_u32 v[8:9], null, s12, v17, 0
	;; [unrolled: 1-line block ×3, first 2 shown]
	v_add_co_u32 v219, vcc_lo, v42, v14
	v_add_co_ci_u32_e64 v220, null, v43, v13, vcc_lo
	v_sub_co_u32 v10, vcc_lo, v10, v38
	v_sub_co_ci_u32_e64 v13, null, v7, v39, vcc_lo
	v_mov_b32_e32 v7, v9
	v_mov_b32_e32 v9, v12
	v_add_co_u32 v221, vcc_lo, v42, v10
	v_add_co_ci_u32_e64 v222, null, v43, v13, vcc_lo
	v_mad_u64_u32 v[12:13], null, s13, v17, v[7:8]
	v_sub_co_u32 v7, vcc_lo, v8, v38
	v_mad_u64_u32 v[9:10], null, s13, v15, v[9:10]
	v_sub_co_u32 v8, s2, v11, v38
	v_or_b32_e32 v7, 8, v7
	v_sub_co_ci_u32_e64 v10, null, v12, v39, vcc_lo
	v_or_b32_e32 v8, 8, v8
	v_sub_co_ci_u32_e64 v9, null, v9, v39, s2
	v_add_co_u32 v223, vcc_lo, v42, v7
	v_add_co_ci_u32_e64 v224, null, v43, v10, vcc_lo
	v_add_co_u32 v225, vcc_lo, v42, v8
	v_or_b32_e32 v181, 2, v170
	v_or_b32_e32 v182, 3, v170
	v_add_nc_u32_e32 v183, 16, v170
	v_add_nc_u32_e32 v184, 17, v170
	;; [unrolled: 1-line block ×12, first 2 shown]
	v_mov_b32_e32 v6, 0
	v_add_co_ci_u32_e64 v226, null, v43, v9, vcc_lo
	v_add_nc_u32_e32 v227, v177, v16
	s_add_i32 s8, s22, -2
	s_add_i32 s9, s18, 64
	s_lshl_b64 s[4:5], s[12:13], 10
	s_cmp_eq_u32 s8, s6
	s_cselect_b32 s10, s23, 0
	s_and_saveexec_b32 s2, s0
	s_cbranch_execz .LBB124_102
.LBB124_98:
	v_cmp_le_i32_e32 vcc_lo, s10, v0
	s_cmp_lg_u32 s10, 0
	s_cselect_b32 s12, -1, 0
	s_and_b32 s12, s12, vcc_lo
	s_and_saveexec_b32 s13, s12
	s_xor_b32 s12, exec_lo, s13
	s_cbranch_execz .LBB124_100
; %bb.99:
	v_mov_b32_e32 v7, v6
	v_mov_b32_e32 v8, v6
	;; [unrolled: 1-line block ×3, first 2 shown]
	ds_write_b128 v173, v[6:9]
.LBB124_100:
	s_andn2_saveexec_b32 s12, s12
	s_cbranch_execz .LBB124_102
; %bb.101:
	s_ashr_i32 s12, s9, 31
	s_mul_hi_u32 s13, s20, s9
	s_mul_i32 s12, s20, s12
	s_mul_i32 s14, s21, s9
	s_add_i32 s13, s13, s12
	s_mul_i32 s12, s20, s9
	s_add_i32 s13, s13, s14
	s_lshl_b64 s[12:13], s[12:13], 4
	v_add_co_u32 v7, vcc_lo, v171, s12
	v_add_co_ci_u32_e64 v8, null, s13, v172, vcc_lo
	global_load_dwordx4 v[7:10], v[7:8], off
	s_waitcnt vmcnt(0)
	ds_write2_b64 v173, v[7:8], v[9:10] offset1:1
.LBB124_102:                            ; =>This Inner Loop Header: Depth=1
	s_or_b32 exec_lo, exec_lo, s2
	s_cmp_eq_u32 s10, 0
	v_add_co_u32 v19, vcc_lo, v195, v169
	s_cselect_b32 s12, -1, 0
	s_cmp_lg_u32 s10, 0
	v_add_co_ci_u32_e64 v20, null, 0, v196, vcc_lo
	s_cselect_b32 s2, -1, 0
	s_waitcnt lgkmcnt(0)
	s_and_b32 vcc_lo, exec_lo, s2
	s_barrier
	buffer_gl0_inv
	s_cbranch_vccz .LBB124_110
; %bb.103:                              ;   in Loop: Header=BB124_102 Depth=1
	v_mov_b32_e32 v7, 0
	v_mov_b32_e32 v11, 0
	;; [unrolled: 1-line block ×6, first 2 shown]
	s_mov_b32 s13, exec_lo
	v_cmpx_gt_i32_e64 s10, v170
	s_cbranch_execz .LBB124_105
; %bb.104:                              ;   in Loop: Header=BB124_102 Depth=1
	global_load_dwordx4 v[11:14], v[19:20], off offset:-8
.LBB124_105:                            ;   in Loop: Header=BB124_102 Depth=1
	s_or_b32 exec_lo, exec_lo, s13
	v_mov_b32_e32 v9, 0
	v_mov_b32_e32 v10, 0
	s_mov_b32 s13, exec_lo
	v_cmpx_gt_i32_e64 s10, v180
	s_cbranch_execz .LBB124_107
; %bb.106:                              ;   in Loop: Header=BB124_102 Depth=1
	v_add_co_u32 v7, vcc_lo, v203, v169
	v_add_co_ci_u32_e64 v8, null, 0, v204, vcc_lo
	global_load_dwordx4 v[7:10], v[7:8], off offset:-8
.LBB124_107:                            ;   in Loop: Header=BB124_102 Depth=1
	s_or_b32 exec_lo, exec_lo, s13
	v_mov_b32_e32 v15, 0
	v_mov_b32_e32 v17, 0
	;; [unrolled: 1-line block ×4, first 2 shown]
	s_mov_b32 s13, exec_lo
	v_cmpx_gt_i32_e64 s10, v181
	s_cbranch_execz .LBB124_109
; %bb.108:                              ;   in Loop: Header=BB124_102 Depth=1
	v_add_co_u32 v15, vcc_lo, v199, v169
	v_add_co_ci_u32_e64 v16, null, 0, v200, vcc_lo
	global_load_dwordx4 v[15:18], v[15:16], off
.LBB124_109:                            ;   in Loop: Header=BB124_102 Depth=1
	s_or_b32 exec_lo, exec_lo, s13
	v_cmp_gt_i32_e64 s13, s10, v182
	s_branch .LBB124_112
.LBB124_110:                            ;   in Loop: Header=BB124_102 Depth=1
	s_mov_b32 s13, 0
                                        ; implicit-def: $vgpr17_vgpr18
                                        ; implicit-def: $vgpr9_vgpr10
                                        ; implicit-def: $vgpr13_vgpr14
	s_cbranch_execz .LBB124_112
; %bb.111:                              ;   in Loop: Header=BB124_102 Depth=1
	s_waitcnt vmcnt(0)
	v_add_co_u32 v7, vcc_lo, v203, v169
	v_add_co_ci_u32_e64 v8, null, 0, v204, vcc_lo
	v_add_co_u32 v15, vcc_lo, v199, v169
	v_add_co_ci_u32_e64 v16, null, 0, v200, vcc_lo
	global_load_dwordx4 v[11:14], v[19:20], off offset:-8
	global_load_dwordx4 v[7:10], v[7:8], off offset:-8
	global_load_dwordx4 v[15:18], v[15:16], off
	s_or_b32 s13, s13, exec_lo
.LBB124_112:                            ;   in Loop: Header=BB124_102 Depth=1
	v_mov_b32_e32 v19, 0
	v_mov_b32_e32 v21, 0
	;; [unrolled: 1-line block ×4, first 2 shown]
	s_and_saveexec_b32 s14, s13
	s_cbranch_execz .LBB124_114
; %bb.113:                              ;   in Loop: Header=BB124_102 Depth=1
	v_add_co_u32 v19, vcc_lo, v207, v169
	v_add_co_ci_u32_e64 v20, null, 0, v208, vcc_lo
	global_load_dwordx4 v[19:22], v[19:20], off offset:-8
.LBB124_114:                            ;   in Loop: Header=BB124_102 Depth=1
	s_or_b32 exec_lo, exec_lo, s14
	ds_read_b128 v[23:26], v175
	v_cndmask_b32_e64 v119, 0, 1, s2
	s_waitcnt vmcnt(0) lgkmcnt(0)
	v_mul_f64 v[27:28], v[13:14], v[25:26]
	v_mul_f64 v[29:30], v[11:12], v[25:26]
	;; [unrolled: 1-line block ×8, first 2 shown]
	v_fma_f64 v[39:40], v[11:12], v[23:24], -v[27:28]
	v_fma_f64 v[41:42], v[13:14], v[23:24], v[29:30]
	v_fma_f64 v[43:44], v[7:8], v[23:24], -v[31:32]
	v_fma_f64 v[45:46], v[9:10], v[23:24], v[33:34]
	;; [unrolled: 2-line block ×4, first 2 shown]
	ds_read_b128 v[35:38], v174
	ds_read_b128 v[31:34], v174 offset:16
	ds_read_b128 v[27:30], v174 offset:32
	;; [unrolled: 1-line block ×3, first 2 shown]
	ds_write_b128 v176, v[39:42]
	ds_write_b128 v176, v[43:46] offset:1072
	ds_write_b128 v176, v[47:50] offset:2144
	;; [unrolled: 1-line block ×3, first 2 shown]
	s_waitcnt lgkmcnt(0)
	s_barrier
	buffer_gl0_inv
	ds_read_b128 v[99:102], v177
	ds_read_b128 v[95:98], v177 offset:16
	ds_read_b128 v[91:94], v177 offset:32
	;; [unrolled: 1-line block ×3, first 2 shown]
	v_add_co_u32 v51, vcc_lo, v211, v169
	v_add_co_ci_u32_e64 v52, null, 0, v212, vcc_lo
	s_andn2_b32 vcc_lo, exec_lo, s2
	s_waitcnt lgkmcnt(0)
	s_barrier
	buffer_gl0_inv
	s_cbranch_vccnz .LBB124_122
; %bb.115:                              ;   in Loop: Header=BB124_102 Depth=1
	v_mov_b32_e32 v39, 0
	v_mov_b32_e32 v43, 0
	;; [unrolled: 1-line block ×6, first 2 shown]
	s_mov_b32 s2, exec_lo
	v_cmpx_gt_i32_e64 s10, v183
	s_cbranch_execz .LBB124_117
; %bb.116:                              ;   in Loop: Header=BB124_102 Depth=1
	global_load_dwordx4 v[43:46], v[51:52], off offset:-8
.LBB124_117:                            ;   in Loop: Header=BB124_102 Depth=1
	s_or_b32 exec_lo, exec_lo, s2
	v_mov_b32_e32 v41, 0
	v_mov_b32_e32 v42, 0
	s_mov_b32 s2, exec_lo
	v_cmpx_gt_i32_e64 s10, v184
	s_cbranch_execz .LBB124_119
; %bb.118:                              ;   in Loop: Header=BB124_102 Depth=1
	v_add_co_u32 v39, vcc_lo, v215, v169
	v_add_co_ci_u32_e64 v40, null, 0, v216, vcc_lo
	global_load_dwordx4 v[39:42], v[39:40], off offset:-8
.LBB124_119:                            ;   in Loop: Header=BB124_102 Depth=1
	s_or_b32 exec_lo, exec_lo, s2
	v_mov_b32_e32 v47, 0
	v_mov_b32_e32 v49, 0
	;; [unrolled: 1-line block ×4, first 2 shown]
	s_mov_b32 s2, exec_lo
	v_cmpx_gt_i32_e64 s10, v185
	s_cbranch_execz .LBB124_121
; %bb.120:                              ;   in Loop: Header=BB124_102 Depth=1
	v_add_co_u32 v47, vcc_lo, v219, v169
	v_add_co_ci_u32_e64 v48, null, 0, v220, vcc_lo
	global_load_dwordx4 v[47:50], v[47:48], off offset:-8
.LBB124_121:                            ;   in Loop: Header=BB124_102 Depth=1
	s_or_b32 exec_lo, exec_lo, s2
	v_cmp_gt_i32_e64 s2, s10, v186
	s_branch .LBB124_124
.LBB124_122:                            ;   in Loop: Header=BB124_102 Depth=1
	s_mov_b32 s2, 0
                                        ; implicit-def: $vgpr49_vgpr50
                                        ; implicit-def: $vgpr41_vgpr42
                                        ; implicit-def: $vgpr45_vgpr46
	s_cbranch_execz .LBB124_124
; %bb.123:                              ;   in Loop: Header=BB124_102 Depth=1
	s_waitcnt vmcnt(0)
	v_add_co_u32 v39, vcc_lo, v215, v169
	v_add_co_ci_u32_e64 v40, null, 0, v216, vcc_lo
	v_add_co_u32 v47, vcc_lo, v219, v169
	v_add_co_ci_u32_e64 v48, null, 0, v220, vcc_lo
	global_load_dwordx4 v[43:46], v[51:52], off offset:-8
	global_load_dwordx4 v[39:42], v[39:40], off offset:-8
	;; [unrolled: 1-line block ×3, first 2 shown]
	s_or_b32 s2, s2, exec_lo
.LBB124_124:                            ;   in Loop: Header=BB124_102 Depth=1
	v_mov_b32_e32 v51, 0
	v_mov_b32_e32 v53, 0
	;; [unrolled: 1-line block ×4, first 2 shown]
	s_and_saveexec_b32 s13, s2
	s_cbranch_execz .LBB124_126
; %bb.125:                              ;   in Loop: Header=BB124_102 Depth=1
	v_add_co_u32 v51, vcc_lo, v223, v169
	v_add_co_ci_u32_e64 v52, null, 0, v224, vcc_lo
	global_load_dwordx4 v[51:54], v[51:52], off offset:-8
.LBB124_126:                            ;   in Loop: Header=BB124_102 Depth=1
	s_or_b32 exec_lo, exec_lo, s13
	ds_read_b128 v[55:58], v175
	v_cmp_ne_u32_e32 vcc_lo, 1, v119
	s_and_b32 vcc_lo, exec_lo, vcc_lo
	s_waitcnt vmcnt(0) lgkmcnt(0)
	v_mul_f64 v[59:60], v[45:46], v[57:58]
	v_mul_f64 v[61:62], v[43:44], v[57:58]
	;; [unrolled: 1-line block ×8, first 2 shown]
	v_fma_f64 v[71:72], v[43:44], v[55:56], -v[59:60]
	v_fma_f64 v[73:74], v[45:46], v[55:56], v[61:62]
	v_fma_f64 v[75:76], v[39:40], v[55:56], -v[63:64]
	v_fma_f64 v[77:78], v[41:42], v[55:56], v[65:66]
	v_fma_f64 v[79:80], v[47:48], v[55:56], -v[67:68]
	v_fma_f64 v[81:82], v[49:50], v[55:56], v[69:70]
	v_fma_f64 v[87:88], v[51:52], v[55:56], -v[87:88]
	v_fma_f64 v[89:90], v[53:54], v[55:56], v[57:58]
	ds_read_b128 v[67:70], v174 offset:256
	ds_read_b128 v[63:66], v174 offset:272
	;; [unrolled: 1-line block ×4, first 2 shown]
	ds_write_b128 v176, v[71:74]
	ds_write_b128 v176, v[75:78] offset:1072
	ds_write_b128 v176, v[79:82] offset:2144
	;; [unrolled: 1-line block ×3, first 2 shown]
	s_waitcnt lgkmcnt(0)
	s_barrier
	buffer_gl0_inv
	ds_read_b128 v[147:150], v177
	ds_read_b128 v[143:146], v177 offset:16
	ds_read_b128 v[139:142], v177 offset:32
	;; [unrolled: 1-line block ×3, first 2 shown]
	v_add_co_u32 v87, s2, v225, v169
	v_add_co_ci_u32_e64 v88, null, 0, v226, s2
	s_waitcnt lgkmcnt(0)
	s_barrier
	buffer_gl0_inv
	s_cbranch_vccnz .LBB124_134
; %bb.127:                              ;   in Loop: Header=BB124_102 Depth=1
	v_mov_b32_e32 v71, 0
	v_mov_b32_e32 v75, 0
	;; [unrolled: 1-line block ×6, first 2 shown]
	s_mov_b32 s2, exec_lo
	v_cmpx_gt_i32_e64 s10, v187
	s_cbranch_execz .LBB124_129
; %bb.128:                              ;   in Loop: Header=BB124_102 Depth=1
	global_load_dwordx4 v[75:78], v[87:88], off offset:-8
.LBB124_129:                            ;   in Loop: Header=BB124_102 Depth=1
	s_or_b32 exec_lo, exec_lo, s2
	v_mov_b32_e32 v73, 0
	v_mov_b32_e32 v74, 0
	s_mov_b32 s2, exec_lo
	v_cmpx_gt_i32_e64 s10, v188
	s_cbranch_execz .LBB124_131
; %bb.130:                              ;   in Loop: Header=BB124_102 Depth=1
	v_add_co_u32 v71, vcc_lo, v221, v169
	v_add_co_ci_u32_e64 v72, null, 0, v222, vcc_lo
	global_load_dwordx4 v[71:74], v[71:72], off
.LBB124_131:                            ;   in Loop: Header=BB124_102 Depth=1
	s_or_b32 exec_lo, exec_lo, s2
	v_mov_b32_e32 v79, 0
	v_mov_b32_e32 v81, 0
	;; [unrolled: 1-line block ×4, first 2 shown]
	s_mov_b32 s2, exec_lo
	v_cmpx_gt_i32_e64 s10, v189
	s_cbranch_execz .LBB124_133
; %bb.132:                              ;   in Loop: Header=BB124_102 Depth=1
	v_add_co_u32 v79, vcc_lo, v217, v169
	v_add_co_ci_u32_e64 v80, null, 0, v218, vcc_lo
	global_load_dwordx4 v[79:82], v[79:80], off
.LBB124_133:                            ;   in Loop: Header=BB124_102 Depth=1
	s_or_b32 exec_lo, exec_lo, s2
	v_cmp_gt_i32_e64 s2, s10, v190
	s_branch .LBB124_136
.LBB124_134:                            ;   in Loop: Header=BB124_102 Depth=1
	s_mov_b32 s2, 0
                                        ; implicit-def: $vgpr81_vgpr82
                                        ; implicit-def: $vgpr73_vgpr74
                                        ; implicit-def: $vgpr77_vgpr78
	s_cbranch_execz .LBB124_136
; %bb.135:                              ;   in Loop: Header=BB124_102 Depth=1
	s_waitcnt vmcnt(0)
	v_add_co_u32 v71, vcc_lo, v221, v169
	v_add_co_ci_u32_e64 v72, null, 0, v222, vcc_lo
	v_add_co_u32 v79, vcc_lo, v217, v169
	v_add_co_ci_u32_e64 v80, null, 0, v218, vcc_lo
	global_load_dwordx4 v[75:78], v[87:88], off offset:-8
	global_load_dwordx4 v[71:74], v[71:72], off
	global_load_dwordx4 v[79:82], v[79:80], off
	s_or_b32 s2, s2, exec_lo
.LBB124_136:                            ;   in Loop: Header=BB124_102 Depth=1
	v_mov_b32_e32 v87, 0
	v_mov_b32_e32 v89, 0
	;; [unrolled: 1-line block ×4, first 2 shown]
	s_and_saveexec_b32 s13, s2
	s_cbranch_execz .LBB124_138
; %bb.137:                              ;   in Loop: Header=BB124_102 Depth=1
	v_add_co_u32 v87, vcc_lo, v213, v169
	v_add_co_ci_u32_e64 v88, null, 0, v214, vcc_lo
	global_load_dwordx4 v[87:90], v[87:88], off
.LBB124_138:                            ;   in Loop: Header=BB124_102 Depth=1
	s_or_b32 exec_lo, exec_lo, s13
	ds_read_b128 v[103:106], v175
	v_cmp_ne_u32_e32 vcc_lo, 1, v119
	s_and_b32 vcc_lo, exec_lo, vcc_lo
	s_waitcnt vmcnt(0) lgkmcnt(0)
	v_mul_f64 v[107:108], v[77:78], v[105:106]
	v_mul_f64 v[109:110], v[75:76], v[105:106]
	;; [unrolled: 1-line block ×8, first 2 shown]
	v_fma_f64 v[120:121], v[75:76], v[103:104], -v[107:108]
	v_fma_f64 v[122:123], v[77:78], v[103:104], v[109:110]
	v_fma_f64 v[124:125], v[71:72], v[103:104], -v[111:112]
	v_fma_f64 v[126:127], v[73:74], v[103:104], v[113:114]
	;; [unrolled: 2-line block ×4, first 2 shown]
	ds_read_b128 v[115:118], v174 offset:512
	ds_read_b128 v[111:114], v174 offset:528
	;; [unrolled: 1-line block ×4, first 2 shown]
	ds_write_b128 v176, v[120:123]
	ds_write_b128 v176, v[124:127] offset:1072
	ds_write_b128 v176, v[128:131] offset:2144
	;; [unrolled: 1-line block ×3, first 2 shown]
	s_waitcnt lgkmcnt(0)
	s_barrier
	buffer_gl0_inv
	ds_read_b128 v[163:166], v177
	ds_read_b128 v[159:162], v177 offset:16
	ds_read_b128 v[155:158], v177 offset:32
	;; [unrolled: 1-line block ×3, first 2 shown]
	v_add_co_u32 v131, s2, v209, v169
	v_add_co_ci_u32_e64 v132, null, 0, v210, s2
	s_waitcnt lgkmcnt(0)
	s_barrier
	buffer_gl0_inv
	s_cbranch_vccnz .LBB124_146
; %bb.139:                              ;   in Loop: Header=BB124_102 Depth=1
	v_mov_b32_e32 v119, 0
	v_mov_b32_e32 v123, 0
	v_mov_b32_e32 v125, 0
	v_mov_b32_e32 v120, 0
	v_mov_b32_e32 v124, 0
	v_mov_b32_e32 v126, 0
	s_mov_b32 s2, exec_lo
	v_cmpx_gt_i32_e64 s10, v191
	s_cbranch_execz .LBB124_141
; %bb.140:                              ;   in Loop: Header=BB124_102 Depth=1
	global_load_dwordx4 v[123:126], v[131:132], off
.LBB124_141:                            ;   in Loop: Header=BB124_102 Depth=1
	s_or_b32 exec_lo, exec_lo, s2
	v_mov_b32_e32 v121, 0
	v_mov_b32_e32 v122, 0
	s_mov_b32 s2, exec_lo
	v_cmpx_gt_i32_e64 s10, v192
	s_cbranch_execz .LBB124_143
; %bb.142:                              ;   in Loop: Header=BB124_102 Depth=1
	v_add_co_u32 v119, vcc_lo, v205, v169
	v_add_co_ci_u32_e64 v120, null, 0, v206, vcc_lo
	global_load_dwordx4 v[119:122], v[119:120], off
.LBB124_143:                            ;   in Loop: Header=BB124_102 Depth=1
	s_or_b32 exec_lo, exec_lo, s2
	v_mov_b32_e32 v127, 0
	v_mov_b32_e32 v129, 0
	;; [unrolled: 1-line block ×4, first 2 shown]
	s_mov_b32 s2, exec_lo
	v_cmpx_gt_i32_e64 s10, v193
	s_cbranch_execz .LBB124_145
; %bb.144:                              ;   in Loop: Header=BB124_102 Depth=1
	v_add_co_u32 v127, vcc_lo, v201, v169
	v_add_co_ci_u32_e64 v128, null, 0, v202, vcc_lo
	global_load_dwordx4 v[127:130], v[127:128], off
.LBB124_145:                            ;   in Loop: Header=BB124_102 Depth=1
	s_or_b32 exec_lo, exec_lo, s2
	v_cmp_gt_i32_e64 s2, s10, v194
	s_branch .LBB124_148
.LBB124_146:                            ;   in Loop: Header=BB124_102 Depth=1
	s_mov_b32 s2, 0
                                        ; implicit-def: $vgpr129_vgpr130
                                        ; implicit-def: $vgpr121_vgpr122
                                        ; implicit-def: $vgpr125_vgpr126
	s_cbranch_execz .LBB124_148
; %bb.147:                              ;   in Loop: Header=BB124_102 Depth=1
	s_waitcnt vmcnt(0)
	v_add_co_u32 v119, vcc_lo, v205, v169
	v_add_co_ci_u32_e64 v120, null, 0, v206, vcc_lo
	v_add_co_u32 v127, vcc_lo, v201, v169
	v_add_co_ci_u32_e64 v128, null, 0, v202, vcc_lo
	global_load_dwordx4 v[123:126], v[131:132], off
	global_load_dwordx4 v[119:122], v[119:120], off
	;; [unrolled: 1-line block ×3, first 2 shown]
	s_or_b32 s2, s2, exec_lo
.LBB124_148:                            ;   in Loop: Header=BB124_102 Depth=1
	v_mov_b32_e32 v131, 0
	v_mov_b32_e32 v133, 0
	;; [unrolled: 1-line block ×4, first 2 shown]
	s_and_saveexec_b32 s13, s2
	s_cbranch_execz .LBB124_150
; %bb.149:                              ;   in Loop: Header=BB124_102 Depth=1
	v_add_co_u32 v131, vcc_lo, v197, v169
	v_add_co_ci_u32_e64 v132, null, 0, v198, vcc_lo
	global_load_dwordx4 v[131:134], v[131:132], off
.LBB124_150:                            ;   in Loop: Header=BB124_102 Depth=1
	s_or_b32 exec_lo, exec_lo, s13
	ds_read_b128 v[228:231], v175
	v_add_f64 v[163:164], v[163:164], 0
	v_add_f64 v[165:166], v[165:166], 0
	v_add_f64 v[147:148], v[147:148], 0
	v_add_f64 v[149:150], v[149:150], 0
	v_add_f64 v[99:100], v[99:100], 0
	v_add_f64 v[101:102], v[101:102], 0
	v_cmp_gt_i32_e32 vcc_lo, s10, v0
	s_or_b32 s2, s12, vcc_lo
	s_and_b32 s10, s1, s2
	s_waitcnt vmcnt(0) lgkmcnt(0)
	v_mul_f64 v[232:233], v[125:126], v[230:231]
	v_mul_f64 v[234:235], v[123:124], v[230:231]
	;; [unrolled: 1-line block ×8, first 2 shown]
	v_add_f64 v[159:160], v[163:164], v[159:160]
	v_add_f64 v[161:162], v[165:166], v[161:162]
	;; [unrolled: 1-line block ×6, first 2 shown]
	v_fma_f64 v[232:233], v[123:124], v[228:229], -v[232:233]
	v_fma_f64 v[234:235], v[125:126], v[228:229], v[234:235]
	v_fma_f64 v[236:237], v[119:120], v[228:229], -v[236:237]
	v_fma_f64 v[238:239], v[121:122], v[228:229], v[238:239]
	;; [unrolled: 2-line block ×4, first 2 shown]
	v_add_f64 v[147:148], v[159:160], v[155:156]
	v_add_f64 v[149:150], v[161:162], v[157:158]
	;; [unrolled: 1-line block ×6, first 2 shown]
	ds_write_b128 v176, v[232:235]
	ds_write_b128 v176, v[236:239] offset:1072
	ds_write_b128 v176, v[240:243] offset:2144
	ds_read_b128 v[139:142], v174 offset:768
	ds_read_b128 v[99:102], v174 offset:784
	ds_write_b128 v176, v[244:247] offset:3216
	v_add_f64 v[143:144], v[147:148], v[151:152]
	v_add_f64 v[145:146], v[149:150], v[153:154]
	ds_read_b128 v[95:98], v174 offset:800
	ds_read_b128 v[91:94], v174 offset:816
	s_waitcnt lgkmcnt(0)
	s_barrier
	buffer_gl0_inv
	ds_read_b128 v[147:150], v177
	ds_read_b128 v[151:154], v177 offset:16
	v_add_f64 v[135:136], v[155:156], v[135:136]
	v_add_f64 v[137:138], v[157:158], v[137:138]
	;; [unrolled: 1-line block ×4, first 2 shown]
	s_waitcnt lgkmcnt(1)
	v_add_f64 v[147:148], v[147:148], 0
	v_add_f64 v[149:150], v[149:150], 0
	s_waitcnt lgkmcnt(0)
	v_add_f64 v[155:156], v[147:148], v[151:152]
	v_add_f64 v[157:158], v[149:150], v[153:154]
	ds_read_b128 v[147:150], v177 offset:32
	ds_read_b128 v[151:154], v177 offset:48
	s_waitcnt lgkmcnt(0)
	s_barrier
	buffer_gl0_inv
	v_add_f64 v[147:148], v[155:156], v[147:148]
	v_add_f64 v[149:150], v[157:158], v[149:150]
	;; [unrolled: 1-line block ×4, first 2 shown]
	ds_write_b128 v227, v[83:86]
	ds_write_b128 v227, v[135:138] offset:256
	ds_write_b128 v227, v[143:146] offset:512
	;; [unrolled: 1-line block ×3, first 2 shown]
	s_waitcnt lgkmcnt(0)
	s_barrier
	buffer_gl0_inv
	s_and_saveexec_b32 s2, s10
	s_cbranch_execz .LBB124_152
; %bb.151:                              ;   in Loop: Header=BB124_102 Depth=1
	ds_read_b128 v[83:86], v178
	ds_read_b128 v[135:138], v178 offset:16
	s_waitcnt lgkmcnt(0)
	v_add_f64 v[143:144], v[135:136], v[83:84]
	v_add_f64 v[145:146], v[137:138], v[85:86]
	ds_read_b128 v[83:86], v178 offset:32
	ds_read_b128 v[135:138], v178 offset:48
	s_waitcnt lgkmcnt(1)
	v_add_f64 v[83:84], v[143:144], v[83:84]
	v_add_f64 v[85:86], v[145:146], v[85:86]
	s_waitcnt lgkmcnt(0)
	v_add_f64 v[143:144], v[83:84], v[135:136]
	v_add_f64 v[145:146], v[85:86], v[137:138]
	ds_read_b128 v[83:86], v178 offset:64
	ds_read_b128 v[135:138], v178 offset:80
	s_waitcnt lgkmcnt(1)
	v_add_f64 v[83:84], v[143:144], v[83:84]
	v_add_f64 v[85:86], v[145:146], v[85:86]
	;; [unrolled: 8-line block ×6, first 2 shown]
	s_waitcnt lgkmcnt(0)
	v_add_f64 v[143:144], v[83:84], v[135:136]
	v_add_f64 v[145:146], v[85:86], v[137:138]
	ds_read_b128 v[83:86], v178 offset:224
	ds_read_b128 v[135:138], v179
	s_waitcnt lgkmcnt(1)
	v_add_f64 v[83:84], v[143:144], v[83:84]
	v_add_f64 v[85:86], v[145:146], v[85:86]
	v_add_nc_u32_e32 v143, s9, v0
	v_ashrrev_i32_e32 v144, 31, v143
	s_waitcnt lgkmcnt(0)
	v_add_f64 v[83:84], v[83:84], v[135:136]
	v_add_f64 v[85:86], v[85:86], v[137:138]
	v_lshlrev_b64 v[135:136], 4, v[143:144]
	v_add_co_u32 v135, vcc_lo, s3, v135
	v_add_co_ci_u32_e64 v136, null, s7, v136, vcc_lo
	global_store_dwordx4 v[135:136], v[83:86], off
.LBB124_152:                            ;   in Loop: Header=BB124_102 Depth=1
	s_or_b32 exec_lo, exec_lo, s2
	v_mul_f64 v[83:84], v[13:14], v[37:38]
	v_mul_f64 v[37:38], v[11:12], v[37:38]
	;; [unrolled: 1-line block ×4, first 2 shown]
	v_add_co_u32 v195, vcc_lo, v195, s4
	v_add_co_ci_u32_e64 v196, null, s5, v196, vcc_lo
	v_add_co_u32 v197, vcc_lo, v197, s4
	v_add_co_ci_u32_e64 v198, null, s5, v198, vcc_lo
	;; [unrolled: 2-line block ×4, first 2 shown]
	v_add_co_u32 v203, vcc_lo, v203, s4
	v_fma_f64 v[11:12], v[11:12], v[35:36], -v[83:84]
	v_fma_f64 v[13:14], v[13:14], v[35:36], v[37:38]
	v_mul_f64 v[35:36], v[17:18], v[29:30]
	v_mul_f64 v[29:30], v[15:16], v[29:30]
	v_fma_f64 v[7:8], v[7:8], v[31:32], -v[85:86]
	v_fma_f64 v[9:10], v[9:10], v[31:32], v[33:34]
	v_add_co_ci_u32_e64 v204, null, s5, v204, vcc_lo
	v_add_co_u32 v205, vcc_lo, v205, s4
	v_add_co_ci_u32_e64 v206, null, s5, v206, vcc_lo
	v_add_co_u32 v207, vcc_lo, v207, s4
	;; [unrolled: 2-line block ×4, first 2 shown]
	v_add_f64 v[2:3], v[2:3], v[11:12]
	v_add_f64 v[4:5], v[4:5], v[13:14]
	v_mul_f64 v[11:12], v[21:22], v[25:26]
	v_mul_f64 v[13:14], v[19:20], v[25:26]
	v_fma_f64 v[15:16], v[15:16], v[27:28], -v[35:36]
	v_fma_f64 v[17:18], v[17:18], v[27:28], v[29:30]
	v_add_co_ci_u32_e64 v212, null, s5, v212, vcc_lo
	v_add_co_u32 v213, vcc_lo, v213, s4
	v_add_co_ci_u32_e64 v214, null, s5, v214, vcc_lo
	v_add_co_u32 v215, vcc_lo, v215, s4
	;; [unrolled: 2-line block ×4, first 2 shown]
	v_add_f64 v[2:3], v[2:3], v[7:8]
	v_add_f64 v[4:5], v[4:5], v[9:10]
	v_mul_f64 v[7:8], v[45:46], v[69:70]
	v_mul_f64 v[9:10], v[43:44], v[69:70]
	v_fma_f64 v[11:12], v[19:20], v[23:24], -v[11:12]
	v_fma_f64 v[13:14], v[21:22], v[23:24], v[13:14]
	v_add_co_ci_u32_e64 v220, null, s5, v220, vcc_lo
	v_add_co_u32 v221, vcc_lo, v221, s4
	v_add_co_ci_u32_e64 v222, null, s5, v222, vcc_lo
	v_add_co_u32 v223, vcc_lo, v223, s4
	;; [unrolled: 2-line block ×3, first 2 shown]
	v_add_co_ci_u32_e64 v226, null, s5, v226, vcc_lo
	s_add_i32 s2, s6, 1
	s_add_i32 s6, s6, 2
	v_add_f64 v[2:3], v[2:3], v[15:16]
	v_add_f64 v[4:5], v[4:5], v[17:18]
	v_mul_f64 v[15:16], v[41:42], v[65:66]
	v_mul_f64 v[17:18], v[39:40], v[65:66]
	v_fma_f64 v[7:8], v[43:44], v[67:68], -v[7:8]
	v_fma_f64 v[9:10], v[45:46], v[67:68], v[9:10]
	s_add_i32 s9, s9, 64
	s_cmp_ge_u32 s6, s22
	s_waitcnt_vscnt null, 0x0
	s_barrier
	buffer_gl0_inv
	v_add_f64 v[2:3], v[2:3], v[11:12]
	v_add_f64 v[4:5], v[4:5], v[13:14]
	v_mul_f64 v[11:12], v[49:50], v[61:62]
	v_mul_f64 v[13:14], v[47:48], v[61:62]
	v_fma_f64 v[15:16], v[39:40], v[63:64], -v[15:16]
	v_fma_f64 v[17:18], v[41:42], v[63:64], v[17:18]
	v_add_f64 v[2:3], v[2:3], v[7:8]
	v_add_f64 v[4:5], v[4:5], v[9:10]
	v_mul_f64 v[7:8], v[53:54], v[57:58]
	v_mul_f64 v[9:10], v[51:52], v[57:58]
	v_fma_f64 v[11:12], v[47:48], v[59:60], -v[11:12]
	v_fma_f64 v[13:14], v[49:50], v[59:60], v[13:14]
	;; [unrolled: 6-line block ×10, first 2 shown]
	v_add_f64 v[2:3], v[2:3], v[7:8]
	v_add_f64 v[4:5], v[4:5], v[9:10]
	v_fma_f64 v[7:8], v[131:132], v[91:92], -v[11:12]
	v_fma_f64 v[9:10], v[133:134], v[91:92], v[13:14]
	v_add_f64 v[2:3], v[2:3], v[15:16]
	v_add_f64 v[4:5], v[4:5], v[17:18]
	;; [unrolled: 1-line block ×4, first 2 shown]
	s_cbranch_scc1 .LBB124_154
; %bb.153:                              ;   in Loop: Header=BB124_102 Depth=1
	s_mov_b32 s6, s2
	s_cmp_eq_u32 s8, s6
	s_cselect_b32 s10, s23, 0
	s_and_saveexec_b32 s2, s0
	s_cbranch_execnz .LBB124_98
	s_branch .LBB124_102
.LBB124_154:
	v_cmp_gt_i32_e32 vcc_lo, s16, v0
	v_mad_u32_u24 v1, 0x430, v1, v169
	s_or_b32 s1, s11, vcc_lo
	ds_write_b128 v1, v[2:5]
	s_and_b32 s0, s0, s1
	s_waitcnt lgkmcnt(0)
	s_barrier
	buffer_gl0_inv
	s_and_saveexec_b32 s1, s0
	s_cbranch_execz .LBB124_156
; %bb.155:
	ds_read_b128 v[0:3], v169 offset:1072
	ds_read_b128 v[4:7], v169
	s_waitcnt lgkmcnt(0)
	v_add_f64 v[8:9], v[0:1], v[4:5]
	v_add_f64 v[10:11], v[2:3], v[6:7]
	ds_read_b128 v[0:3], v169 offset:2144
	ds_read_b128 v[4:7], v169 offset:3216
	s_waitcnt lgkmcnt(1)
	v_add_f64 v[0:1], v[8:9], v[0:1]
	v_add_f64 v[2:3], v[10:11], v[2:3]
	s_waitcnt lgkmcnt(0)
	v_add_f64 v[0:1], v[0:1], v[4:5]
	v_add_f64 v[2:3], v[2:3], v[6:7]
	v_lshlrev_b64 v[4:5], 4, v[167:168]
	v_add_co_u32 v4, vcc_lo, s3, v4
	v_add_co_ci_u32_e64 v5, null, s7, v5, vcc_lo
	global_store_dwordx4 v[4:5], v[0:3], off
.LBB124_156:
	s_endpgm
	.section	.rodata,"a",@progbits
	.p2align	6, 0x0
	.amdhsa_kernel _ZL26rocblas_hemvn_kernel_upperILb0ELi64ELi4ELi33ELi32ELi16El19rocblas_complex_numIdEPKS1_PS1_EviT6_lT7_lT5_lS6_lS7_lS5_lT8_i
		.amdhsa_group_segment_fixed_size 19200
		.amdhsa_private_segment_fixed_size 0
		.amdhsa_kernarg_size 392
		.amdhsa_user_sgpr_count 6
		.amdhsa_user_sgpr_private_segment_buffer 1
		.amdhsa_user_sgpr_dispatch_ptr 0
		.amdhsa_user_sgpr_queue_ptr 0
		.amdhsa_user_sgpr_kernarg_segment_ptr 1
		.amdhsa_user_sgpr_dispatch_id 0
		.amdhsa_user_sgpr_flat_scratch_init 0
		.amdhsa_user_sgpr_private_segment_size 0
		.amdhsa_wavefront_size32 1
		.amdhsa_uses_dynamic_stack 0
		.amdhsa_system_sgpr_private_segment_wavefront_offset 0
		.amdhsa_system_sgpr_workgroup_id_x 1
		.amdhsa_system_sgpr_workgroup_id_y 0
		.amdhsa_system_sgpr_workgroup_id_z 1
		.amdhsa_system_sgpr_workgroup_info 0
		.amdhsa_system_vgpr_workitem_id 1
		.amdhsa_next_free_vgpr 248
		.amdhsa_next_free_sgpr 30
		.amdhsa_reserve_vcc 1
		.amdhsa_reserve_flat_scratch 0
		.amdhsa_float_round_mode_32 0
		.amdhsa_float_round_mode_16_64 0
		.amdhsa_float_denorm_mode_32 3
		.amdhsa_float_denorm_mode_16_64 3
		.amdhsa_dx10_clamp 1
		.amdhsa_ieee_mode 1
		.amdhsa_fp16_overflow 0
		.amdhsa_workgroup_processor_mode 1
		.amdhsa_memory_ordered 1
		.amdhsa_forward_progress 1
		.amdhsa_shared_vgpr_count 0
		.amdhsa_exception_fp_ieee_invalid_op 0
		.amdhsa_exception_fp_denorm_src 0
		.amdhsa_exception_fp_ieee_div_zero 0
		.amdhsa_exception_fp_ieee_overflow 0
		.amdhsa_exception_fp_ieee_underflow 0
		.amdhsa_exception_fp_ieee_inexact 0
		.amdhsa_exception_int_div_zero 0
	.end_amdhsa_kernel
	.section	.text._ZL26rocblas_hemvn_kernel_upperILb0ELi64ELi4ELi33ELi32ELi16El19rocblas_complex_numIdEPKS1_PS1_EviT6_lT7_lT5_lS6_lS7_lS5_lT8_i,"axG",@progbits,_ZL26rocblas_hemvn_kernel_upperILb0ELi64ELi4ELi33ELi32ELi16El19rocblas_complex_numIdEPKS1_PS1_EviT6_lT7_lT5_lS6_lS7_lS5_lT8_i,comdat
.Lfunc_end124:
	.size	_ZL26rocblas_hemvn_kernel_upperILb0ELi64ELi4ELi33ELi32ELi16El19rocblas_complex_numIdEPKS1_PS1_EviT6_lT7_lT5_lS6_lS7_lS5_lT8_i, .Lfunc_end124-_ZL26rocblas_hemvn_kernel_upperILb0ELi64ELi4ELi33ELi32ELi16El19rocblas_complex_numIdEPKS1_PS1_EviT6_lT7_lT5_lS6_lS7_lS5_lT8_i
                                        ; -- End function
	.set _ZL26rocblas_hemvn_kernel_upperILb0ELi64ELi4ELi33ELi32ELi16El19rocblas_complex_numIdEPKS1_PS1_EviT6_lT7_lT5_lS6_lS7_lS5_lT8_i.num_vgpr, 248
	.set _ZL26rocblas_hemvn_kernel_upperILb0ELi64ELi4ELi33ELi32ELi16El19rocblas_complex_numIdEPKS1_PS1_EviT6_lT7_lT5_lS6_lS7_lS5_lT8_i.num_agpr, 0
	.set _ZL26rocblas_hemvn_kernel_upperILb0ELi64ELi4ELi33ELi32ELi16El19rocblas_complex_numIdEPKS1_PS1_EviT6_lT7_lT5_lS6_lS7_lS5_lT8_i.numbered_sgpr, 30
	.set _ZL26rocblas_hemvn_kernel_upperILb0ELi64ELi4ELi33ELi32ELi16El19rocblas_complex_numIdEPKS1_PS1_EviT6_lT7_lT5_lS6_lS7_lS5_lT8_i.num_named_barrier, 0
	.set _ZL26rocblas_hemvn_kernel_upperILb0ELi64ELi4ELi33ELi32ELi16El19rocblas_complex_numIdEPKS1_PS1_EviT6_lT7_lT5_lS6_lS7_lS5_lT8_i.private_seg_size, 0
	.set _ZL26rocblas_hemvn_kernel_upperILb0ELi64ELi4ELi33ELi32ELi16El19rocblas_complex_numIdEPKS1_PS1_EviT6_lT7_lT5_lS6_lS7_lS5_lT8_i.uses_vcc, 1
	.set _ZL26rocblas_hemvn_kernel_upperILb0ELi64ELi4ELi33ELi32ELi16El19rocblas_complex_numIdEPKS1_PS1_EviT6_lT7_lT5_lS6_lS7_lS5_lT8_i.uses_flat_scratch, 0
	.set _ZL26rocblas_hemvn_kernel_upperILb0ELi64ELi4ELi33ELi32ELi16El19rocblas_complex_numIdEPKS1_PS1_EviT6_lT7_lT5_lS6_lS7_lS5_lT8_i.has_dyn_sized_stack, 0
	.set _ZL26rocblas_hemvn_kernel_upperILb0ELi64ELi4ELi33ELi32ELi16El19rocblas_complex_numIdEPKS1_PS1_EviT6_lT7_lT5_lS6_lS7_lS5_lT8_i.has_recursion, 0
	.set _ZL26rocblas_hemvn_kernel_upperILb0ELi64ELi4ELi33ELi32ELi16El19rocblas_complex_numIdEPKS1_PS1_EviT6_lT7_lT5_lS6_lS7_lS5_lT8_i.has_indirect_call, 0
	.section	.AMDGPU.csdata,"",@progbits
; Kernel info:
; codeLenInByte = 11728
; TotalNumSgprs: 32
; NumVgprs: 248
; ScratchSize: 0
; MemoryBound: 1
; FloatMode: 240
; IeeeMode: 1
; LDSByteSize: 19200 bytes/workgroup (compile time only)
; SGPRBlocks: 0
; VGPRBlocks: 30
; NumSGPRsForWavesPerEU: 32
; NumVGPRsForWavesPerEU: 248
; Occupancy: 4
; WaveLimiterHint : 0
; COMPUTE_PGM_RSRC2:SCRATCH_EN: 0
; COMPUTE_PGM_RSRC2:USER_SGPR: 6
; COMPUTE_PGM_RSRC2:TRAP_HANDLER: 0
; COMPUTE_PGM_RSRC2:TGID_X_EN: 1
; COMPUTE_PGM_RSRC2:TGID_Y_EN: 0
; COMPUTE_PGM_RSRC2:TGID_Z_EN: 1
; COMPUTE_PGM_RSRC2:TIDIG_COMP_CNT: 1
	.section	.text._ZL26rocblas_hemvn_kernel_upperILb0ELi64ELi4ELi33ELi32ELi16Ei19rocblas_complex_numIdEPKS1_PS1_EviT6_lT7_lT5_lS6_lS7_lS5_lT8_i,"axG",@progbits,_ZL26rocblas_hemvn_kernel_upperILb0ELi64ELi4ELi33ELi32ELi16Ei19rocblas_complex_numIdEPKS1_PS1_EviT6_lT7_lT5_lS6_lS7_lS5_lT8_i,comdat
	.globl	_ZL26rocblas_hemvn_kernel_upperILb0ELi64ELi4ELi33ELi32ELi16Ei19rocblas_complex_numIdEPKS1_PS1_EviT6_lT7_lT5_lS6_lS7_lS5_lT8_i ; -- Begin function _ZL26rocblas_hemvn_kernel_upperILb0ELi64ELi4ELi33ELi32ELi16Ei19rocblas_complex_numIdEPKS1_PS1_EviT6_lT7_lT5_lS6_lS7_lS5_lT8_i
	.p2align	8
	.type	_ZL26rocblas_hemvn_kernel_upperILb0ELi64ELi4ELi33ELi32ELi16Ei19rocblas_complex_numIdEPKS1_PS1_EviT6_lT7_lT5_lS6_lS7_lS5_lT8_i,@function
_ZL26rocblas_hemvn_kernel_upperILb0ELi64ELi4ELi33ELi32ELi16Ei19rocblas_complex_numIdEPKS1_PS1_EviT6_lT7_lT5_lS6_lS7_lS5_lT8_i: ; @_ZL26rocblas_hemvn_kernel_upperILb0ELi64ELi4ELi33ELi32ELi16Ei19rocblas_complex_numIdEPKS1_PS1_EviT6_lT7_lT5_lS6_lS7_lS5_lT8_i
; %bb.0:
	s_load_dwordx2 s[0:1], s[4:5], 0x94
	s_add_u32 s12, s4, 0x88
	s_addc_u32 s13, s5, 0
	s_waitcnt lgkmcnt(0)
	s_lshr_b32 s2, s0, 16
	s_and_b32 s0, s0, 0xffff
	s_and_b32 s1, s1, 0xffff
	s_mul_i32 s0, s2, s0
	s_mul_i32 s0, s0, s1
	s_cmpk_lg_i32 s0, 0x100
	s_cbranch_scc1 .LBB125_156
; %bb.1:
	s_load_dwordx4 s[0:3], s[4:5], 0x8
	s_waitcnt lgkmcnt(0)
	v_cmp_neq_f64_e64 s10, s[0:1], 0
	v_cmp_neq_f64_e64 s11, s[2:3], 0
	s_clause 0x1
	s_load_dwordx4 s[0:3], s[4:5], 0x58
	s_load_dwordx2 s[8:9], s[4:5], 0x68
	s_or_b32 s10, s10, s11
	s_mov_b32 s11, -1
	s_and_b32 vcc_lo, exec_lo, s10
	s_cbranch_vccnz .LBB125_3
; %bb.2:
	s_waitcnt lgkmcnt(0)
	v_cmp_neq_f64_e64 s2, s[2:3], 1.0
	v_cmp_neq_f64_e64 s3, s[8:9], 0
	s_or_b32 s11, s2, s3
.LBB125_3:
	s_andn2_b32 vcc_lo, exec_lo, s11
	s_cbranch_vccnz .LBB125_156
; %bb.4:
	s_andn2_b32 vcc_lo, exec_lo, s10
	s_cbranch_vccnz .LBB125_156
; %bb.5:
	s_waitcnt lgkmcnt(0)
	s_clause 0x2
	s_load_dwordx4 s[8:11], s[4:5], 0x38
	s_load_dwordx2 s[2:3], s[4:5], 0x48
	s_load_dword s27, s[4:5], 0x50
	s_mul_i32 s1, s1, s7
	s_mul_hi_u32 s14, s0, s7
	s_mul_i32 s0, s0, s7
	s_add_i32 s1, s14, s1
	s_load_dword s28, s[4:5], 0x0
	s_lshl_b64 s[0:1], s[0:1], 4
	s_load_dword s24, s[12:13], 0x0
	s_waitcnt lgkmcnt(0)
	s_add_u32 s10, s10, s0
	s_addc_u32 s11, s11, s1
	s_lshl_b64 s[0:1], s[2:3], 4
	s_add_u32 s0, s10, s0
	s_addc_u32 s1, s11, s1
	s_lshl_b32 s16, s6, 6
	s_ashr_i32 s11, s28, 31
	v_add_nc_u32_e32 v167, s16, v0
	s_lshr_b32 s2, s11, 26
	s_add_i32 s3, s24, -1
	s_add_i32 s2, s28, s2
	v_mul_lo_u32 v2, s27, v167
	s_andn2_b32 s2, s2, 63
	s_sub_i32 s25, s28, s2
	s_cmp_eq_u32 s6, s3
	s_mov_b32 s3, -1
	s_cselect_b32 s12, s25, 0
	v_ashrrev_i32_e32 v3, 31, v2
	v_lshlrev_b64 v[2:3], 4, v[2:3]
	v_add_co_u32 v38, vcc_lo, s0, v2
	v_add_co_ci_u32_e64 v39, null, s1, v3, vcc_lo
	v_cmp_eq_u32_e64 s0, 0, v1
	s_and_saveexec_b32 s1, s0
	s_cbranch_execz .LBB125_10
; %bb.6:
	v_cmp_le_i32_e32 vcc_lo, s12, v0
	s_cmp_lg_u32 s12, 0
	v_lshl_add_u32 v2, v0, 4, 0x4700
	s_cselect_b32 s2, -1, 0
	s_and_b32 s2, s2, vcc_lo
	s_and_saveexec_b32 s10, s2
	s_xor_b32 s2, exec_lo, s10
	s_cbranch_execz .LBB125_8
; %bb.7:
	v_mov_b32_e32 v3, 0
	v_mov_b32_e32 v4, v3
	;; [unrolled: 1-line block ×4, first 2 shown]
	ds_write_b128 v2, v[3:6]
                                        ; implicit-def: $vgpr2
.LBB125_8:
	s_andn2_saveexec_b32 s2, s2
	s_cbranch_execz .LBB125_10
; %bb.9:
	global_load_dwordx4 v[3:6], v[38:39], off
	s_waitcnt vmcnt(0)
	ds_write2_b64 v2, v[3:4], v[5:6] offset1:1
.LBB125_10:
	s_or_b32 exec_lo, exec_lo, s1
	s_clause 0x1
	s_load_dwordx4 s[20:23], s[4:5], 0x20
	s_load_dword s14, s[4:5], 0x30
	v_lshl_add_u32 v44, v1, 6, v0
	v_and_b32_e32 v6, 31, v0
	s_mul_i32 s1, s9, s7
	s_mul_hi_u32 s2, s8, s7
	s_mul_i32 s8, s8, s7
	v_lshrrev_b32_e32 v13, 5, v44
	s_add_i32 s9, s2, s1
	v_lshlrev_b32_e32 v14, 4, v6
	s_lshl_b64 s[8:9], s[8:9], 4
	s_waitcnt lgkmcnt(0)
	s_add_u32 s1, s20, s8
	v_mad_u64_u32 v[2:3], null, s14, v13, v[6:7]
	s_addc_u32 s2, s21, s9
	s_lshl_b64 s[8:9], s[22:23], 4
	s_mul_i32 s18, s14, s16
	s_add_u32 s1, s1, s8
	s_addc_u32 s2, s2, s9
	s_ashr_i32 s17, s16, 31
	v_ashrrev_i32_e32 v3, 31, v2
	s_lshl_b64 s[8:9], s[16:17], 4
                                        ; implicit-def: $vgpr7_vgpr8
	s_add_u32 s10, s1, s8
	s_addc_u32 s2, s2, s9
	v_lshlrev_b64 v[40:41], 4, v[2:3]
	s_ashr_i32 s19, s18, 31
	v_cmp_gt_i32_e64 s1, s12, v6
	s_lshl_b64 s[8:9], s[18:19], 4
	s_cmp_eq_u32 s12, 0
	s_cselect_b32 s26, -1, 0
	v_add_co_u32 v2, vcc_lo, s10, v40
	v_add_co_ci_u32_e64 v3, null, s2, v41, vcc_lo
	s_cmp_lg_u32 s12, 0
	v_add_co_u32 v2, s2, v2, s8
	v_add_co_ci_u32_e64 v3, null, s9, v3, s2
	s_cselect_b32 s17, -1, 0
	s_and_b32 vcc_lo, exec_lo, s17
	s_cbranch_vccz .LBB125_28
; %bb.11:
	v_sub_co_u32 v4, vcc_lo, v2, v14
	s_ashr_i32 s13, s12, 31
	v_subrev_co_ci_u32_e64 v5, null, 0, v3, vcc_lo
	s_lshl_b64 s[2:3], s[12:13], 4
	v_mad_u32_u24 v8, 0x210, v13, v14
	v_add_co_u32 v4, vcc_lo, v4, s2
	v_add_co_ci_u32_e64 v5, null, s3, v5, vcc_lo
	s_mov_b32 s8, exec_lo
	v_add_co_u32 v4, vcc_lo, v4, -16
	v_add_co_ci_u32_e64 v5, null, -1, v5, vcc_lo
	v_cndmask_b32_e64 v4, v4, v2, s1
	v_cndmask_b32_e64 v5, v5, v3, s1
	v_cmpx_le_i32_e64 s12, v13
	s_xor_b32 s8, exec_lo, s8
	s_cbranch_execz .LBB125_13
; %bb.12:
	v_mov_b32_e32 v9, 0
	v_mov_b32_e32 v10, v9
	;; [unrolled: 1-line block ×4, first 2 shown]
	ds_write_b128 v8, v[9:12]
                                        ; implicit-def: $vgpr8
.LBB125_13:
	s_or_saveexec_b32 s8, s8
	v_mul_u32_u24_e32 v7, 0x210, v13
	s_xor_b32 exec_lo, exec_lo, s8
	s_cbranch_execz .LBB125_15
; %bb.14:
	global_load_dwordx4 v[9:12], v[4:5], off
	s_waitcnt vmcnt(0)
	ds_write2_b64 v8, v[9:10], v[11:12] offset1:1
.LBB125_15:
	s_or_b32 exec_lo, exec_lo, s8
	v_add_nc_u32_e32 v8, 8, v13
	v_cmp_le_i32_e32 vcc_lo, s12, v8
	v_add_nc_u32_e32 v8, v7, v14
	s_and_saveexec_b32 s8, vcc_lo
	s_xor_b32 s8, exec_lo, s8
	s_cbranch_execz .LBB125_17
; %bb.16:
	v_mov_b32_e32 v9, 0
	v_mov_b32_e32 v10, v9
	;; [unrolled: 1-line block ×4, first 2 shown]
	ds_write_b128 v8, v[9:12] offset:4224
.LBB125_17:
	s_andn2_saveexec_b32 s8, s8
	s_cbranch_execz .LBB125_19
; %bb.18:
	s_lshl_b32 s18, s14, 3
	v_add3_u32 v15, v7, v14, 0x1080
	s_ashr_i32 s19, s18, 31
	s_lshl_b64 s[18:19], s[18:19], 4
	v_add_co_u32 v9, vcc_lo, v4, s18
	v_add_co_ci_u32_e64 v10, null, s19, v5, vcc_lo
	global_load_dwordx4 v[9:12], v[9:10], off
	s_waitcnt vmcnt(0)
	ds_write2_b64 v15, v[9:10], v[11:12] offset1:1
.LBB125_19:
	s_or_b32 exec_lo, exec_lo, s8
	v_add_nc_u32_e32 v9, 16, v13
	s_mov_b32 s8, exec_lo
	v_cmpx_le_i32_e64 s12, v9
	s_xor_b32 s8, exec_lo, s8
	s_cbranch_execz .LBB125_21
; %bb.20:
	v_mov_b32_e32 v9, 0
	v_mov_b32_e32 v10, v9
	v_mov_b32_e32 v11, v9
	v_mov_b32_e32 v12, v9
	ds_write_b128 v8, v[9:12] offset:8448
.LBB125_21:
	s_andn2_saveexec_b32 s8, s8
	s_cbranch_execz .LBB125_23
; %bb.22:
	s_lshl_b32 s18, s14, 4
	v_add3_u32 v15, v7, v14, 0x2100
	s_ashr_i32 s19, s18, 31
	s_lshl_b64 s[18:19], s[18:19], 4
	v_add_co_u32 v9, vcc_lo, v4, s18
	v_add_co_ci_u32_e64 v10, null, s19, v5, vcc_lo
	global_load_dwordx4 v[9:12], v[9:10], off
	s_waitcnt vmcnt(0)
	ds_write2_b64 v15, v[9:10], v[11:12] offset1:1
.LBB125_23:
	s_or_b32 exec_lo, exec_lo, s8
	v_add_nc_u32_e32 v9, 24, v13
	s_mov_b32 s8, exec_lo
	v_cmpx_le_i32_e64 s12, v9
	s_xor_b32 s8, exec_lo, s8
	s_cbranch_execz .LBB125_25
; %bb.24:
	v_mov_b32_e32 v9, 0
                                        ; implicit-def: $vgpr7
	v_mov_b32_e32 v10, v9
	v_mov_b32_e32 v11, v9
	;; [unrolled: 1-line block ×3, first 2 shown]
	ds_write_b128 v8, v[9:12] offset:12672
.LBB125_25:
	s_andn2_saveexec_b32 s8, s8
	s_cbranch_execz .LBB125_27
; %bb.26:
	s_mul_i32 s18, s14, 24
	v_add3_u32 v7, v7, v14, 0x3180
	s_ashr_i32 s19, s18, 31
	s_lshl_b64 s[18:19], s[18:19], 4
	v_add_co_u32 v8, vcc_lo, v4, s18
	v_add_co_ci_u32_e64 v9, null, s19, v5, vcc_lo
	global_load_dwordx4 v[8:11], v[8:9], off
	s_waitcnt vmcnt(0)
	ds_write2_b64 v7, v[8:9], v[10:11] offset1:1
.LBB125_27:
	s_or_b32 exec_lo, exec_lo, s8
	v_add_co_u32 v4, vcc_lo, v4, v14
	v_add_co_ci_u32_e64 v5, null, 0, v5, vcc_lo
	v_sub_co_u32 v4, vcc_lo, v4, s2
	v_subrev_co_ci_u32_e64 v5, null, s3, v5, vcc_lo
	s_mov_b32 s3, 0
	v_add_co_u32 v4, vcc_lo, v4, 16
	v_add_co_ci_u32_e64 v5, null, 0, v5, vcc_lo
	v_cndmask_b32_e64 v7, v4, v2, s1
	v_cndmask_b32_e64 v8, v5, v3, s1
.LBB125_28:
	v_mul_u32_u24_e32 v18, 0x210, v13
	s_and_b32 vcc_lo, exec_lo, s3
	s_cbranch_vccz .LBB125_30
; %bb.29:
	s_lshl_b32 s2, s14, 3
	s_ashr_i32 s15, s14, 31
	s_ashr_i32 s3, s2, 31
	s_lshl_b64 s[2:3], s[2:3], 4
	v_add_co_u32 v4, vcc_lo, v2, s2
	v_add_co_ci_u32_e64 v5, null, s3, v3, vcc_lo
	s_lshl_b64 s[2:3], s[14:15], 7
	v_add_co_u32 v7, vcc_lo, v4, s2
	v_add_co_ci_u32_e64 v8, null, s3, v5, vcc_lo
	v_add_co_u32 v15, vcc_lo, v7, s2
	v_add_co_ci_u32_e64 v16, null, s3, v8, vcc_lo
	s_clause 0x3
	global_load_dwordx4 v[9:12], v[2:3], off
	global_load_dwordx4 v[19:22], v[4:5], off
	;; [unrolled: 1-line block ×4, first 2 shown]
	v_lshl_add_u32 v4, v6, 4, v18
	v_mov_b32_e32 v8, v3
	v_mov_b32_e32 v7, v2
	v_add_nc_u32_e32 v5, 0x1080, v4
	v_add_nc_u32_e32 v15, 0x2100, v4
	;; [unrolled: 1-line block ×3, first 2 shown]
	s_waitcnt vmcnt(3)
	ds_write2_b64 v4, v[9:10], v[11:12] offset1:1
	s_waitcnt vmcnt(2)
	ds_write2_b64 v5, v[19:20], v[21:22] offset1:1
	;; [unrolled: 2-line block ×4, first 2 shown]
.LBB125_30:
	v_lshlrev_b32_e32 v11, 2, v13
	v_lshl_or_b32 v2, v6, 9, v14
	v_mad_u32_u24 v15, 0x840, v13, v14
	s_waitcnt lgkmcnt(0)
	s_barrier
	v_cmp_gt_u32_e64 s2, v11, v6
	v_lshl_add_u32 v3, v11, 4, v2
	buffer_gl0_inv
	s_and_saveexec_b32 s1, s2
	s_cbranch_execz .LBB125_32
; %bb.31:
	ds_read_b128 v[19:22], v15
	s_waitcnt lgkmcnt(0)
	ds_write_b128 v3, v[19:22]
.LBB125_32:
	s_or_b32 exec_lo, exec_lo, s1
	v_or_b32_e32 v2, 1, v11
	v_cmp_ge_u32_e64 s3, v11, v6
	v_mad_u32_u24 v16, 0x210, v2, v14
	s_and_saveexec_b32 s1, s3
	s_cbranch_execz .LBB125_34
; %bb.33:
	ds_read_b128 v[19:22], v16
	s_waitcnt lgkmcnt(0)
	ds_write_b128 v3, v[19:22] offset:16
.LBB125_34:
	s_or_b32 exec_lo, exec_lo, s1
	v_or_b32_e32 v2, 2, v11
	v_cmp_gt_u32_e64 s8, v2, v6
	s_and_saveexec_b32 s1, s8
	s_cbranch_execz .LBB125_36
; %bb.35:
	v_mad_u32_u24 v2, 0x210, v2, v14
	ds_read_b128 v[19:22], v2
	s_waitcnt lgkmcnt(0)
	ds_write_b128 v3, v[19:22] offset:32
.LBB125_36:
	s_or_b32 exec_lo, exec_lo, s1
	v_or_b32_e32 v4, 3, v11
	s_mov_b32 s1, exec_lo
	v_cmp_gt_u32_e64 s9, v4, v6
	v_mul_u32_u24_e32 v2, 0x210, v4
	v_cmpx_le_u32_e64 v4, v6
	s_xor_b32 s1, exec_lo, s1
; %bb.37:
	v_mul_u32_u24_e32 v2, 0x210, v4
                                        ; implicit-def: $vgpr4
                                        ; implicit-def: $vgpr3
; %bb.38:
	s_andn2_saveexec_b32 s1, s1
	s_cbranch_execz .LBB125_40
; %bb.39:
	v_mad_u32_u24 v4, 0x210, v4, v14
	ds_read_b128 v[19:22], v4
	s_waitcnt lgkmcnt(0)
	ds_write_b128 v3, v[19:22] offset:48
.LBB125_40:
	s_or_b32 exec_lo, exec_lo, s1
	v_lshlrev_b32_e32 v12, 4, v11
	s_waitcnt lgkmcnt(0)
	s_barrier
	buffer_gl0_inv
	ds_read_b128 v[19:22], v15
	ds_read_b128 v[23:26], v12 offset:18176
	v_add_nc_u32_e32 v17, v14, v2
	ds_read_b128 v[2:5], v16 offset:528
	ds_read_b128 v[27:30], v12 offset:18192
	ds_read_b128 v[31:34], v16
	ds_read_b128 v[45:48], v17
	ds_read_b128 v[49:52], v12 offset:18208
	v_cmp_gt_u32_e64 s1, 32, v44
	s_waitcnt lgkmcnt(5)
	v_mul_f64 v[9:10], v[25:26], v[21:22]
	v_mul_f64 v[21:22], v[23:24], v[21:22]
	s_waitcnt lgkmcnt(2)
	v_mul_f64 v[35:36], v[29:30], v[33:34]
	v_mul_f64 v[33:34], v[27:28], v[33:34]
	v_fma_f64 v[9:10], v[23:24], v[19:20], -v[9:10]
	v_fma_f64 v[23:24], v[25:26], v[19:20], v[21:22]
	ds_read_b128 v[19:22], v12 offset:18224
	s_waitcnt lgkmcnt(1)
	v_mul_f64 v[25:26], v[51:52], v[4:5]
	v_mul_f64 v[4:5], v[49:50], v[4:5]
	v_fma_f64 v[27:28], v[27:28], v[31:32], -v[35:36]
	v_fma_f64 v[29:30], v[29:30], v[31:32], v[33:34]
	s_waitcnt lgkmcnt(0)
	s_barrier
	buffer_gl0_inv
	v_mul_f64 v[31:32], v[21:22], v[47:48]
	v_add_f64 v[9:10], v[9:10], 0
	v_add_f64 v[23:24], v[23:24], 0
	v_mul_f64 v[33:34], v[19:20], v[47:48]
	v_fma_f64 v[25:26], v[49:50], v[2:3], -v[25:26]
	v_fma_f64 v[2:3], v[51:52], v[2:3], v[4:5]
	v_fma_f64 v[19:20], v[19:20], v[45:46], -v[31:32]
	v_add_f64 v[4:5], v[9:10], v[27:28]
	v_add_f64 v[9:10], v[23:24], v[29:30]
	v_fma_f64 v[21:22], v[21:22], v[45:46], v[33:34]
	v_add_f64 v[4:5], v[4:5], v[25:26]
	v_add_f64 v[2:3], v[9:10], v[2:3]
	;; [unrolled: 1-line block ×4, first 2 shown]
	v_mul_u32_u24_e32 v2, 33, v6
	v_mov_b32_e32 v4, 0
	v_mov_b32_e32 v5, 0
	v_lshlrev_b32_e32 v45, 4, v2
	v_mov_b32_e32 v2, 0
	v_mov_b32_e32 v3, 0
	v_lshl_add_u32 v46, v13, 4, v45
	ds_write_b128 v46, v[19:22]
	s_waitcnt lgkmcnt(0)
	s_barrier
	buffer_gl0_inv
	s_and_saveexec_b32 s10, s1
	s_cbranch_execz .LBB125_42
; %bb.41:
	ds_read_b128 v[2:5], v45
	ds_read_b128 v[19:22], v45 offset:16
	s_waitcnt lgkmcnt(0)
	v_add_f64 v[9:10], v[19:20], v[2:3]
	v_add_f64 v[23:24], v[21:22], v[4:5]
	ds_read_b128 v[2:5], v45 offset:32
	ds_read_b128 v[19:22], v45 offset:48
	s_waitcnt lgkmcnt(1)
	v_add_f64 v[2:3], v[9:10], v[2:3]
	v_add_f64 v[4:5], v[23:24], v[4:5]
	s_waitcnt lgkmcnt(0)
	v_add_f64 v[9:10], v[2:3], v[19:20]
	v_add_f64 v[23:24], v[4:5], v[21:22]
	ds_read_b128 v[2:5], v45 offset:64
	ds_read_b128 v[19:22], v45 offset:80
	s_waitcnt lgkmcnt(1)
	v_add_f64 v[2:3], v[9:10], v[2:3]
	v_add_f64 v[4:5], v[23:24], v[4:5]
	;; [unrolled: 8-line block ×3, first 2 shown]
	s_waitcnt lgkmcnt(0)
	v_add_f64 v[2:3], v[2:3], v[19:20]
	v_add_f64 v[4:5], v[4:5], v[21:22]
.LBB125_42:
	s_or_b32 exec_lo, exec_lo, s10
	s_lshl_b32 s20, s14, 5
	v_mad_u32_u24 v19, 0x210, v13, v14
	s_ashr_i32 s21, s20, 31
	s_lshl_b64 s[18:19], s[20:21], 4
	s_barrier
	v_add_co_u32 v20, vcc_lo, v7, s18
	v_add_co_ci_u32_e64 v21, null, s19, v8, vcc_lo
	buffer_gl0_inv
	v_add_co_u32 v9, vcc_lo, 0x200, v20
	v_add_co_ci_u32_e64 v10, null, 0, v21, vcc_lo
	s_and_b32 vcc_lo, exec_lo, s17
	s_cbranch_vccz .LBB125_60
; %bb.43:
	v_sub_co_u32 v7, vcc_lo, v20, v14
	s_ashr_i32 s13, s12, 31
	v_subrev_co_ci_u32_e64 v8, null, 0, v21, vcc_lo
	s_lshl_b64 s[22:23], s[12:13], 4
	v_or_b32_e32 v22, 32, v6
	v_add_co_u32 v7, vcc_lo, v7, s22
	v_add_co_ci_u32_e64 v8, null, s23, v8, vcc_lo
	s_sub_i32 s13, s12, 32
	v_add_co_u32 v7, vcc_lo, v7, -16
	v_add_co_ci_u32_e64 v8, null, -1, v8, vcc_lo
	v_cmp_gt_i32_e32 vcc_lo, s12, v22
	v_cmp_le_i32_e64 s10, s13, v13
	v_cndmask_b32_e32 v8, v8, v10, vcc_lo
	v_cndmask_b32_e32 v7, v7, v9, vcc_lo
	s_and_saveexec_b32 s15, s10
	s_xor_b32 s10, exec_lo, s15
	s_cbranch_execz .LBB125_45
; %bb.44:
	v_mov_b32_e32 v22, 0
	v_mov_b32_e32 v23, v22
	;; [unrolled: 1-line block ×4, first 2 shown]
	ds_write_b128 v19, v[22:25]
.LBB125_45:
	s_andn2_saveexec_b32 s10, s10
	s_cbranch_execz .LBB125_47
; %bb.46:
	global_load_dwordx4 v[22:25], v[7:8], off
	s_waitcnt vmcnt(0)
	ds_write2_b64 v19, v[22:23], v[24:25] offset1:1
.LBB125_47:
	s_or_b32 exec_lo, exec_lo, s10
	v_add_nc_u32_e32 v22, 8, v13
	v_cmp_le_i32_e64 s10, s13, v22
	v_add_nc_u32_e32 v22, v18, v14
	s_and_saveexec_b32 s15, s10
	s_xor_b32 s10, exec_lo, s15
	s_cbranch_execz .LBB125_49
; %bb.48:
	v_mov_b32_e32 v23, 0
	v_mov_b32_e32 v24, v23
	;; [unrolled: 1-line block ×4, first 2 shown]
	ds_write_b128 v22, v[23:26] offset:4224
.LBB125_49:
	s_andn2_saveexec_b32 s15, s10
	s_cbranch_execz .LBB125_51
; %bb.50:
	s_lshl_b32 s30, s14, 3
	v_add3_u32 v27, v18, v14, 0x1080
	s_ashr_i32 s31, s30, 31
	s_lshl_b64 s[30:31], s[30:31], 4
	v_add_co_u32 v23, s10, v7, s30
	v_add_co_ci_u32_e64 v24, null, s31, v8, s10
	global_load_dwordx4 v[23:26], v[23:24], off
	s_waitcnt vmcnt(0)
	ds_write2_b64 v27, v[23:24], v[25:26] offset1:1
.LBB125_51:
	s_or_b32 exec_lo, exec_lo, s15
	v_add_nc_u32_e32 v23, 16, v13
	v_cmp_le_i32_e64 s10, s13, v23
	s_and_saveexec_b32 s15, s10
	s_xor_b32 s10, exec_lo, s15
	s_cbranch_execz .LBB125_53
; %bb.52:
	v_mov_b32_e32 v23, 0
	v_mov_b32_e32 v24, v23
	;; [unrolled: 1-line block ×4, first 2 shown]
	ds_write_b128 v22, v[23:26] offset:8448
.LBB125_53:
	s_andn2_saveexec_b32 s15, s10
	s_cbranch_execz .LBB125_55
; %bb.54:
	s_lshl_b32 s30, s14, 4
	v_add3_u32 v27, v18, v14, 0x2100
	s_ashr_i32 s31, s30, 31
	s_lshl_b64 s[30:31], s[30:31], 4
	v_add_co_u32 v23, s10, v7, s30
	v_add_co_ci_u32_e64 v24, null, s31, v8, s10
	global_load_dwordx4 v[23:26], v[23:24], off
	s_waitcnt vmcnt(0)
	ds_write2_b64 v27, v[23:24], v[25:26] offset1:1
.LBB125_55:
	s_or_b32 exec_lo, exec_lo, s15
	v_add_nc_u32_e32 v23, 24, v13
	v_cmp_le_i32_e64 s10, s13, v23
	s_and_saveexec_b32 s13, s10
	s_xor_b32 s10, exec_lo, s13
	s_cbranch_execz .LBB125_57
; %bb.56:
	v_mov_b32_e32 v23, 0
	v_mov_b32_e32 v24, v23
	;; [unrolled: 1-line block ×4, first 2 shown]
	ds_write_b128 v22, v[23:26] offset:12672
.LBB125_57:
	s_andn2_saveexec_b32 s13, s10
	s_cbranch_execz .LBB125_59
; %bb.58:
	s_mul_i32 s30, s14, 24
	v_add3_u32 v26, v18, v14, 0x3180
	s_ashr_i32 s31, s30, 31
	s_lshl_b64 s[30:31], s[30:31], 4
	v_add_co_u32 v22, s10, v7, s30
	v_add_co_ci_u32_e64 v23, null, s31, v8, s10
	global_load_dwordx4 v[22:25], v[22:23], off
	s_waitcnt vmcnt(0)
	ds_write2_b64 v26, v[22:23], v[24:25] offset1:1
.LBB125_59:
	s_or_b32 exec_lo, exec_lo, s13
	v_add_co_u32 v7, s10, v7, v14
	v_add_co_ci_u32_e64 v8, null, 0, v8, s10
	v_sub_co_u32 v7, s10, v7, s22
	v_subrev_co_ci_u32_e64 v8, null, s23, v8, s10
	v_add_co_u32 v7, s10, 0x210, v7
	v_add_co_ci_u32_e64 v8, null, 0, v8, s10
	v_cndmask_b32_e32 v7, v7, v9, vcc_lo
	v_cndmask_b32_e32 v8, v8, v10, vcc_lo
	s_branch .LBB125_62
.LBB125_60:
                                        ; implicit-def: $vgpr7_vgpr8
	s_cbranch_execz .LBB125_62
; %bb.61:
	s_lshl_b32 s22, s14, 3
	s_ashr_i32 s15, s14, 31
	s_ashr_i32 s23, s22, 31
	v_add_nc_u32_e32 v36, 0x1080, v19
	s_lshl_b64 s[22:23], s[22:23], 4
	v_add_nc_u32_e32 v37, 0x2100, v19
	v_add_co_u32 v7, vcc_lo, v20, s22
	v_add_co_ci_u32_e64 v8, null, s23, v21, vcc_lo
	s_lshl_b64 s[22:23], s[14:15], 7
	v_add_nc_u32_e32 v42, 0x3180, v19
	v_add_co_u32 v28, vcc_lo, v7, s22
	v_add_co_ci_u32_e64 v29, null, s23, v8, vcc_lo
	v_add_co_u32 v32, vcc_lo, v28, s22
	v_add_co_ci_u32_e64 v33, null, s23, v29, vcc_lo
	s_clause 0x3
	global_load_dwordx4 v[20:23], v[9:10], off
	global_load_dwordx4 v[24:27], v[7:8], off offset:512
	global_load_dwordx4 v[28:31], v[28:29], off offset:512
	;; [unrolled: 1-line block ×3, first 2 shown]
	v_mov_b32_e32 v7, v9
	v_mov_b32_e32 v8, v10
	s_waitcnt vmcnt(3)
	ds_write2_b64 v19, v[20:21], v[22:23] offset1:1
	s_waitcnt vmcnt(2)
	ds_write2_b64 v36, v[24:25], v[26:27] offset1:1
	;; [unrolled: 2-line block ×4, first 2 shown]
.LBB125_62:
	v_lshl_add_u32 v9, v11, 4, v45
	s_waitcnt lgkmcnt(0)
	s_barrier
	buffer_gl0_inv
	s_and_saveexec_b32 s10, s2
	s_cbranch_execnz .LBB125_87
; %bb.63:
	s_or_b32 exec_lo, exec_lo, s10
	s_and_saveexec_b32 s2, s3
	s_cbranch_execnz .LBB125_88
.LBB125_64:
	s_or_b32 exec_lo, exec_lo, s2
	v_add_nc_u32_e32 v20, 0x210, v16
	s_and_saveexec_b32 s2, s8
	s_cbranch_execnz .LBB125_89
.LBB125_65:
	s_or_b32 exec_lo, exec_lo, s2
	v_add_nc_u32_e32 v21, 0x4700, v12
	s_and_saveexec_b32 s2, s9
	s_cbranch_execz .LBB125_67
.LBB125_66:
	ds_read_b128 v[22:25], v17
	s_waitcnt lgkmcnt(0)
	ds_write_b128 v9, v[22:25] offset:48
.LBB125_67:
	s_or_b32 exec_lo, exec_lo, s2
	s_waitcnt lgkmcnt(0)
	s_barrier
	buffer_gl0_inv
	ds_read_b128 v[9:12], v15
	ds_read_b128 v[22:25], v21 offset:512
	ds_read_b128 v[26:29], v21 offset:528
	ds_read_b128 v[30:33], v16
	ds_read_b128 v[34:37], v21 offset:544
	ds_read_b128 v[47:50], v20
	v_cmp_eq_u32_e64 s2, 1, v13
	s_waitcnt lgkmcnt(4)
	v_mul_f64 v[42:43], v[24:25], v[11:12]
	v_mul_f64 v[11:12], v[22:23], v[11:12]
	s_waitcnt lgkmcnt(2)
	v_mul_f64 v[51:52], v[28:29], v[32:33]
	v_mul_f64 v[32:33], v[26:27], v[32:33]
	;; [unrolled: 3-line block ×3, first 2 shown]
	v_fma_f64 v[42:43], v[22:23], v[9:10], -v[42:43]
	v_fma_f64 v[53:54], v[24:25], v[9:10], v[11:12]
	v_fma_f64 v[26:27], v[26:27], v[30:31], -v[51:52]
	v_fma_f64 v[28:29], v[28:29], v[30:31], v[32:33]
	ds_read_b128 v[9:12], v21 offset:560
	ds_read_b128 v[22:25], v17
	v_fma_f64 v[34:35], v[34:35], v[47:48], -v[55:56]
	v_fma_f64 v[36:37], v[36:37], v[47:48], v[49:50]
	s_waitcnt lgkmcnt(0)
	s_barrier
	buffer_gl0_inv
	v_add_f64 v[30:31], v[42:43], 0
	v_add_f64 v[32:33], v[53:54], 0
	v_mul_f64 v[42:43], v[11:12], v[24:25]
	v_mul_f64 v[24:25], v[9:10], v[24:25]
	v_add_f64 v[26:27], v[30:31], v[26:27]
	v_add_f64 v[28:29], v[32:33], v[28:29]
	v_fma_f64 v[9:10], v[9:10], v[22:23], -v[42:43]
	v_fma_f64 v[11:12], v[11:12], v[22:23], v[24:25]
	v_add_f64 v[22:23], v[26:27], v[34:35]
	v_add_f64 v[24:25], v[28:29], v[36:37]
	;; [unrolled: 1-line block ×4, first 2 shown]
	ds_write_b128 v46, v[9:12]
	s_waitcnt lgkmcnt(0)
	s_barrier
	buffer_gl0_inv
	s_and_saveexec_b32 s3, s2
	s_cbranch_execz .LBB125_69
; %bb.68:
	ds_read_b128 v[2:5], v45
	ds_read_b128 v[9:12], v45 offset:16
	s_waitcnt lgkmcnt(0)
	v_add_f64 v[22:23], v[9:10], v[2:3]
	v_add_f64 v[24:25], v[11:12], v[4:5]
	ds_read_b128 v[2:5], v45 offset:32
	ds_read_b128 v[9:12], v45 offset:48
	s_waitcnt lgkmcnt(1)
	v_add_f64 v[2:3], v[22:23], v[2:3]
	v_add_f64 v[4:5], v[24:25], v[4:5]
	s_waitcnt lgkmcnt(0)
	v_add_f64 v[22:23], v[2:3], v[9:10]
	v_add_f64 v[24:25], v[4:5], v[11:12]
	ds_read_b128 v[2:5], v45 offset:64
	ds_read_b128 v[9:12], v45 offset:80
	s_waitcnt lgkmcnt(1)
	v_add_f64 v[2:3], v[22:23], v[2:3]
	v_add_f64 v[4:5], v[24:25], v[4:5]
	;; [unrolled: 8-line block ×3, first 2 shown]
	s_waitcnt lgkmcnt(0)
	v_add_f64 v[2:3], v[2:3], v[9:10]
	v_add_f64 v[4:5], v[4:5], v[11:12]
.LBB125_69:
	s_or_b32 exec_lo, exec_lo, s3
	v_add_co_u32 v9, vcc_lo, 0xfffffe00, v7
	v_add_co_ci_u32_e64 v10, null, -1, v8, vcc_lo
	s_and_b32 vcc_lo, exec_lo, s17
	s_barrier
	buffer_gl0_inv
	s_cbranch_vccz .LBB125_90
; %bb.70:
	v_sub_co_u32 v11, vcc_lo, v7, v14
	s_ashr_i32 s13, s12, 31
	v_subrev_co_ci_u32_e64 v12, null, 0, v8, vcc_lo
	s_lshl_b64 s[8:9], s[12:13], 4
	s_sub_i32 s10, s12, 32
	v_add_co_u32 v11, vcc_lo, v11, s8
	v_add_co_ci_u32_e64 v12, null, s9, v12, vcc_lo
	v_cmp_le_i32_e64 s3, s10, v13
	v_add_co_u32 v11, vcc_lo, 0xfffffdf0, v11
	v_add_co_ci_u32_e64 v12, null, -1, v12, vcc_lo
	v_cmp_gt_i32_e32 vcc_lo, s12, v6
	v_cndmask_b32_e32 v12, v12, v10, vcc_lo
	v_cndmask_b32_e32 v11, v11, v9, vcc_lo
	s_and_saveexec_b32 s13, s3
	s_xor_b32 s3, exec_lo, s13
	s_cbranch_execz .LBB125_72
; %bb.71:
	v_mov_b32_e32 v22, 0
	v_mov_b32_e32 v23, v22
	;; [unrolled: 1-line block ×4, first 2 shown]
	ds_write_b128 v19, v[22:25]
.LBB125_72:
	s_andn2_saveexec_b32 s3, s3
	s_cbranch_execz .LBB125_74
; %bb.73:
	global_load_dwordx4 v[22:25], v[11:12], off
	s_waitcnt vmcnt(0)
	ds_write2_b64 v19, v[22:23], v[24:25] offset1:1
.LBB125_74:
	s_or_b32 exec_lo, exec_lo, s3
	v_add_nc_u32_e32 v6, 8, v13
	v_add_nc_u32_e32 v24, v18, v14
	v_cmp_le_i32_e64 s3, s10, v6
	s_and_saveexec_b32 s13, s3
	s_xor_b32 s3, exec_lo, s13
	s_cbranch_execz .LBB125_76
; %bb.75:
	v_mov_b32_e32 v25, 0
	v_mov_b32_e32 v26, v25
	;; [unrolled: 1-line block ×4, first 2 shown]
	ds_write_b128 v24, v[25:28] offset:4224
.LBB125_76:
	s_andn2_saveexec_b32 s13, s3
	s_cbranch_execz .LBB125_78
; %bb.77:
	s_lshl_b32 s22, s14, 3
	s_ashr_i32 s23, s22, 31
	s_lshl_b64 s[22:23], s[22:23], 4
	v_add_co_u32 v22, s3, v11, s22
	v_add_co_ci_u32_e64 v23, null, s23, v12, s3
	global_load_dwordx4 v[25:28], v[22:23], off
	v_add3_u32 v22, v18, v14, 0x1080
	s_waitcnt vmcnt(0)
	ds_write2_b64 v22, v[25:26], v[27:28] offset1:1
.LBB125_78:
	s_or_b32 exec_lo, exec_lo, s13
	v_add_nc_u32_e32 v23, 16, v13
	v_cmp_le_i32_e64 s3, s10, v23
	s_and_saveexec_b32 s13, s3
	s_xor_b32 s3, exec_lo, s13
	s_cbranch_execz .LBB125_80
; %bb.79:
	v_mov_b32_e32 v25, 0
	v_mov_b32_e32 v26, v25
	;; [unrolled: 1-line block ×4, first 2 shown]
	ds_write_b128 v24, v[25:28] offset:8448
.LBB125_80:
	s_andn2_saveexec_b32 s13, s3
	s_cbranch_execz .LBB125_82
; %bb.81:
	s_lshl_b32 s22, s14, 4
	v_add3_u32 v22, v18, v14, 0x2100
	s_ashr_i32 s23, s22, 31
	s_lshl_b64 s[22:23], s[22:23], 4
	v_add_co_u32 v25, s3, v11, s22
	v_add_co_ci_u32_e64 v26, null, s23, v12, s3
	global_load_dwordx4 v[25:28], v[25:26], off
	s_waitcnt vmcnt(0)
	ds_write2_b64 v22, v[25:26], v[27:28] offset1:1
.LBB125_82:
	s_or_b32 exec_lo, exec_lo, s13
	v_add_nc_u32_e32 v22, 24, v13
	v_cmp_le_i32_e64 s3, s10, v22
	s_and_saveexec_b32 s10, s3
	s_xor_b32 s3, exec_lo, s10
	s_cbranch_execz .LBB125_84
; %bb.83:
	v_mov_b32_e32 v25, 0
                                        ; implicit-def: $vgpr18
	v_mov_b32_e32 v26, v25
	v_mov_b32_e32 v27, v25
	;; [unrolled: 1-line block ×3, first 2 shown]
	ds_write_b128 v24, v[25:28] offset:12672
.LBB125_84:
	s_andn2_saveexec_b32 s10, s3
	s_cbranch_execz .LBB125_86
; %bb.85:
	s_mul_i32 s22, s14, 24
	v_add3_u32 v18, v18, v14, 0x3180
	s_ashr_i32 s23, s22, 31
	s_lshl_b64 s[22:23], s[22:23], 4
	v_add_co_u32 v24, s3, v11, s22
	v_add_co_ci_u32_e64 v25, null, s23, v12, s3
	global_load_dwordx4 v[24:27], v[24:25], off
	s_waitcnt vmcnt(0)
	ds_write2_b64 v18, v[24:25], v[26:27] offset1:1
.LBB125_86:
	s_or_b32 exec_lo, exec_lo, s10
	v_add_co_u32 v11, s3, v11, v14
	v_add_co_ci_u32_e64 v12, null, 0, v12, s3
	v_sub_co_u32 v11, s3, v11, s8
	v_subrev_co_ci_u32_e64 v12, null, s9, v12, s3
	v_add_co_u32 v11, s3, v11, 16
	v_add_co_ci_u32_e64 v12, null, 0, v12, s3
	v_cndmask_b32_e32 v42, v11, v9, vcc_lo
	v_cndmask_b32_e32 v43, v12, v10, vcc_lo
	s_branch .LBB125_92
.LBB125_87:
	ds_read_b128 v[20:23], v15
	s_waitcnt lgkmcnt(0)
	ds_write_b128 v9, v[20:23]
	s_or_b32 exec_lo, exec_lo, s10
	s_and_saveexec_b32 s2, s3
	s_cbranch_execz .LBB125_64
.LBB125_88:
	ds_read_b128 v[20:23], v16
	s_waitcnt lgkmcnt(0)
	ds_write_b128 v9, v[20:23] offset:16
	s_or_b32 exec_lo, exec_lo, s2
	v_add_nc_u32_e32 v20, 0x210, v16
	s_and_saveexec_b32 s2, s8
	s_cbranch_execz .LBB125_65
.LBB125_89:
	ds_read_b128 v[21:24], v20
	s_waitcnt lgkmcnt(0)
	ds_write_b128 v9, v[21:24] offset:32
	s_or_b32 exec_lo, exec_lo, s2
	v_add_nc_u32_e32 v21, 0x4700, v12
	s_and_saveexec_b32 s2, s9
	s_cbranch_execnz .LBB125_66
	s_branch .LBB125_67
.LBB125_90:
                                        ; implicit-def: $vgpr42_vgpr43
                                        ; implicit-def: $vgpr6
                                        ; implicit-def: $vgpr23
                                        ; implicit-def: $vgpr22
	s_cbranch_execz .LBB125_92
; %bb.91:
	s_lshl_b32 s8, s14, 3
	s_ashr_i32 s15, s14, 31
	s_ashr_i32 s9, s8, 31
	v_mov_b32_e32 v43, v10
	s_lshl_b64 s[8:9], s[8:9], 4
	v_mov_b32_e32 v42, v9
	v_add_co_u32 v6, vcc_lo, v7, s8
	v_add_co_ci_u32_e64 v7, null, s9, v8, vcc_lo
	s_lshl_b64 s[8:9], s[14:15], 7
	v_add_nc_u32_e32 v8, 0x2100, v19
	v_add_co_u32 v11, vcc_lo, v6, s8
	v_add_co_ci_u32_e64 v12, null, s9, v7, vcc_lo
	v_add_co_u32 v22, vcc_lo, v11, s8
	v_add_co_ci_u32_e64 v23, null, s9, v12, vcc_lo
	s_clause 0x3
	global_load_dwordx4 v[24:27], v[9:10], off
	global_load_dwordx4 v[28:31], v[6:7], off offset:-512
	global_load_dwordx4 v[32:35], v[11:12], off offset:-512
	;; [unrolled: 1-line block ×3, first 2 shown]
	v_add_nc_u32_e32 v6, 8, v13
	v_add_nc_u32_e32 v23, 16, v13
	;; [unrolled: 1-line block ×5, first 2 shown]
	s_waitcnt vmcnt(3)
	ds_write2_b64 v19, v[24:25], v[26:27] offset1:1
	s_waitcnt vmcnt(2)
	ds_write2_b64 v7, v[28:29], v[30:31] offset1:1
	;; [unrolled: 2-line block ×4, first 2 shown]
.LBB125_92:
	v_lshlrev_b32_e32 v11, 4, v13
	s_waitcnt lgkmcnt(0)
	s_barrier
	buffer_gl0_inv
	v_lshlrev_b32_e32 v6, 4, v6
	v_add_nc_u32_e32 v7, v45, v11
	ds_read_b128 v[7:10], v7
	ds_read_b128 v[11:14], v11 offset:18176
	v_add_nc_u32_e32 v18, v45, v6
	ds_read_b128 v[24:27], v18
	ds_read_b128 v[28:31], v6 offset:18176
	v_lshlrev_b32_e32 v6, 4, v23
	v_add_nc_u32_e32 v23, v45, v6
	ds_read_b128 v[32:35], v23
	ds_read_b128 v[47:50], v6 offset:18176
	s_waitcnt lgkmcnt(4)
	v_mul_f64 v[18:19], v[9:10], v[13:14]
	v_mul_f64 v[13:14], v[7:8], v[13:14]
	s_waitcnt lgkmcnt(2)
	v_mul_f64 v[36:37], v[26:27], v[30:31]
	v_mul_f64 v[30:31], v[24:25], v[30:31]
	v_fma_f64 v[18:19], v[7:8], v[11:12], -v[18:19]
	v_fma_f64 v[51:52], v[9:10], v[11:12], v[13:14]
	v_lshlrev_b32_e32 v10, 4, v22
	s_waitcnt lgkmcnt(0)
	v_mul_f64 v[22:23], v[34:35], v[49:50]
	v_mul_f64 v[49:50], v[32:33], v[49:50]
	v_fma_f64 v[24:25], v[24:25], v[28:29], -v[36:37]
	v_add_nc_u32_e32 v6, v45, v10
	v_fma_f64 v[26:27], v[26:27], v[28:29], v[30:31]
	ds_read_b128 v[6:9], v6
	ds_read_b128 v[10:13], v10 offset:18176
	v_add_f64 v[18:19], v[18:19], 0
	v_add_f64 v[28:29], v[51:52], 0
	v_fma_f64 v[22:23], v[32:33], v[47:48], -v[22:23]
	v_fma_f64 v[32:33], v[34:35], v[47:48], v[49:50]
	s_waitcnt lgkmcnt(0)
	v_mul_f64 v[30:31], v[8:9], v[12:13]
	v_mul_f64 v[12:13], v[6:7], v[12:13]
	v_add_f64 v[18:19], v[18:19], v[24:25]
	v_add_f64 v[24:25], v[28:29], v[26:27]
	v_fma_f64 v[6:7], v[6:7], v[10:11], -v[30:31]
	v_fma_f64 v[8:9], v[8:9], v[10:11], v[12:13]
	v_add_f64 v[10:11], v[18:19], v[22:23]
	v_add_f64 v[12:13], v[24:25], v[32:33]
	ds_read_b128 v[30:33], v21 offset:512
	ds_read_b128 v[22:25], v21 offset:528
	v_add_f64 v[47:48], v[10:11], v[6:7]
	v_add_f64 v[49:50], v[12:13], v[8:9]
	ds_read_b128 v[10:13], v21 offset:544
	ds_read_b128 v[6:9], v21 offset:560
	ds_read_b128 v[34:37], v15
	ds_read_b128 v[26:29], v16
	;; [unrolled: 1-line block ×4, first 2 shown]
	s_waitcnt lgkmcnt(0)
	s_barrier
	buffer_gl0_inv
	ds_write_b128 v46, v[47:50]
	s_waitcnt lgkmcnt(0)
	s_barrier
	buffer_gl0_inv
	s_and_saveexec_b32 s3, s2
	s_cbranch_execz .LBB125_94
; %bb.93:
	ds_read_b128 v[47:50], v45
	ds_read_b128 v[51:54], v45 offset:16
	s_waitcnt lgkmcnt(1)
	v_add_f64 v[2:3], v[2:3], v[47:48]
	v_add_f64 v[4:5], v[4:5], v[49:50]
	s_waitcnt lgkmcnt(0)
	v_add_f64 v[51:52], v[2:3], v[51:52]
	v_add_f64 v[53:54], v[4:5], v[53:54]
	ds_read_b128 v[2:5], v45 offset:32
	ds_read_b128 v[47:50], v45 offset:48
	s_waitcnt lgkmcnt(1)
	v_add_f64 v[2:3], v[51:52], v[2:3]
	v_add_f64 v[4:5], v[53:54], v[4:5]
	s_waitcnt lgkmcnt(0)
	v_add_f64 v[51:52], v[2:3], v[47:48]
	v_add_f64 v[53:54], v[4:5], v[49:50]
	ds_read_b128 v[2:5], v45 offset:64
	;; [unrolled: 8-line block ×3, first 2 shown]
	ds_read_b128 v[47:50], v45 offset:112
	s_waitcnt lgkmcnt(1)
	v_add_f64 v[2:3], v[51:52], v[2:3]
	v_add_f64 v[4:5], v[53:54], v[4:5]
	s_waitcnt lgkmcnt(0)
	v_add_f64 v[2:3], v[2:3], v[47:48]
	v_add_f64 v[4:5], v[4:5], v[49:50]
.LBB125_94:
	s_or_b32 exec_lo, exec_lo, s3
	v_mul_f64 v[47:48], v[32:33], v[36:37]
	v_mul_f64 v[36:37], v[30:31], v[36:37]
	;; [unrolled: 1-line block ×4, first 2 shown]
	s_barrier
	buffer_gl0_inv
	v_fma_f64 v[30:31], v[30:31], v[34:35], -v[47:48]
	v_fma_f64 v[32:33], v[32:33], v[34:35], v[36:37]
	v_mul_f64 v[34:35], v[12:13], v[20:21]
	v_mul_f64 v[20:21], v[10:11], v[20:21]
	v_fma_f64 v[22:23], v[22:23], v[26:27], -v[49:50]
	v_fma_f64 v[24:25], v[24:25], v[26:27], v[28:29]
	v_add_f64 v[26:27], v[30:31], 0
	v_add_f64 v[28:29], v[32:33], 0
	v_mul_f64 v[30:31], v[8:9], v[16:17]
	v_mul_f64 v[16:17], v[6:7], v[16:17]
	v_fma_f64 v[10:11], v[10:11], v[18:19], -v[34:35]
	v_fma_f64 v[12:13], v[12:13], v[18:19], v[20:21]
	v_add_f64 v[18:19], v[26:27], v[22:23]
	v_add_f64 v[20:21], v[28:29], v[24:25]
	v_fma_f64 v[6:7], v[6:7], v[14:15], -v[30:31]
	v_fma_f64 v[8:9], v[8:9], v[14:15], v[16:17]
	v_add_f64 v[10:11], v[18:19], v[10:11]
	v_add_f64 v[12:13], v[20:21], v[12:13]
	;; [unrolled: 1-line block ×4, first 2 shown]
	ds_write_b128 v46, v[6:9]
	s_waitcnt lgkmcnt(0)
	s_barrier
	buffer_gl0_inv
	s_and_saveexec_b32 s2, s1
	s_cbranch_execz .LBB125_96
; %bb.95:
	ds_read_b128 v[6:9], v45
	ds_read_b128 v[10:13], v45 offset:16
	s_waitcnt lgkmcnt(1)
	v_add_f64 v[2:3], v[2:3], v[6:7]
	v_add_f64 v[4:5], v[4:5], v[8:9]
	s_waitcnt lgkmcnt(0)
	v_add_f64 v[10:11], v[2:3], v[10:11]
	v_add_f64 v[12:13], v[4:5], v[12:13]
	ds_read_b128 v[2:5], v45 offset:32
	ds_read_b128 v[6:9], v45 offset:48
	s_waitcnt lgkmcnt(1)
	v_add_f64 v[2:3], v[10:11], v[2:3]
	v_add_f64 v[4:5], v[12:13], v[4:5]
	s_waitcnt lgkmcnt(0)
	v_add_f64 v[10:11], v[2:3], v[6:7]
	v_add_f64 v[12:13], v[4:5], v[8:9]
	ds_read_b128 v[2:5], v45 offset:64
	;; [unrolled: 8-line block ×3, first 2 shown]
	ds_read_b128 v[6:9], v45 offset:112
	s_waitcnt lgkmcnt(1)
	v_add_f64 v[2:3], v[10:11], v[2:3]
	v_add_f64 v[4:5], v[12:13], v[4:5]
	s_waitcnt lgkmcnt(0)
	v_add_f64 v[2:3], v[2:3], v[6:7]
	v_add_f64 v[4:5], v[4:5], v[8:9]
.LBB125_96:
	s_or_b32 exec_lo, exec_lo, s2
	s_load_dwordx2 s[2:3], s[4:5], 0x78
	s_mul_hi_u32 s1, s28, s7
	s_mul_i32 s11, s11, s7
	s_mul_i32 s4, s28, s7
	s_add_i32 s1, s1, s11
	s_mul_hi_u32 s5, s4, s24
	s_mul_i32 s1, s1, s24
	s_mul_i32 s4, s4, s24
	s_add_i32 s5, s5, s1
	s_mul_hi_i32 s9, s28, s6
	s_lshl_b64 s[4:5], s[4:5], 4
	s_mul_i32 s8, s28, s6
	v_lshlrev_b32_e32 v170, 4, v0
	s_waitcnt lgkmcnt(0)
	s_barrier
	buffer_gl0_inv
	s_add_u32 s1, s2, s4
	s_addc_u32 s4, s3, s5
	s_lshl_b64 s[2:3], s[8:9], 4
	s_add_u32 s7, s1, s2
	s_addc_u32 s13, s4, s3
	s_add_i32 s2, s6, 1
	s_cmp_ge_u32 s2, s24
	s_cbranch_scc1 .LBB125_154
; %bb.97:
	v_lshlrev_b32_e32 v171, 2, v1
	v_lshrrev_b32_e32 v8, 4, v44
	s_mul_i32 s4, s27, s16
	v_and_b32_e32 v9, 15, v0
	v_and_b32_e32 v11, 48, v0
	v_mad_u64_u32 v[6:7], null, s14, v171, v[0:1]
	v_lshlrev_b32_e32 v10, 6, v8
	s_ashr_i32 s5, s4, 31
	v_mul_i32_i24_e32 v12, 0xffffffd0, v8
	s_lshl_b64 s[4:5], s[4:5], 4
	s_lshl_b32 s10, s14, 4
	v_mad_u32_u24 v178, 0x430, v9, v10
	v_ashrrev_i32_e32 v7, 31, v6
	v_lshlrev_b32_e32 v10, 4, v11
	v_or_b32_e32 v11, 0xf0, v170
	v_sub_co_u32 v172, vcc_lo, v38, s4
	v_subrev_co_ci_u32_e64 v173, null, s5, v39, vcc_lo
	v_add_co_u32 v8, vcc_lo, s20, v6
	v_mad_u32_u24 v179, 0x430, v9, v10
	v_mad_u32_u24 v180, 0x430, v9, v11
	v_add_co_ci_u32_e64 v9, null, s21, v7, vcc_lo
	v_lshlrev_b64 v[6:7], 4, v[6:7]
	s_mul_i32 s16, s14, 3
	s_ashr_i32 s15, s14, 31
	v_lshlrev_b64 v[8:9], 4, v[8:9]
	s_ashr_i32 s17, s16, 31
	v_sub_co_u32 v195, vcc_lo, 0, v40
	s_lshl_b32 s23, s27, 6
	s_ashr_i32 s11, s10, 31
	v_mad_i64_i32 v[10:11], null, s10, 48, v[8:9]
	s_lshl_b32 s28, s14, 1
	s_mul_i32 s27, s27, s2
	s_lshl_b64 s[2:3], s[14:15], 4
	v_sub_co_ci_u32_e64 v196, null, 0, v41, vcc_lo
	v_add_co_u32 v13, vcc_lo, s18, v6
	s_mul_i32 s5, s14, 0x300
	s_lshl_b64 s[16:17], s[16:17], 4
	s_lshl_b64 s[14:15], s[14:15], 5
	s_add_i32 s22, s24, -2
	s_ashr_i32 s29, s28, 31
	s_lshl_b32 s4, s27, 6
	s_lshl_b64 s[8:9], s[10:11], 6
	v_add_co_ci_u32_e64 v14, null, s19, v7, vcc_lo
	v_add_co_u32 v15, vcc_lo, v10, s16
	s_add_u32 s27, s14, s18
	s_mul_hi_i32 s20, s10, 48
	s_addc_u32 s30, s15, s19
	v_add_co_ci_u32_e64 v16, null, s17, v11, vcc_lo
	v_add_co_u32 v17, vcc_lo, s27, v6
	s_add_u32 s5, s5, s14
	s_addc_u32 s14, s20, s15
	v_add_co_ci_u32_e64 v18, null, s30, v7, vcc_lo
	v_add_co_u32 v8, vcc_lo, s5, v8
	s_add_u32 s5, s2, s18
	v_add_co_ci_u32_e64 v9, null, s14, v9, vcc_lo
	s_addc_u32 s31, s3, s19
	v_add_co_u32 v19, vcc_lo, s5, v6
	s_lshl_b64 s[14:15], s[28:29], 4
	v_add_co_ci_u32_e64 v20, null, s31, v7, vcc_lo
	v_add_co_u32 v21, vcc_lo, v10, s14
	s_add_u32 s20, s18, s14
	v_add_co_ci_u32_e64 v22, null, s15, v11, vcc_lo
	s_addc_u32 s21, s19, s15
	v_add_co_u32 v23, vcc_lo, s20, v6
	v_add_co_ci_u32_e64 v24, null, s21, v7, vcc_lo
	v_add_co_u32 v25, vcc_lo, v10, s2
	s_add_u32 s20, s18, s16
	v_add_co_ci_u32_e64 v26, null, s3, v11, vcc_lo
	s_addc_u32 s21, s19, s17
	v_add_co_u32 v27, vcc_lo, s20, v6
	v_add_co_ci_u32_e64 v28, null, s21, v7, vcc_lo
	s_lshl_b64 s[20:21], s[10:11], 4
	v_add_co_u32 v197, vcc_lo, v42, v10
	s_add_u32 s28, s18, s20
	s_addc_u32 s29, s19, s21
	s_lshl_b64 s[10:11], s[10:11], 5
	v_add_co_ci_u32_e64 v198, null, v43, v11, vcc_lo
	s_add_u32 s18, s10, s18
	s_addc_u32 s19, s11, s19
	v_add_co_u32 v10, vcc_lo, s28, v6
	s_add_u32 s33, s18, s16
	s_addc_u32 s34, s19, s17
	v_add_co_ci_u32_e64 v11, null, s29, v7, vcc_lo
	v_add_co_u32 v29, vcc_lo, s33, v6
	s_add_u32 s5, s5, s20
	s_addc_u32 s31, s31, s21
	v_add_co_ci_u32_e64 v30, null, s34, v7, vcc_lo
	v_add_co_u32 v31, vcc_lo, s5, v6
	s_add_u32 s5, s27, s10
	v_add_co_ci_u32_e64 v32, null, s31, v7, vcc_lo
	s_addc_u32 s10, s30, s11
	v_add_co_u32 v33, vcc_lo, s5, v6
	s_add_u32 s5, s28, s14
	v_add_co_ci_u32_e64 v34, null, s10, v7, vcc_lo
	s_addc_u32 s10, s29, s15
	;; [unrolled: 4-line block ×4, first 2 shown]
	v_add_co_u32 v39, vcc_lo, s5, v6
	s_add_u32 s2, s18, s2
	s_addc_u32 s3, s19, s3
	v_add_co_ci_u32_e64 v40, null, s10, v7, vcc_lo
	v_add_co_u32 v41, vcc_lo, s2, v6
	s_add_u32 s2, s28, s16
	v_cmp_gt_u32_e64 s1, 64, v44
	v_add_co_ci_u32_e64 v44, null, s3, v7, vcc_lo
	s_addc_u32 s3, s29, s17
	v_add_co_u32 v45, vcc_lo, s2, v6
	v_add_co_ci_u32_e64 v46, null, s3, v7, vcc_lo
	v_add_co_u32 v6, vcc_lo, s18, v6
	v_add_co_ci_u32_e64 v7, null, s19, v7, vcc_lo
	;; [unrolled: 2-line block ×31, first 2 shown]
	v_add_co_u32 v236, vcc_lo, v6, 8
	v_add_nc_u32_e32 v174, 0x4300, v170
	v_lshl_add_u32 v175, v1, 6, 0x4300
	v_add_nc_u32_e32 v176, 0x4700, v170
	v_mad_u32_u24 v177, 0x10c0, v1, v170
	v_or_b32_e32 v181, 1, v171
	v_or_b32_e32 v182, 2, v171
	;; [unrolled: 1-line block ×3, first 2 shown]
	v_add_nc_u32_e32 v184, 16, v171
	v_add_nc_u32_e32 v185, 17, v171
	;; [unrolled: 1-line block ×13, first 2 shown]
	v_add_co_ci_u32_e64 v237, null, 0, v7, vcc_lo
	v_add_nc_u32_e32 v238, v178, v12
	v_mov_b32_e32 v6, 0
	s_cmp_eq_u32 s22, s6
	s_cselect_b32 s3, s25, 0
	s_and_saveexec_b32 s2, s0
	s_cbranch_execz .LBB125_102
.LBB125_98:
	v_cmp_le_i32_e32 vcc_lo, s3, v0
	s_cmp_lg_u32 s3, 0
	s_cselect_b32 s5, -1, 0
	s_and_b32 s5, s5, vcc_lo
	s_and_saveexec_b32 s10, s5
	s_xor_b32 s5, exec_lo, s10
	s_cbranch_execz .LBB125_100
; %bb.99:
	v_mov_b32_e32 v7, v6
	v_mov_b32_e32 v8, v6
	;; [unrolled: 1-line block ×3, first 2 shown]
	ds_write_b128 v174, v[6:9]
.LBB125_100:
	s_andn2_saveexec_b32 s5, s5
	s_cbranch_execz .LBB125_102
; %bb.101:
	s_ashr_i32 s5, s4, 31
	s_lshl_b64 s[10:11], s[4:5], 4
	v_add_co_u32 v7, vcc_lo, v172, s10
	v_add_co_ci_u32_e64 v8, null, s11, v173, vcc_lo
	global_load_dwordx4 v[7:10], v[7:8], off
	s_waitcnt vmcnt(0)
	ds_write2_b64 v174, v[7:8], v[9:10] offset1:1
.LBB125_102:                            ; =>This Inner Loop Header: Depth=1
	s_or_b32 exec_lo, exec_lo, s2
	s_cmp_eq_u32 s3, 0
	v_add_co_u32 v19, vcc_lo, v216, v195
	s_cselect_b32 s5, -1, 0
	s_cmp_lg_u32 s3, 0
	v_add_co_ci_u32_e64 v20, null, v217, v196, vcc_lo
	s_cselect_b32 s2, -1, 0
	s_waitcnt lgkmcnt(0)
	s_and_b32 vcc_lo, exec_lo, s2
	s_barrier
	buffer_gl0_inv
	s_cbranch_vccz .LBB125_110
; %bb.103:                              ;   in Loop: Header=BB125_102 Depth=1
	v_mov_b32_e32 v7, 0
	v_mov_b32_e32 v11, 0
	;; [unrolled: 1-line block ×6, first 2 shown]
	s_mov_b32 s10, exec_lo
	v_cmpx_gt_i32_e64 s3, v171
	s_cbranch_execz .LBB125_105
; %bb.104:                              ;   in Loop: Header=BB125_102 Depth=1
	global_load_dwordx4 v[11:14], v[19:20], off offset:-8
.LBB125_105:                            ;   in Loop: Header=BB125_102 Depth=1
	s_or_b32 exec_lo, exec_lo, s10
	v_mov_b32_e32 v9, 0
	v_mov_b32_e32 v10, 0
	s_mov_b32 s10, exec_lo
	v_cmpx_gt_i32_e64 s3, v181
	s_cbranch_execz .LBB125_107
; %bb.106:                              ;   in Loop: Header=BB125_102 Depth=1
	v_add_co_u32 v7, vcc_lo, v220, v195
	v_add_co_ci_u32_e64 v8, null, v221, v196, vcc_lo
	global_load_dwordx4 v[7:10], v[7:8], off offset:-8
.LBB125_107:                            ;   in Loop: Header=BB125_102 Depth=1
	s_or_b32 exec_lo, exec_lo, s10
	v_mov_b32_e32 v15, 0
	v_mov_b32_e32 v17, 0
	;; [unrolled: 1-line block ×4, first 2 shown]
	s_mov_b32 s10, exec_lo
	v_cmpx_gt_i32_e64 s3, v182
	s_cbranch_execz .LBB125_109
; %bb.108:                              ;   in Loop: Header=BB125_102 Depth=1
	v_add_co_u32 v15, vcc_lo, v222, v195
	v_add_co_ci_u32_e64 v16, null, v223, v196, vcc_lo
	global_load_dwordx4 v[15:18], v[15:16], off offset:-8
.LBB125_109:                            ;   in Loop: Header=BB125_102 Depth=1
	s_or_b32 exec_lo, exec_lo, s10
	v_cmp_gt_i32_e64 s10, s3, v183
	s_branch .LBB125_112
.LBB125_110:                            ;   in Loop: Header=BB125_102 Depth=1
	s_mov_b32 s10, 0
                                        ; implicit-def: $vgpr17_vgpr18
                                        ; implicit-def: $vgpr9_vgpr10
                                        ; implicit-def: $vgpr13_vgpr14
	s_cbranch_execz .LBB125_112
; %bb.111:                              ;   in Loop: Header=BB125_102 Depth=1
	s_waitcnt vmcnt(0)
	v_add_co_u32 v7, vcc_lo, v220, v195
	v_add_co_ci_u32_e64 v8, null, v221, v196, vcc_lo
	v_add_co_u32 v15, vcc_lo, v202, v195
	v_add_co_ci_u32_e64 v16, null, v203, v196, vcc_lo
	global_load_dwordx4 v[11:14], v[19:20], off offset:-8
	global_load_dwordx4 v[7:10], v[7:8], off offset:-8
	global_load_dwordx4 v[15:18], v[15:16], off
	s_or_b32 s10, s10, exec_lo
.LBB125_112:                            ;   in Loop: Header=BB125_102 Depth=1
	v_mov_b32_e32 v19, 0
	v_mov_b32_e32 v21, 0
	;; [unrolled: 1-line block ×4, first 2 shown]
	s_and_saveexec_b32 s11, s10
	s_cbranch_execz .LBB125_114
; %bb.113:                              ;   in Loop: Header=BB125_102 Depth=1
	v_add_co_u32 v19, vcc_lo, v224, v195
	v_add_co_ci_u32_e64 v20, null, v225, v196, vcc_lo
	global_load_dwordx4 v[19:22], v[19:20], off offset:-8
.LBB125_114:                            ;   in Loop: Header=BB125_102 Depth=1
	s_or_b32 exec_lo, exec_lo, s11
	ds_read_b128 v[23:26], v176
	v_cndmask_b32_e64 v95, 0, 1, s2
	s_waitcnt vmcnt(0) lgkmcnt(0)
	v_mul_f64 v[27:28], v[13:14], v[25:26]
	v_mul_f64 v[29:30], v[11:12], v[25:26]
	v_mul_f64 v[31:32], v[9:10], v[25:26]
	v_mul_f64 v[33:34], v[7:8], v[25:26]
	v_mul_f64 v[35:36], v[17:18], v[25:26]
	v_mul_f64 v[37:38], v[15:16], v[25:26]
	v_mul_f64 v[51:52], v[21:22], v[25:26]
	v_mul_f64 v[25:26], v[19:20], v[25:26]
	v_fma_f64 v[39:40], v[11:12], v[23:24], -v[27:28]
	v_fma_f64 v[41:42], v[13:14], v[23:24], v[29:30]
	v_fma_f64 v[43:44], v[7:8], v[23:24], -v[31:32]
	v_fma_f64 v[45:46], v[9:10], v[23:24], v[33:34]
	;; [unrolled: 2-line block ×4, first 2 shown]
	ds_read_b128 v[35:38], v175
	ds_read_b128 v[31:34], v175 offset:16
	ds_read_b128 v[27:30], v175 offset:32
	;; [unrolled: 1-line block ×3, first 2 shown]
	ds_write_b128 v177, v[39:42]
	ds_write_b128 v177, v[43:46] offset:1072
	ds_write_b128 v177, v[47:50] offset:2144
	;; [unrolled: 1-line block ×3, first 2 shown]
	s_waitcnt lgkmcnt(0)
	s_barrier
	buffer_gl0_inv
	ds_read_b128 v[131:134], v178
	ds_read_b128 v[127:130], v178 offset:16
	ds_read_b128 v[123:126], v178 offset:32
	;; [unrolled: 1-line block ×3, first 2 shown]
	v_add_co_u32 v51, vcc_lo, v226, v195
	v_add_co_ci_u32_e64 v52, null, v227, v196, vcc_lo
	s_andn2_b32 vcc_lo, exec_lo, s2
	s_waitcnt lgkmcnt(0)
	s_barrier
	buffer_gl0_inv
	s_cbranch_vccnz .LBB125_122
; %bb.115:                              ;   in Loop: Header=BB125_102 Depth=1
	v_mov_b32_e32 v39, 0
	v_mov_b32_e32 v43, 0
	;; [unrolled: 1-line block ×6, first 2 shown]
	s_mov_b32 s2, exec_lo
	v_cmpx_gt_i32_e64 s3, v184
	s_cbranch_execz .LBB125_117
; %bb.116:                              ;   in Loop: Header=BB125_102 Depth=1
	global_load_dwordx4 v[43:46], v[51:52], off offset:-8
.LBB125_117:                            ;   in Loop: Header=BB125_102 Depth=1
	s_or_b32 exec_lo, exec_lo, s2
	v_mov_b32_e32 v41, 0
	v_mov_b32_e32 v42, 0
	s_mov_b32 s2, exec_lo
	v_cmpx_gt_i32_e64 s3, v185
	s_cbranch_execz .LBB125_119
; %bb.118:                              ;   in Loop: Header=BB125_102 Depth=1
	v_add_co_u32 v39, vcc_lo, v228, v195
	v_add_co_ci_u32_e64 v40, null, v229, v196, vcc_lo
	global_load_dwordx4 v[39:42], v[39:40], off offset:-8
.LBB125_119:                            ;   in Loop: Header=BB125_102 Depth=1
	s_or_b32 exec_lo, exec_lo, s2
	v_mov_b32_e32 v47, 0
	v_mov_b32_e32 v49, 0
	;; [unrolled: 1-line block ×4, first 2 shown]
	s_mov_b32 s2, exec_lo
	v_cmpx_gt_i32_e64 s3, v186
	s_cbranch_execz .LBB125_121
; %bb.120:                              ;   in Loop: Header=BB125_102 Depth=1
	v_add_co_u32 v47, vcc_lo, v232, v195
	v_add_co_ci_u32_e64 v48, null, v233, v196, vcc_lo
	global_load_dwordx4 v[47:50], v[47:48], off offset:-8
.LBB125_121:                            ;   in Loop: Header=BB125_102 Depth=1
	s_or_b32 exec_lo, exec_lo, s2
	v_cmp_gt_i32_e64 s2, s3, v187
	s_branch .LBB125_124
.LBB125_122:                            ;   in Loop: Header=BB125_102 Depth=1
	s_mov_b32 s2, 0
                                        ; implicit-def: $vgpr49_vgpr50
                                        ; implicit-def: $vgpr41_vgpr42
                                        ; implicit-def: $vgpr45_vgpr46
	s_cbranch_execz .LBB125_124
; %bb.123:                              ;   in Loop: Header=BB125_102 Depth=1
	s_waitcnt vmcnt(0)
	v_add_co_u32 v39, vcc_lo, v228, v195
	v_add_co_ci_u32_e64 v40, null, v229, v196, vcc_lo
	v_add_co_u32 v47, vcc_lo, v212, v195
	v_add_co_ci_u32_e64 v48, null, v213, v196, vcc_lo
	global_load_dwordx4 v[43:46], v[51:52], off offset:-8
	global_load_dwordx4 v[39:42], v[39:40], off offset:-8
	global_load_dwordx4 v[47:50], v[47:48], off
	s_or_b32 s2, s2, exec_lo
.LBB125_124:                            ;   in Loop: Header=BB125_102 Depth=1
	v_mov_b32_e32 v51, 0
	v_mov_b32_e32 v53, 0
	;; [unrolled: 1-line block ×4, first 2 shown]
	s_and_saveexec_b32 s10, s2
	s_cbranch_execz .LBB125_126
; %bb.125:                              ;   in Loop: Header=BB125_102 Depth=1
	v_add_co_u32 v51, vcc_lo, v234, v195
	v_add_co_ci_u32_e64 v52, null, v235, v196, vcc_lo
	global_load_dwordx4 v[51:54], v[51:52], off offset:-8
.LBB125_126:                            ;   in Loop: Header=BB125_102 Depth=1
	s_or_b32 exec_lo, exec_lo, s10
	ds_read_b128 v[55:58], v176
	v_cmp_ne_u32_e32 vcc_lo, 1, v95
	s_and_b32 vcc_lo, exec_lo, vcc_lo
	s_waitcnt vmcnt(0) lgkmcnt(0)
	v_mul_f64 v[59:60], v[45:46], v[57:58]
	v_mul_f64 v[61:62], v[43:44], v[57:58]
	;; [unrolled: 1-line block ×8, first 2 shown]
	v_fma_f64 v[71:72], v[43:44], v[55:56], -v[59:60]
	v_fma_f64 v[73:74], v[45:46], v[55:56], v[61:62]
	v_fma_f64 v[75:76], v[39:40], v[55:56], -v[63:64]
	v_fma_f64 v[77:78], v[41:42], v[55:56], v[65:66]
	;; [unrolled: 2-line block ×4, first 2 shown]
	ds_read_b128 v[67:70], v175 offset:256
	ds_read_b128 v[63:66], v175 offset:272
	;; [unrolled: 1-line block ×4, first 2 shown]
	ds_write_b128 v177, v[71:74]
	ds_write_b128 v177, v[75:78] offset:1072
	ds_write_b128 v177, v[79:82] offset:2144
	;; [unrolled: 1-line block ×3, first 2 shown]
	s_waitcnt lgkmcnt(0)
	s_barrier
	buffer_gl0_inv
	ds_read_b128 v[147:150], v178
	ds_read_b128 v[143:146], v178 offset:16
	ds_read_b128 v[139:142], v178 offset:32
	;; [unrolled: 1-line block ×3, first 2 shown]
	v_add_co_u32 v83, s2, v236, v195
	v_add_co_ci_u32_e64 v84, null, v237, v196, s2
	s_waitcnt lgkmcnt(0)
	s_barrier
	buffer_gl0_inv
	s_cbranch_vccnz .LBB125_134
; %bb.127:                              ;   in Loop: Header=BB125_102 Depth=1
	v_mov_b32_e32 v71, 0
	v_mov_b32_e32 v75, 0
	;; [unrolled: 1-line block ×6, first 2 shown]
	s_mov_b32 s2, exec_lo
	v_cmpx_gt_i32_e64 s3, v188
	s_cbranch_execz .LBB125_129
; %bb.128:                              ;   in Loop: Header=BB125_102 Depth=1
	global_load_dwordx4 v[75:78], v[83:84], off offset:-8
.LBB125_129:                            ;   in Loop: Header=BB125_102 Depth=1
	s_or_b32 exec_lo, exec_lo, s2
	v_mov_b32_e32 v73, 0
	v_mov_b32_e32 v74, 0
	s_mov_b32 s2, exec_lo
	v_cmpx_gt_i32_e64 s3, v189
	s_cbranch_execz .LBB125_131
; %bb.130:                              ;   in Loop: Header=BB125_102 Depth=1
	v_add_co_u32 v71, vcc_lo, v214, v195
	v_add_co_ci_u32_e64 v72, null, v215, v196, vcc_lo
	global_load_dwordx4 v[71:74], v[71:72], off
.LBB125_131:                            ;   in Loop: Header=BB125_102 Depth=1
	s_or_b32 exec_lo, exec_lo, s2
	v_mov_b32_e32 v79, 0
	v_mov_b32_e32 v81, 0
	;; [unrolled: 1-line block ×4, first 2 shown]
	s_mov_b32 s2, exec_lo
	v_cmpx_gt_i32_e64 s3, v190
	s_cbranch_execz .LBB125_133
; %bb.132:                              ;   in Loop: Header=BB125_102 Depth=1
	v_add_co_u32 v79, vcc_lo, v210, v195
	v_add_co_ci_u32_e64 v80, null, v211, v196, vcc_lo
	global_load_dwordx4 v[79:82], v[79:80], off
.LBB125_133:                            ;   in Loop: Header=BB125_102 Depth=1
	s_or_b32 exec_lo, exec_lo, s2
	v_cmp_gt_i32_e64 s2, s3, v191
	s_branch .LBB125_136
.LBB125_134:                            ;   in Loop: Header=BB125_102 Depth=1
	s_mov_b32 s2, 0
                                        ; implicit-def: $vgpr81_vgpr82
                                        ; implicit-def: $vgpr73_vgpr74
                                        ; implicit-def: $vgpr77_vgpr78
	s_cbranch_execz .LBB125_136
; %bb.135:                              ;   in Loop: Header=BB125_102 Depth=1
	s_waitcnt vmcnt(0)
	v_add_co_u32 v71, vcc_lo, v214, v195
	v_add_co_ci_u32_e64 v72, null, v215, v196, vcc_lo
	v_add_co_u32 v79, vcc_lo, v230, v195
	v_add_co_ci_u32_e64 v80, null, v231, v196, vcc_lo
	global_load_dwordx4 v[75:78], v[83:84], off offset:-8
	global_load_dwordx4 v[71:74], v[71:72], off
	global_load_dwordx4 v[79:82], v[79:80], off offset:-8
	s_or_b32 s2, s2, exec_lo
.LBB125_136:                            ;   in Loop: Header=BB125_102 Depth=1
	v_mov_b32_e32 v83, 0
	v_mov_b32_e32 v85, 0
	;; [unrolled: 1-line block ×4, first 2 shown]
	s_and_saveexec_b32 s10, s2
	s_cbranch_execz .LBB125_138
; %bb.137:                              ;   in Loop: Header=BB125_102 Depth=1
	v_add_co_u32 v83, vcc_lo, v208, v195
	v_add_co_ci_u32_e64 v84, null, v209, v196, vcc_lo
	global_load_dwordx4 v[83:86], v[83:84], off
.LBB125_138:                            ;   in Loop: Header=BB125_102 Depth=1
	s_or_b32 exec_lo, exec_lo, s10
	ds_read_b128 v[87:90], v176
	v_cmp_ne_u32_e32 vcc_lo, 1, v95
	s_and_b32 vcc_lo, exec_lo, vcc_lo
	s_waitcnt vmcnt(0) lgkmcnt(0)
	v_mul_f64 v[91:92], v[77:78], v[89:90]
	v_mul_f64 v[93:94], v[75:76], v[89:90]
	;; [unrolled: 1-line block ×8, first 2 shown]
	v_fma_f64 v[107:108], v[75:76], v[87:88], -v[91:92]
	v_fma_f64 v[109:110], v[77:78], v[87:88], v[93:94]
	v_fma_f64 v[111:112], v[71:72], v[87:88], -v[96:97]
	v_fma_f64 v[113:114], v[73:74], v[87:88], v[98:99]
	;; [unrolled: 2-line block ×4, first 2 shown]
	ds_read_b128 v[103:106], v175 offset:512
	ds_read_b128 v[99:102], v175 offset:528
	ds_read_b128 v[91:94], v175 offset:544
	ds_read_b128 v[87:90], v175 offset:560
	ds_write_b128 v177, v[107:110]
	ds_write_b128 v177, v[111:114] offset:1072
	ds_write_b128 v177, v[115:118] offset:2144
	;; [unrolled: 1-line block ×3, first 2 shown]
	s_waitcnt lgkmcnt(0)
	s_barrier
	buffer_gl0_inv
	ds_read_b128 v[163:166], v178
	ds_read_b128 v[159:162], v178 offset:16
	ds_read_b128 v[155:158], v178 offset:32
	;; [unrolled: 1-line block ×3, first 2 shown]
	v_add_co_u32 v115, s2, v197, v195
	v_add_co_ci_u32_e64 v116, null, v198, v196, s2
	s_waitcnt lgkmcnt(0)
	s_barrier
	buffer_gl0_inv
	s_cbranch_vccnz .LBB125_146
; %bb.139:                              ;   in Loop: Header=BB125_102 Depth=1
	v_mov_b32_e32 v95, 0
	v_mov_b32_e32 v107, 0
	;; [unrolled: 1-line block ×6, first 2 shown]
	s_mov_b32 s2, exec_lo
	v_cmpx_gt_i32_e64 s3, v192
	s_cbranch_execz .LBB125_141
; %bb.140:                              ;   in Loop: Header=BB125_102 Depth=1
	global_load_dwordx4 v[107:110], v[115:116], off
.LBB125_141:                            ;   in Loop: Header=BB125_102 Depth=1
	s_or_b32 exec_lo, exec_lo, s2
	v_mov_b32_e32 v97, 0
	v_mov_b32_e32 v98, 0
	s_mov_b32 s2, exec_lo
	v_cmpx_gt_i32_e64 s3, v193
	s_cbranch_execz .LBB125_143
; %bb.142:                              ;   in Loop: Header=BB125_102 Depth=1
	v_add_co_u32 v95, vcc_lo, v206, v195
	v_add_co_ci_u32_e64 v96, null, v207, v196, vcc_lo
	global_load_dwordx4 v[95:98], v[95:96], off
.LBB125_143:                            ;   in Loop: Header=BB125_102 Depth=1
	s_or_b32 exec_lo, exec_lo, s2
	v_mov_b32_e32 v111, 0
	v_mov_b32_e32 v113, 0
	;; [unrolled: 1-line block ×4, first 2 shown]
	s_mov_b32 s2, exec_lo
	v_cmpx_gt_i32_e64 s3, v194
	s_cbranch_execz .LBB125_145
; %bb.144:                              ;   in Loop: Header=BB125_102 Depth=1
	v_add_co_u32 v111, vcc_lo, v204, v195
	v_add_co_ci_u32_e64 v112, null, v205, v196, vcc_lo
	global_load_dwordx4 v[111:114], v[111:112], off
.LBB125_145:                            ;   in Loop: Header=BB125_102 Depth=1
	s_or_b32 exec_lo, exec_lo, s2
	v_cmp_gt_i32_e64 s2, s3, v199
	s_branch .LBB125_148
.LBB125_146:                            ;   in Loop: Header=BB125_102 Depth=1
	s_mov_b32 s2, 0
                                        ; implicit-def: $vgpr113_vgpr114
                                        ; implicit-def: $vgpr97_vgpr98
                                        ; implicit-def: $vgpr109_vgpr110
	s_cbranch_execz .LBB125_148
; %bb.147:                              ;   in Loop: Header=BB125_102 Depth=1
	s_waitcnt vmcnt(0)
	v_add_co_u32 v95, vcc_lo, v206, v195
	v_add_co_ci_u32_e64 v96, null, v207, v196, vcc_lo
	v_add_co_u32 v111, vcc_lo, v218, v195
	v_add_co_ci_u32_e64 v112, null, v219, v196, vcc_lo
	global_load_dwordx4 v[107:110], v[115:116], off
	global_load_dwordx4 v[95:98], v[95:96], off
	global_load_dwordx4 v[111:114], v[111:112], off offset:-8
	s_or_b32 s2, s2, exec_lo
.LBB125_148:                            ;   in Loop: Header=BB125_102 Depth=1
	v_mov_b32_e32 v115, 0
	v_mov_b32_e32 v117, 0
	;; [unrolled: 1-line block ×4, first 2 shown]
	s_and_saveexec_b32 s10, s2
	s_cbranch_execz .LBB125_150
; %bb.149:                              ;   in Loop: Header=BB125_102 Depth=1
	v_add_co_u32 v115, vcc_lo, v200, v195
	v_add_co_ci_u32_e64 v116, null, v201, v196, vcc_lo
	global_load_dwordx4 v[115:118], v[115:116], off
.LBB125_150:                            ;   in Loop: Header=BB125_102 Depth=1
	s_or_b32 exec_lo, exec_lo, s10
	v_add_f64 v[147:148], v[147:148], 0
	v_add_f64 v[149:150], v[149:150], 0
	;; [unrolled: 1-line block ×6, first 2 shown]
	v_cmp_gt_i32_e32 vcc_lo, s3, v0
	s_or_b32 s2, s5, vcc_lo
	s_and_b32 s3, s1, s2
	v_add_f64 v[143:144], v[147:148], v[143:144]
	v_add_f64 v[145:146], v[149:150], v[145:146]
	v_add_f64 v[127:128], v[131:132], v[127:128]
	v_add_f64 v[129:130], v[133:134], v[129:130]
	v_add_f64 v[159:160], v[163:164], v[159:160]
	v_add_f64 v[161:162], v[165:166], v[161:162]
	v_add_f64 v[139:140], v[143:144], v[139:140]
	v_add_f64 v[141:142], v[145:146], v[141:142]
	v_add_f64 v[123:124], v[127:128], v[123:124]
	v_add_f64 v[125:126], v[129:130], v[125:126]
	v_add_f64 v[155:156], v[159:160], v[155:156]
	v_add_f64 v[157:158], v[161:162], v[157:158]
	v_add_f64 v[135:136], v[139:140], v[135:136]
	v_add_f64 v[137:138], v[141:142], v[137:138]
	v_add_f64 v[139:140], v[123:124], v[119:120]
	v_add_f64 v[141:142], v[125:126], v[121:122]
	ds_read_b128 v[143:146], v176
	ds_read_b128 v[131:134], v175 offset:768
	ds_read_b128 v[127:130], v175 offset:784
	;; [unrolled: 1-line block ×4, first 2 shown]
	v_add_f64 v[151:152], v[155:156], v[151:152]
	v_add_f64 v[153:154], v[157:158], v[153:154]
	s_waitcnt vmcnt(0) lgkmcnt(4)
	v_mul_f64 v[147:148], v[109:110], v[145:146]
	v_mul_f64 v[149:150], v[107:108], v[145:146]
	v_fma_f64 v[147:148], v[107:108], v[143:144], -v[147:148]
	v_fma_f64 v[149:150], v[109:110], v[143:144], v[149:150]
	ds_write_b128 v177, v[147:150]
	v_mul_f64 v[147:148], v[97:98], v[145:146]
	v_mul_f64 v[149:150], v[95:96], v[145:146]
	v_fma_f64 v[147:148], v[95:96], v[143:144], -v[147:148]
	v_fma_f64 v[149:150], v[97:98], v[143:144], v[149:150]
	ds_write_b128 v177, v[147:150] offset:1072
	v_mul_f64 v[147:148], v[113:114], v[145:146]
	v_mul_f64 v[149:150], v[111:112], v[145:146]
	v_fma_f64 v[147:148], v[111:112], v[143:144], -v[147:148]
	v_fma_f64 v[149:150], v[113:114], v[143:144], v[149:150]
	ds_write_b128 v177, v[147:150] offset:2144
	;; [unrolled: 5-line block ×3, first 2 shown]
	s_waitcnt lgkmcnt(0)
	s_barrier
	buffer_gl0_inv
	ds_read_b128 v[143:146], v178
	ds_read_b128 v[147:150], v178 offset:16
	ds_read_b128 v[155:158], v178 offset:32
	;; [unrolled: 1-line block ×3, first 2 shown]
	s_waitcnt lgkmcnt(0)
	s_barrier
	buffer_gl0_inv
	v_add_f64 v[143:144], v[143:144], 0
	v_add_f64 v[145:146], v[145:146], 0
	;; [unrolled: 1-line block ×8, first 2 shown]
	ds_write_b128 v238, v[139:142]
	ds_write_b128 v238, v[135:138] offset:256
	ds_write_b128 v238, v[151:154] offset:512
	;; [unrolled: 1-line block ×3, first 2 shown]
	s_waitcnt lgkmcnt(0)
	s_barrier
	buffer_gl0_inv
	s_and_saveexec_b32 s2, s3
	s_cbranch_execz .LBB125_152
; %bb.151:                              ;   in Loop: Header=BB125_102 Depth=1
	ds_read_b128 v[135:138], v179
	ds_read_b128 v[139:142], v179 offset:16
	v_ashrrev_i32_e32 v169, 31, v168
	s_waitcnt lgkmcnt(0)
	v_add_f64 v[143:144], v[139:140], v[135:136]
	v_add_f64 v[145:146], v[141:142], v[137:138]
	ds_read_b128 v[135:138], v179 offset:32
	ds_read_b128 v[139:142], v179 offset:48
	s_waitcnt lgkmcnt(1)
	v_add_f64 v[135:136], v[143:144], v[135:136]
	v_add_f64 v[137:138], v[145:146], v[137:138]
	s_waitcnt lgkmcnt(0)
	v_add_f64 v[143:144], v[135:136], v[139:140]
	v_add_f64 v[145:146], v[137:138], v[141:142]
	ds_read_b128 v[135:138], v179 offset:64
	ds_read_b128 v[139:142], v179 offset:80
	s_waitcnt lgkmcnt(1)
	v_add_f64 v[135:136], v[143:144], v[135:136]
	v_add_f64 v[137:138], v[145:146], v[137:138]
	s_waitcnt lgkmcnt(0)
	v_add_f64 v[143:144], v[135:136], v[139:140]
	v_add_f64 v[145:146], v[137:138], v[141:142]
	ds_read_b128 v[135:138], v179 offset:96
	ds_read_b128 v[139:142], v179 offset:112
	s_waitcnt lgkmcnt(1)
	v_add_f64 v[135:136], v[143:144], v[135:136]
	v_add_f64 v[137:138], v[145:146], v[137:138]
	s_waitcnt lgkmcnt(0)
	v_add_f64 v[143:144], v[135:136], v[139:140]
	v_add_f64 v[145:146], v[137:138], v[141:142]
	ds_read_b128 v[135:138], v179 offset:128
	ds_read_b128 v[139:142], v179 offset:144
	s_waitcnt lgkmcnt(1)
	v_add_f64 v[135:136], v[143:144], v[135:136]
	v_add_f64 v[137:138], v[145:146], v[137:138]
	s_waitcnt lgkmcnt(0)
	v_add_f64 v[143:144], v[135:136], v[139:140]
	v_add_f64 v[145:146], v[137:138], v[141:142]
	ds_read_b128 v[135:138], v179 offset:160
	ds_read_b128 v[139:142], v179 offset:176
	s_waitcnt lgkmcnt(1)
	v_add_f64 v[135:136], v[143:144], v[135:136]
	v_add_f64 v[137:138], v[145:146], v[137:138]
	s_waitcnt lgkmcnt(0)
	v_add_f64 v[143:144], v[135:136], v[139:140]
	v_add_f64 v[145:146], v[137:138], v[141:142]
	ds_read_b128 v[135:138], v179 offset:192
	ds_read_b128 v[139:142], v179 offset:208
	s_waitcnt lgkmcnt(1)
	v_add_f64 v[135:136], v[143:144], v[135:136]
	v_add_f64 v[137:138], v[145:146], v[137:138]
	s_waitcnt lgkmcnt(0)
	v_add_f64 v[143:144], v[135:136], v[139:140]
	v_add_f64 v[145:146], v[137:138], v[141:142]
	ds_read_b128 v[135:138], v179 offset:224
	ds_read_b128 v[139:142], v180
	s_waitcnt lgkmcnt(1)
	v_add_f64 v[135:136], v[143:144], v[135:136]
	v_add_f64 v[137:138], v[145:146], v[137:138]
	s_waitcnt lgkmcnt(0)
	v_add_f64 v[135:136], v[135:136], v[139:140]
	v_add_f64 v[137:138], v[137:138], v[141:142]
	v_lshlrev_b64 v[139:140], 4, v[168:169]
	v_add_co_u32 v139, vcc_lo, s7, v139
	v_add_co_ci_u32_e64 v140, null, s13, v140, vcc_lo
	global_store_dwordx4 v[139:140], v[135:138], off
.LBB125_152:                            ;   in Loop: Header=BB125_102 Depth=1
	s_or_b32 exec_lo, exec_lo, s2
	v_mul_f64 v[135:136], v[13:14], v[37:38]
	v_mul_f64 v[37:38], v[11:12], v[37:38]
	;; [unrolled: 1-line block ×4, first 2 shown]
	v_add_co_u32 v216, vcc_lo, v216, s8
	v_add_co_ci_u32_e64 v217, null, s9, v217, vcc_lo
	v_add_co_u32 v200, vcc_lo, v200, s8
	v_add_co_ci_u32_e64 v201, null, s9, v201, vcc_lo
	;; [unrolled: 2-line block ×4, first 2 shown]
	v_add_co_u32 v220, vcc_lo, v220, s8
	v_fma_f64 v[11:12], v[11:12], v[35:36], -v[135:136]
	v_fma_f64 v[13:14], v[13:14], v[35:36], v[37:38]
	v_mul_f64 v[35:36], v[17:18], v[29:30]
	v_mul_f64 v[29:30], v[15:16], v[29:30]
	v_fma_f64 v[7:8], v[7:8], v[31:32], -v[137:138]
	v_fma_f64 v[9:10], v[9:10], v[31:32], v[33:34]
	v_add_co_ci_u32_e64 v221, null, s9, v221, vcc_lo
	v_add_co_u32 v204, vcc_lo, v204, s8
	v_add_co_ci_u32_e64 v205, null, s9, v205, vcc_lo
	v_add_co_u32 v222, vcc_lo, v222, s8
	;; [unrolled: 2-line block ×4, first 2 shown]
	v_add_f64 v[2:3], v[2:3], v[11:12]
	v_add_f64 v[4:5], v[4:5], v[13:14]
	v_mul_f64 v[11:12], v[21:22], v[25:26]
	v_mul_f64 v[13:14], v[19:20], v[25:26]
	v_fma_f64 v[15:16], v[15:16], v[27:28], -v[35:36]
	v_fma_f64 v[17:18], v[17:18], v[27:28], v[29:30]
	v_add_co_ci_u32_e64 v225, null, s9, v225, vcc_lo
	v_add_co_u32 v197, vcc_lo, v197, s8
	v_add_co_ci_u32_e64 v198, null, s9, v198, vcc_lo
	v_add_co_u32 v226, vcc_lo, v226, s8
	;; [unrolled: 2-line block ×4, first 2 shown]
	v_add_f64 v[2:3], v[2:3], v[7:8]
	v_add_f64 v[4:5], v[4:5], v[9:10]
	v_mul_f64 v[7:8], v[45:46], v[69:70]
	v_mul_f64 v[9:10], v[43:44], v[69:70]
	v_fma_f64 v[11:12], v[19:20], v[23:24], -v[11:12]
	v_fma_f64 v[13:14], v[21:22], v[23:24], v[13:14]
	v_mul_f64 v[19:20], v[117:118], v[121:122]
	v_mul_f64 v[21:22], v[115:116], v[121:122]
	v_add_co_ci_u32_e64 v229, null, s9, v229, vcc_lo
	v_add_co_u32 v230, vcc_lo, v230, s8
	v_add_co_ci_u32_e64 v231, null, s9, v231, vcc_lo
	v_add_co_u32 v232, vcc_lo, v232, s8
	v_add_co_ci_u32_e64 v233, null, s9, v233, vcc_lo
	v_add_co_u32 v210, vcc_lo, v210, s8
	v_add_co_ci_u32_e64 v211, null, s9, v211, vcc_lo
	v_add_f64 v[2:3], v[2:3], v[15:16]
	v_add_f64 v[4:5], v[4:5], v[17:18]
	v_mul_f64 v[15:16], v[41:42], v[65:66]
	v_mul_f64 v[17:18], v[39:40], v[65:66]
	v_fma_f64 v[7:8], v[43:44], v[67:68], -v[7:8]
	v_fma_f64 v[9:10], v[45:46], v[67:68], v[9:10]
	v_add_co_u32 v212, vcc_lo, v212, s8
	v_add_co_ci_u32_e64 v213, null, s9, v213, vcc_lo
	v_add_co_u32 v214, vcc_lo, v214, s8
	v_add_co_ci_u32_e64 v215, null, s9, v215, vcc_lo
	;; [unrolled: 2-line block ×3, first 2 shown]
	v_add_co_u32 v236, vcc_lo, v236, s8
	v_add_nc_u32_e32 v168, 64, v168
	v_add_co_ci_u32_e64 v237, null, s9, v237, vcc_lo
	v_add_f64 v[2:3], v[2:3], v[11:12]
	v_add_f64 v[4:5], v[4:5], v[13:14]
	v_mul_f64 v[11:12], v[49:50], v[61:62]
	v_mul_f64 v[13:14], v[47:48], v[61:62]
	v_fma_f64 v[15:16], v[39:40], v[63:64], -v[15:16]
	v_fma_f64 v[17:18], v[41:42], v[63:64], v[17:18]
	s_add_i32 s3, s6, 2
	s_add_i32 s2, s6, 1
	;; [unrolled: 1-line block ×3, first 2 shown]
	s_cmp_ge_u32 s3, s24
	s_waitcnt_vscnt null, 0x0
	s_barrier
	buffer_gl0_inv
	v_add_f64 v[2:3], v[2:3], v[7:8]
	v_add_f64 v[4:5], v[4:5], v[9:10]
	v_mul_f64 v[7:8], v[53:54], v[57:58]
	v_mul_f64 v[9:10], v[51:52], v[57:58]
	v_fma_f64 v[11:12], v[47:48], v[59:60], -v[11:12]
	v_fma_f64 v[13:14], v[49:50], v[59:60], v[13:14]
	v_add_f64 v[2:3], v[2:3], v[15:16]
	v_add_f64 v[4:5], v[4:5], v[17:18]
	v_mul_f64 v[15:16], v[77:78], v[105:106]
	v_mul_f64 v[17:18], v[75:76], v[105:106]
	v_fma_f64 v[7:8], v[51:52], v[55:56], -v[7:8]
	v_fma_f64 v[9:10], v[53:54], v[55:56], v[9:10]
	;; [unrolled: 6-line block ×8, first 2 shown]
	v_add_f64 v[2:3], v[2:3], v[11:12]
	v_add_f64 v[4:5], v[4:5], v[13:14]
	v_fma_f64 v[11:12], v[111:112], v[123:124], -v[15:16]
	v_fma_f64 v[13:14], v[113:114], v[123:124], v[17:18]
	v_add_f64 v[2:3], v[2:3], v[7:8]
	v_add_f64 v[4:5], v[4:5], v[9:10]
	v_fma_f64 v[7:8], v[115:116], v[119:120], -v[19:20]
	v_fma_f64 v[9:10], v[117:118], v[119:120], v[21:22]
	v_add_f64 v[2:3], v[2:3], v[11:12]
	v_add_f64 v[4:5], v[4:5], v[13:14]
	;; [unrolled: 1-line block ×4, first 2 shown]
	s_cbranch_scc1 .LBB125_154
; %bb.153:                              ;   in Loop: Header=BB125_102 Depth=1
	s_mov_b32 s6, s2
	s_cmp_eq_u32 s22, s6
	s_cselect_b32 s3, s25, 0
	s_and_saveexec_b32 s2, s0
	s_cbranch_execnz .LBB125_98
	s_branch .LBB125_102
.LBB125_154:
	v_cmp_gt_i32_e32 vcc_lo, s12, v0
	v_mad_u32_u24 v1, 0x430, v1, v170
	s_or_b32 s1, s26, vcc_lo
	ds_write_b128 v1, v[2:5]
	s_and_b32 s0, s0, s1
	s_waitcnt lgkmcnt(0)
	s_barrier
	buffer_gl0_inv
	s_and_saveexec_b32 s1, s0
	s_cbranch_execz .LBB125_156
; %bb.155:
	ds_read_b128 v[0:3], v170 offset:1072
	ds_read_b128 v[4:7], v170
	v_ashrrev_i32_e32 v168, 31, v167
	s_waitcnt lgkmcnt(0)
	v_add_f64 v[8:9], v[0:1], v[4:5]
	v_add_f64 v[10:11], v[2:3], v[6:7]
	ds_read_b128 v[0:3], v170 offset:2144
	ds_read_b128 v[4:7], v170 offset:3216
	s_waitcnt lgkmcnt(1)
	v_add_f64 v[0:1], v[8:9], v[0:1]
	v_add_f64 v[2:3], v[10:11], v[2:3]
	s_waitcnt lgkmcnt(0)
	v_add_f64 v[0:1], v[0:1], v[4:5]
	v_add_f64 v[2:3], v[2:3], v[6:7]
	v_lshlrev_b64 v[4:5], 4, v[167:168]
	v_add_co_u32 v4, vcc_lo, s7, v4
	v_add_co_ci_u32_e64 v5, null, s13, v5, vcc_lo
	global_store_dwordx4 v[4:5], v[0:3], off
.LBB125_156:
	s_endpgm
	.section	.rodata,"a",@progbits
	.p2align	6, 0x0
	.amdhsa_kernel _ZL26rocblas_hemvn_kernel_upperILb0ELi64ELi4ELi33ELi32ELi16Ei19rocblas_complex_numIdEPKS1_PS1_EviT6_lT7_lT5_lS6_lS7_lS5_lT8_i
		.amdhsa_group_segment_fixed_size 19200
		.amdhsa_private_segment_fixed_size 0
		.amdhsa_kernarg_size 392
		.amdhsa_user_sgpr_count 6
		.amdhsa_user_sgpr_private_segment_buffer 1
		.amdhsa_user_sgpr_dispatch_ptr 0
		.amdhsa_user_sgpr_queue_ptr 0
		.amdhsa_user_sgpr_kernarg_segment_ptr 1
		.amdhsa_user_sgpr_dispatch_id 0
		.amdhsa_user_sgpr_flat_scratch_init 0
		.amdhsa_user_sgpr_private_segment_size 0
		.amdhsa_wavefront_size32 1
		.amdhsa_uses_dynamic_stack 0
		.amdhsa_system_sgpr_private_segment_wavefront_offset 0
		.amdhsa_system_sgpr_workgroup_id_x 1
		.amdhsa_system_sgpr_workgroup_id_y 0
		.amdhsa_system_sgpr_workgroup_id_z 1
		.amdhsa_system_sgpr_workgroup_info 0
		.amdhsa_system_vgpr_workitem_id 1
		.amdhsa_next_free_vgpr 239
		.amdhsa_next_free_sgpr 35
		.amdhsa_reserve_vcc 1
		.amdhsa_reserve_flat_scratch 0
		.amdhsa_float_round_mode_32 0
		.amdhsa_float_round_mode_16_64 0
		.amdhsa_float_denorm_mode_32 3
		.amdhsa_float_denorm_mode_16_64 3
		.amdhsa_dx10_clamp 1
		.amdhsa_ieee_mode 1
		.amdhsa_fp16_overflow 0
		.amdhsa_workgroup_processor_mode 1
		.amdhsa_memory_ordered 1
		.amdhsa_forward_progress 1
		.amdhsa_shared_vgpr_count 0
		.amdhsa_exception_fp_ieee_invalid_op 0
		.amdhsa_exception_fp_denorm_src 0
		.amdhsa_exception_fp_ieee_div_zero 0
		.amdhsa_exception_fp_ieee_overflow 0
		.amdhsa_exception_fp_ieee_underflow 0
		.amdhsa_exception_fp_ieee_inexact 0
		.amdhsa_exception_int_div_zero 0
	.end_amdhsa_kernel
	.section	.text._ZL26rocblas_hemvn_kernel_upperILb0ELi64ELi4ELi33ELi32ELi16Ei19rocblas_complex_numIdEPKS1_PS1_EviT6_lT7_lT5_lS6_lS7_lS5_lT8_i,"axG",@progbits,_ZL26rocblas_hemvn_kernel_upperILb0ELi64ELi4ELi33ELi32ELi16Ei19rocblas_complex_numIdEPKS1_PS1_EviT6_lT7_lT5_lS6_lS7_lS5_lT8_i,comdat
.Lfunc_end125:
	.size	_ZL26rocblas_hemvn_kernel_upperILb0ELi64ELi4ELi33ELi32ELi16Ei19rocblas_complex_numIdEPKS1_PS1_EviT6_lT7_lT5_lS6_lS7_lS5_lT8_i, .Lfunc_end125-_ZL26rocblas_hemvn_kernel_upperILb0ELi64ELi4ELi33ELi32ELi16Ei19rocblas_complex_numIdEPKS1_PS1_EviT6_lT7_lT5_lS6_lS7_lS5_lT8_i
                                        ; -- End function
	.set _ZL26rocblas_hemvn_kernel_upperILb0ELi64ELi4ELi33ELi32ELi16Ei19rocblas_complex_numIdEPKS1_PS1_EviT6_lT7_lT5_lS6_lS7_lS5_lT8_i.num_vgpr, 239
	.set _ZL26rocblas_hemvn_kernel_upperILb0ELi64ELi4ELi33ELi32ELi16Ei19rocblas_complex_numIdEPKS1_PS1_EviT6_lT7_lT5_lS6_lS7_lS5_lT8_i.num_agpr, 0
	.set _ZL26rocblas_hemvn_kernel_upperILb0ELi64ELi4ELi33ELi32ELi16Ei19rocblas_complex_numIdEPKS1_PS1_EviT6_lT7_lT5_lS6_lS7_lS5_lT8_i.numbered_sgpr, 35
	.set _ZL26rocblas_hemvn_kernel_upperILb0ELi64ELi4ELi33ELi32ELi16Ei19rocblas_complex_numIdEPKS1_PS1_EviT6_lT7_lT5_lS6_lS7_lS5_lT8_i.num_named_barrier, 0
	.set _ZL26rocblas_hemvn_kernel_upperILb0ELi64ELi4ELi33ELi32ELi16Ei19rocblas_complex_numIdEPKS1_PS1_EviT6_lT7_lT5_lS6_lS7_lS5_lT8_i.private_seg_size, 0
	.set _ZL26rocblas_hemvn_kernel_upperILb0ELi64ELi4ELi33ELi32ELi16Ei19rocblas_complex_numIdEPKS1_PS1_EviT6_lT7_lT5_lS6_lS7_lS5_lT8_i.uses_vcc, 1
	.set _ZL26rocblas_hemvn_kernel_upperILb0ELi64ELi4ELi33ELi32ELi16Ei19rocblas_complex_numIdEPKS1_PS1_EviT6_lT7_lT5_lS6_lS7_lS5_lT8_i.uses_flat_scratch, 0
	.set _ZL26rocblas_hemvn_kernel_upperILb0ELi64ELi4ELi33ELi32ELi16Ei19rocblas_complex_numIdEPKS1_PS1_EviT6_lT7_lT5_lS6_lS7_lS5_lT8_i.has_dyn_sized_stack, 0
	.set _ZL26rocblas_hemvn_kernel_upperILb0ELi64ELi4ELi33ELi32ELi16Ei19rocblas_complex_numIdEPKS1_PS1_EviT6_lT7_lT5_lS6_lS7_lS5_lT8_i.has_recursion, 0
	.set _ZL26rocblas_hemvn_kernel_upperILb0ELi64ELi4ELi33ELi32ELi16Ei19rocblas_complex_numIdEPKS1_PS1_EviT6_lT7_lT5_lS6_lS7_lS5_lT8_i.has_indirect_call, 0
	.section	.AMDGPU.csdata,"",@progbits
; Kernel info:
; codeLenInByte = 11956
; TotalNumSgprs: 37
; NumVgprs: 239
; ScratchSize: 0
; MemoryBound: 1
; FloatMode: 240
; IeeeMode: 1
; LDSByteSize: 19200 bytes/workgroup (compile time only)
; SGPRBlocks: 0
; VGPRBlocks: 29
; NumSGPRsForWavesPerEU: 37
; NumVGPRsForWavesPerEU: 239
; Occupancy: 4
; WaveLimiterHint : 1
; COMPUTE_PGM_RSRC2:SCRATCH_EN: 0
; COMPUTE_PGM_RSRC2:USER_SGPR: 6
; COMPUTE_PGM_RSRC2:TRAP_HANDLER: 0
; COMPUTE_PGM_RSRC2:TGID_X_EN: 1
; COMPUTE_PGM_RSRC2:TGID_Y_EN: 0
; COMPUTE_PGM_RSRC2:TGID_Z_EN: 1
; COMPUTE_PGM_RSRC2:TIDIG_COMP_CNT: 1
	.section	.text._ZL26rocblas_hemvn_kernel_lowerILb0ELi64ELi4ELi33ELi32ELi16ElPK19rocblas_complex_numIdES3_PS1_EviT6_lT7_lT5_lS6_lS7_lS5_lT8_i,"axG",@progbits,_ZL26rocblas_hemvn_kernel_lowerILb0ELi64ELi4ELi33ELi32ELi16ElPK19rocblas_complex_numIdES3_PS1_EviT6_lT7_lT5_lS6_lS7_lS5_lT8_i,comdat
	.globl	_ZL26rocblas_hemvn_kernel_lowerILb0ELi64ELi4ELi33ELi32ELi16ElPK19rocblas_complex_numIdES3_PS1_EviT6_lT7_lT5_lS6_lS7_lS5_lT8_i ; -- Begin function _ZL26rocblas_hemvn_kernel_lowerILb0ELi64ELi4ELi33ELi32ELi16ElPK19rocblas_complex_numIdES3_PS1_EviT6_lT7_lT5_lS6_lS7_lS5_lT8_i
	.p2align	8
	.type	_ZL26rocblas_hemvn_kernel_lowerILb0ELi64ELi4ELi33ELi32ELi16ElPK19rocblas_complex_numIdES3_PS1_EviT6_lT7_lT5_lS6_lS7_lS5_lT8_i,@function
_ZL26rocblas_hemvn_kernel_lowerILb0ELi64ELi4ELi33ELi32ELi16ElPK19rocblas_complex_numIdES3_PS1_EviT6_lT7_lT5_lS6_lS7_lS5_lT8_i: ; @_ZL26rocblas_hemvn_kernel_lowerILb0ELi64ELi4ELi33ELi32ELi16ElPK19rocblas_complex_numIdES3_PS1_EviT6_lT7_lT5_lS6_lS7_lS5_lT8_i
; %bb.0:
	s_load_dwordx2 s[2:3], s[4:5], 0x84
	s_add_u32 s0, s4, 0x78
	s_addc_u32 s1, s5, 0
	s_waitcnt lgkmcnt(0)
	s_lshr_b32 s8, s2, 16
	s_and_b32 s2, s2, 0xffff
	s_and_b32 s3, s3, 0xffff
	s_mul_i32 s2, s8, s2
	s_mul_i32 s2, s2, s3
	s_cmpk_lg_i32 s2, 0x100
	s_cbranch_scc1 .LBB126_105
; %bb.1:
	s_load_dwordx16 s[8:23], s[4:5], 0x8
	s_waitcnt lgkmcnt(0)
	s_mul_i32 s3, s11, s7
	s_mul_hi_u32 s11, s10, s7
	s_mul_i32 s2, s10, s7
	s_add_i32 s3, s11, s3
	s_lshl_b64 s[2:3], s[2:3], 4
	s_add_u32 s2, s8, s2
	s_addc_u32 s3, s9, s3
	s_load_dwordx4 s[8:11], s[2:3], 0x0
	s_waitcnt lgkmcnt(0)
	v_cmp_neq_f64_e64 s2, s[8:9], 0
	v_cmp_neq_f64_e64 s3, s[10:11], 0
	s_clause 0x1
	s_load_dwordx2 s[10:11], s[4:5], 0x68
	s_load_dwordx8 s[24:31], s[4:5], 0x48
	s_or_b32 s2, s2, s3
	s_mov_b32 s3, -1
	s_and_b32 vcc_lo, exec_lo, s2
	s_cbranch_vccnz .LBB126_3
; %bb.2:
	s_waitcnt lgkmcnt(0)
	s_mul_i32 s3, s31, s7
	s_mul_hi_u32 s9, s30, s7
	s_mul_i32 s8, s30, s7
	s_add_i32 s9, s9, s3
	s_lshl_b64 s[8:9], s[8:9], 4
	s_add_u32 s8, s28, s8
	s_addc_u32 s9, s29, s9
	s_load_dwordx4 s[28:31], s[8:9], 0x0
	s_waitcnt lgkmcnt(0)
	v_cmp_neq_f64_e64 s3, s[28:29], 1.0
	v_cmp_neq_f64_e64 s8, s[30:31], 0
	s_or_b32 s3, s3, s8
.LBB126_3:
	s_andn2_b32 vcc_lo, exec_lo, s3
	s_cbranch_vccnz .LBB126_105
; %bb.4:
	s_andn2_b32 vcc_lo, exec_lo, s2
	s_cbranch_vccnz .LBB126_105
; %bb.5:
	s_waitcnt lgkmcnt(0)
	s_mul_i32 s3, s27, s7
	s_mul_hi_u32 s8, s26, s7
	s_mul_i32 s2, s26, s7
	s_add_i32 s3, s8, s3
	s_load_dword s26, s[4:5], 0x0
	s_lshl_b64 s[2:3], s[2:3], 4
	s_load_dword s27, s[0:1], 0x0
	s_add_u32 s8, s20, s2
	s_addc_u32 s9, s21, s3
	s_lshl_b64 s[2:3], s[22:23], 4
	s_add_u32 s2, s8, s2
	s_addc_u32 s3, s9, s3
	s_lshl_b32 s20, s6, 6
	v_add_nc_u32_e32 v134, s20, v0
	v_ashrrev_i32_e32 v135, 31, v134
	v_mul_lo_u32 v4, s25, v134
	v_mad_u64_u32 v[2:3], null, s24, v134, 0
	s_waitcnt lgkmcnt(0)
	s_ashr_i32 s28, s26, 31
	v_mul_lo_u32 v5, s24, v135
	s_lshr_b32 s0, s28, 26
	s_add_i32 s4, s27, -1
	s_add_i32 s1, s26, s0
	v_cmp_ne_u32_e64 s0, 0, v1
	s_andn2_b32 s1, s1, 63
	s_sub_i32 s5, s26, s1
	v_add3_u32 v3, v3, v5, v4
	v_cmp_eq_u32_e64 s1, 0, v1
	s_cmp_eq_u32 s6, s4
	s_cselect_b32 s22, s5, 0
	v_lshlrev_b64 v[2:3], 4, v[2:3]
	v_add_co_u32 v38, vcc_lo, s2, v2
	v_add_co_ci_u32_e64 v39, null, s3, v3, vcc_lo
	s_mov_b32 s2, -1
	s_and_saveexec_b32 s3, s1
	s_cbranch_execz .LBB126_10
; %bb.6:
	v_cmp_le_i32_e32 vcc_lo, s22, v0
	s_cmp_lg_u32 s22, 0
	v_lshl_add_u32 v2, v0, 4, 0x4700
	s_cselect_b32 s4, -1, 0
	s_and_b32 s4, s4, vcc_lo
	s_and_saveexec_b32 s5, s4
	s_xor_b32 s4, exec_lo, s5
	s_cbranch_execz .LBB126_8
; %bb.7:
	v_mov_b32_e32 v3, 0
	v_mov_b32_e32 v4, v3
	;; [unrolled: 1-line block ×4, first 2 shown]
	ds_write_b128 v2, v[3:6]
                                        ; implicit-def: $vgpr2
.LBB126_8:
	s_andn2_saveexec_b32 s4, s4
	s_cbranch_execz .LBB126_10
; %bb.9:
	global_load_dwordx4 v[3:6], v[38:39], off
	s_waitcnt vmcnt(0)
	ds_write2_b64 v2, v[3:4], v[5:6] offset1:1
.LBB126_10:
	s_or_b32 exec_lo, exec_lo, s3
	v_lshl_add_u32 v44, v1, 6, v0
	v_and_b32_e32 v6, 31, v0
	v_mov_b32_e32 v7, 0
	s_mul_i32 s3, s19, s7
	s_mul_hi_u32 s5, s18, s7
	v_lshrrev_b32_e32 v11, 5, v44
	s_mul_i32 s4, s18, s7
	s_add_i32 s5, s5, s3
	s_mul_hi_u32 s9, s16, s20
	s_lshl_b64 s[4:5], s[4:5], 4
	v_mad_u64_u32 v[2:3], null, s16, v11, v[6:7]
	s_add_u32 s3, s12, s4
	s_addc_u32 s8, s13, s5
	s_lshl_b64 s[4:5], s[14:15], 4
	s_mul_i32 s12, s17, s20
	s_add_u32 s3, s3, s4
	s_addc_u32 s8, s8, s5
	v_mad_u64_u32 v[3:4], null, s17, v11, v[3:4]
	s_ashr_i32 s21, s20, 31
	s_lshl_b64 s[4:5], s[20:21], 4
	s_mul_i32 s13, s16, s21
	s_add_u32 s3, s3, s4
	s_addc_u32 s8, s8, s5
	v_lshlrev_b64 v[40:41], 4, v[2:3]
	s_add_i32 s5, s9, s13
	s_mul_i32 s4, s16, s20
	s_add_i32 s5, s5, s12
	s_lshl_b64 s[12:13], s[4:5], 4
	v_add_co_u32 v2, vcc_lo, s3, v40
	v_add_co_ci_u32_e64 v3, null, s8, v41, vcc_lo
	s_cmp_lg_u32 s22, 0
	v_add_co_u32 v7, vcc_lo, v2, s12
	v_add_co_ci_u32_e64 v8, null, s13, v3, vcc_lo
	s_cselect_b32 s18, -1, 0
	s_cmp_eq_u32 s22, 0
	s_cselect_b32 s9, -1, 0
	s_and_b32 vcc_lo, exec_lo, s18
	s_cbranch_vccnz .LBB126_12
; %bb.11:
	s_lshl_b64 s[2:3], s[16:17], 7
	v_add_co_u32 v9, vcc_lo, v7, s2
	v_add_co_ci_u32_e64 v10, null, s3, v8, vcc_lo
	v_add_co_u32 v16, vcc_lo, v9, s2
	v_add_co_ci_u32_e64 v17, null, s3, v10, vcc_lo
	;; [unrolled: 2-line block ×3, first 2 shown]
	s_clause 0x3
	global_load_dwordx4 v[2:5], v[7:8], off
	global_load_dwordx4 v[12:15], v[9:10], off
	;; [unrolled: 1-line block ×4, first 2 shown]
	v_mul_u32_u24_e32 v9, 0x210, v11
	s_mov_b32 s2, 0
	v_lshl_add_u32 v9, v6, 4, v9
	v_add_nc_u32_e32 v25, 0x3180, v9
	v_add_nc_u32_e32 v10, 0x1080, v9
	;; [unrolled: 1-line block ×3, first 2 shown]
	s_waitcnt vmcnt(3)
	ds_write2_b64 v9, v[2:3], v[4:5] offset1:1
	s_waitcnt vmcnt(2)
	ds_write2_b64 v10, v[12:13], v[14:15] offset1:1
	;; [unrolled: 2-line block ×4, first 2 shown]
.LBB126_12:
	v_lshlrev_b32_e32 v12, 4, v6
	s_andn2_b32 vcc_lo, exec_lo, s2
	s_cbranch_vccnz .LBB126_30
; %bb.13:
	v_lshlrev_b32_e32 v4, 4, v6
	s_ashr_i32 s23, s22, 31
	v_cmp_le_i32_e64 s2, s22, v11
	s_lshl_b64 s[4:5], s[22:23], 4
	v_mad_u32_u24 v5, 0x210, v11, v12
	v_sub_co_u32 v2, vcc_lo, v7, v4
	v_subrev_co_ci_u32_e64 v3, null, 0, v8, vcc_lo
	v_add_co_u32 v2, vcc_lo, v2, s4
	v_add_co_ci_u32_e64 v3, null, s5, v3, vcc_lo
	v_add_co_u32 v2, vcc_lo, v2, -16
	v_add_co_ci_u32_e64 v3, null, -1, v3, vcc_lo
	v_cmp_gt_i32_e32 vcc_lo, s22, v6
	v_cndmask_b32_e32 v3, v3, v8, vcc_lo
	v_cndmask_b32_e32 v2, v2, v7, vcc_lo
	s_and_saveexec_b32 s3, s2
	s_xor_b32 s2, exec_lo, s3
	s_cbranch_execz .LBB126_15
; %bb.14:
	v_mov_b32_e32 v13, 0
	v_mov_b32_e32 v14, v13
	v_mov_b32_e32 v15, v13
	v_mov_b32_e32 v16, v13
	ds_write_b128 v5, v[13:16]
                                        ; implicit-def: $vgpr5
.LBB126_15:
	s_andn2_saveexec_b32 s2, s2
	s_cbranch_execz .LBB126_17
; %bb.16:
	global_load_dwordx4 v[13:16], v[2:3], off
	s_waitcnt vmcnt(0)
	ds_write2_b64 v5, v[13:14], v[15:16] offset1:1
.LBB126_17:
	s_or_b32 exec_lo, exec_lo, s2
	v_add_nc_u32_e32 v9, 8, v11
	v_mul_u32_u24_e32 v5, 0x210, v11
	v_cmp_le_i32_e64 s2, s22, v9
	s_and_saveexec_b32 s3, s2
	s_xor_b32 s2, exec_lo, s3
	s_cbranch_execz .LBB126_19
; %bb.18:
	v_mov_b32_e32 v13, 0
	v_add_nc_u32_e32 v9, v5, v12
	v_mov_b32_e32 v14, v13
	v_mov_b32_e32 v15, v13
	;; [unrolled: 1-line block ×3, first 2 shown]
	ds_write_b128 v9, v[13:16] offset:4224
.LBB126_19:
	s_andn2_saveexec_b32 s3, s2
	s_cbranch_execz .LBB126_21
; %bb.20:
	s_lshl_b64 s[14:15], s[16:17], 7
	v_add_co_u32 v9, s2, v2, s14
	v_add_co_ci_u32_e64 v10, null, s15, v3, s2
	global_load_dwordx4 v[13:16], v[9:10], off
	v_add3_u32 v9, v5, v12, 0x1080
	s_waitcnt vmcnt(0)
	ds_write2_b64 v9, v[13:14], v[15:16] offset1:1
.LBB126_21:
	s_or_b32 exec_lo, exec_lo, s3
	v_add_nc_u32_e32 v9, 16, v11
	v_cmp_le_i32_e64 s2, s22, v9
	s_and_saveexec_b32 s3, s2
	s_xor_b32 s2, exec_lo, s3
	s_cbranch_execz .LBB126_23
; %bb.22:
	v_mov_b32_e32 v13, 0
	v_add_nc_u32_e32 v9, v5, v12
	v_mov_b32_e32 v14, v13
	v_mov_b32_e32 v15, v13
	v_mov_b32_e32 v16, v13
	ds_write_b128 v9, v[13:16] offset:8448
.LBB126_23:
	s_andn2_saveexec_b32 s3, s2
	s_cbranch_execz .LBB126_25
; %bb.24:
	s_lshl_b64 s[14:15], s[16:17], 8
	v_add_co_u32 v9, s2, v2, s14
	v_add_co_ci_u32_e64 v10, null, s15, v3, s2
	global_load_dwordx4 v[13:16], v[9:10], off
	v_add3_u32 v9, v5, v12, 0x2100
	s_waitcnt vmcnt(0)
	ds_write2_b64 v9, v[13:14], v[15:16] offset1:1
.LBB126_25:
	s_or_b32 exec_lo, exec_lo, s3
	v_add_nc_u32_e32 v9, 24, v11
	v_cmp_le_i32_e64 s2, s22, v9
	s_and_saveexec_b32 s3, s2
	s_xor_b32 s2, exec_lo, s3
	s_cbranch_execz .LBB126_27
; %bb.26:
	v_mov_b32_e32 v13, 0
	v_add_nc_u32_e32 v5, v5, v12
	v_mov_b32_e32 v14, v13
	v_mov_b32_e32 v15, v13
	;; [unrolled: 1-line block ×3, first 2 shown]
	ds_write_b128 v5, v[13:16] offset:12672
                                        ; implicit-def: $vgpr5
.LBB126_27:
	s_andn2_saveexec_b32 s2, s2
	s_cbranch_execz .LBB126_29
; %bb.28:
	v_mad_u64_u32 v[9:10], null, 0x180, s16, v[2:3]
	v_add3_u32 v5, v5, v12, 0x3180
	v_mad_u64_u32 v[13:14], null, 0x180, s17, v[10:11]
	v_mov_b32_e32 v10, v13
	global_load_dwordx4 v[13:16], v[9:10], off
	s_waitcnt vmcnt(0)
	ds_write2_b64 v5, v[13:14], v[15:16] offset1:1
.LBB126_29:
	s_or_b32 exec_lo, exec_lo, s2
	v_add_co_u32 v2, s2, v2, v4
	v_add_co_ci_u32_e64 v3, null, 0, v3, s2
	v_sub_co_u32 v2, s2, v2, s4
	v_subrev_co_ci_u32_e64 v3, null, s5, v3, s2
	v_add_co_u32 v2, s2, v2, 16
	v_add_co_ci_u32_e64 v3, null, 0, v3, s2
	v_cndmask_b32_e32 v7, v2, v7, vcc_lo
	v_cndmask_b32_e32 v8, v3, v8, vcc_lo
.LBB126_30:
	v_lshlrev_b32_e32 v13, 2, v11
	v_lshl_or_b32 v3, v6, 9, v12
	v_mad_u32_u24 v15, 0x840, v11, v12
	s_waitcnt lgkmcnt(0)
	s_barrier
	v_cmp_lt_u32_e64 s3, v13, v6
	buffer_gl0_inv
	s_and_saveexec_b32 s2, s3
	s_cbranch_execz .LBB126_32
; %bb.31:
	ds_read_b128 v[16:19], v15
	v_lshl_add_u32 v2, v13, 4, v3
	s_waitcnt lgkmcnt(0)
	ds_write_b128 v2, v[16:19]
.LBB126_32:
	s_or_b32 exec_lo, exec_lo, s2
	v_or_b32_e32 v2, 1, v13
	v_cmp_lt_u32_e64 s4, v2, v6
	v_mad_u32_u24 v16, 0x210, v2, v12
	s_and_saveexec_b32 s2, s4
	s_cbranch_execz .LBB126_34
; %bb.33:
	ds_read_b128 v[17:20], v16
	v_lshl_add_u32 v2, v13, 4, v3
	s_waitcnt lgkmcnt(0)
	ds_write_b128 v2, v[17:20] offset:16
.LBB126_34:
	s_or_b32 exec_lo, exec_lo, s2
	v_or_b32_e32 v2, 2, v13
	v_cmp_lt_u32_e64 s5, v2, v6
	s_and_saveexec_b32 s2, s5
	s_cbranch_execz .LBB126_36
; %bb.35:
	v_mad_u32_u24 v2, 0x210, v2, v12
	ds_read_b128 v[17:20], v2
	v_lshl_add_u32 v2, v13, 4, v3
	s_waitcnt lgkmcnt(0)
	ds_write_b128 v2, v[17:20] offset:32
.LBB126_36:
	s_or_b32 exec_lo, exec_lo, s2
	v_or_b32_e32 v4, 3, v13
	s_mov_b32 s2, exec_lo
                                        ; implicit-def: $vgpr2
	v_cmp_lt_u32_e64 s8, v4, v6
	v_cmpx_ge_u32_e64 v4, v6
	s_xor_b32 s2, exec_lo, s2
; %bb.37:
	v_mul_u32_u24_e32 v2, 0x210, v4
                                        ; implicit-def: $vgpr3
                                        ; implicit-def: $vgpr4
; %bb.38:
	s_andn2_saveexec_b32 s2, s2
	s_cbranch_execz .LBB126_40
; %bb.39:
	v_mad_u32_u24 v2, 0x210, v4, v12
	v_lshl_add_u32 v3, v13, 4, v3
	ds_read_b128 v[17:20], v2
	v_mul_u32_u24_e32 v2, 0x210, v4
	s_waitcnt lgkmcnt(0)
	ds_write_b128 v3, v[17:20] offset:48
.LBB126_40:
	s_or_b32 exec_lo, exec_lo, s2
	v_lshlrev_b32_e32 v19, 4, v13
	s_waitcnt lgkmcnt(0)
	s_barrier
	buffer_gl0_inv
	ds_read_b128 v[20:23], v15
	ds_read_b128 v[24:27], v19 offset:18176
	v_add_nc_u32_e32 v17, v12, v2
	ds_read_b128 v[2:5], v16 offset:528
	ds_read_b128 v[28:31], v19 offset:18192
	ds_read_b128 v[32:35], v16
	ds_read_b128 v[45:48], v17
	ds_read_b128 v[49:52], v19 offset:18208
	v_cmp_gt_u32_e64 s2, 32, v44
	s_waitcnt lgkmcnt(5)
	v_mul_f64 v[9:10], v[26:27], v[22:23]
	v_mul_f64 v[22:23], v[24:25], v[22:23]
	s_waitcnt lgkmcnt(2)
	v_mul_f64 v[36:37], v[30:31], v[34:35]
	v_mul_f64 v[34:35], v[28:29], v[34:35]
	v_fma_f64 v[9:10], v[24:25], v[20:21], -v[9:10]
	v_fma_f64 v[24:25], v[26:27], v[20:21], v[22:23]
	ds_read_b128 v[20:23], v19 offset:18224
	s_waitcnt lgkmcnt(1)
	v_mul_f64 v[26:27], v[51:52], v[4:5]
	v_mul_f64 v[4:5], v[49:50], v[4:5]
	v_fma_f64 v[28:29], v[28:29], v[32:33], -v[36:37]
	v_fma_f64 v[30:31], v[30:31], v[32:33], v[34:35]
	s_waitcnt lgkmcnt(0)
	s_barrier
	buffer_gl0_inv
	v_mul_f64 v[32:33], v[22:23], v[47:48]
	v_add_f64 v[9:10], v[9:10], 0
	v_add_f64 v[24:25], v[24:25], 0
	v_mul_f64 v[34:35], v[20:21], v[47:48]
	v_fma_f64 v[26:27], v[49:50], v[2:3], -v[26:27]
	v_fma_f64 v[2:3], v[51:52], v[2:3], v[4:5]
	v_fma_f64 v[20:21], v[20:21], v[45:46], -v[32:33]
	v_add_f64 v[4:5], v[9:10], v[28:29]
	v_add_f64 v[9:10], v[24:25], v[30:31]
	v_fma_f64 v[22:23], v[22:23], v[45:46], v[34:35]
	v_add_f64 v[4:5], v[4:5], v[26:27]
	v_add_f64 v[2:3], v[9:10], v[2:3]
	;; [unrolled: 1-line block ×4, first 2 shown]
	v_mul_u32_u24_e32 v2, 33, v6
	v_mov_b32_e32 v4, 0
	v_mov_b32_e32 v5, 0
	v_lshlrev_b32_e32 v45, 4, v2
	v_mov_b32_e32 v2, 0
	v_mov_b32_e32 v3, 0
	v_lshl_add_u32 v46, v11, 4, v45
	ds_write_b128 v46, v[20:23]
	s_waitcnt lgkmcnt(0)
	s_barrier
	buffer_gl0_inv
	s_and_saveexec_b32 s14, s2
	s_cbranch_execz .LBB126_42
; %bb.41:
	ds_read_b128 v[2:5], v45
	ds_read_b128 v[20:23], v45 offset:16
	s_waitcnt lgkmcnt(0)
	v_add_f64 v[9:10], v[20:21], v[2:3]
	v_add_f64 v[24:25], v[22:23], v[4:5]
	ds_read_b128 v[2:5], v45 offset:32
	ds_read_b128 v[20:23], v45 offset:48
	s_waitcnt lgkmcnt(1)
	v_add_f64 v[2:3], v[9:10], v[2:3]
	v_add_f64 v[4:5], v[24:25], v[4:5]
	s_waitcnt lgkmcnt(0)
	v_add_f64 v[9:10], v[2:3], v[20:21]
	v_add_f64 v[24:25], v[4:5], v[22:23]
	ds_read_b128 v[2:5], v45 offset:64
	ds_read_b128 v[20:23], v45 offset:80
	s_waitcnt lgkmcnt(1)
	v_add_f64 v[2:3], v[9:10], v[2:3]
	v_add_f64 v[4:5], v[24:25], v[4:5]
	;; [unrolled: 8-line block ×3, first 2 shown]
	s_waitcnt lgkmcnt(0)
	v_add_f64 v[2:3], v[2:3], v[20:21]
	v_add_f64 v[4:5], v[4:5], v[22:23]
.LBB126_42:
	s_or_b32 exec_lo, exec_lo, s14
	s_lshl_b64 s[14:15], s[16:17], 9
	v_cndmask_b32_e64 v18, 0, 1, s9
	v_add_co_u32 v9, vcc_lo, v7, s14
	v_add_co_ci_u32_e64 v10, null, s15, v8, vcc_lo
	v_mad_u32_u24 v14, 0x210, v11, v12
	v_add_co_u32 v7, vcc_lo, 0x200, v9
	v_add_co_ci_u32_e64 v8, null, 0, v10, vcc_lo
	s_andn2_b32 vcc_lo, exec_lo, s9
	s_mov_b32 s9, -1
	s_barrier
	buffer_gl0_inv
	s_cbranch_vccnz .LBB126_44
; %bb.43:
	s_lshl_b64 s[14:15], s[16:17], 7
	v_add_nc_u32_e32 v42, 0x3180, v14
	v_add_co_u32 v24, vcc_lo, v9, s14
	v_add_co_ci_u32_e64 v25, null, s15, v10, vcc_lo
	v_add_nc_u32_e32 v36, 0x1080, v14
	v_add_co_u32 v28, vcc_lo, v24, s14
	v_add_co_ci_u32_e64 v29, null, s15, v25, vcc_lo
	;; [unrolled: 3-line block ×3, first 2 shown]
	s_clause 0x3
	global_load_dwordx4 v[20:23], v[7:8], off
	global_load_dwordx4 v[24:27], v[24:25], off offset:512
	global_load_dwordx4 v[28:31], v[28:29], off offset:512
	;; [unrolled: 1-line block ×3, first 2 shown]
	s_mov_b32 s9, 0
	s_waitcnt vmcnt(3)
	ds_write2_b64 v14, v[20:21], v[22:23] offset1:1
	s_waitcnt vmcnt(2)
	ds_write2_b64 v36, v[24:25], v[26:27] offset1:1
	s_waitcnt vmcnt(1)
	ds_write2_b64 v37, v[28:29], v[30:31] offset1:1
	s_waitcnt vmcnt(0)
	ds_write2_b64 v42, v[32:33], v[34:35] offset1:1
.LBB126_44:
	s_andn2_b32 vcc_lo, exec_lo, s9
	s_cbranch_vccnz .LBB126_62
; %bb.45:
	v_lshlrev_b32_e32 v20, 4, v6
	s_ashr_i32 s23, s22, 31
	v_or_b32_e32 v21, 32, v6
	s_lshl_b64 s[14:15], s[22:23], 4
	s_sub_i32 s19, s22, 32
	v_sub_co_u32 v9, vcc_lo, v9, v20
	v_subrev_co_ci_u32_e64 v10, null, 0, v10, vcc_lo
	v_cmp_le_i32_e64 s9, s19, v11
	v_add_co_u32 v9, vcc_lo, v9, s14
	v_add_co_ci_u32_e64 v10, null, s15, v10, vcc_lo
	v_add_co_u32 v9, vcc_lo, v9, -16
	v_add_co_ci_u32_e64 v10, null, -1, v10, vcc_lo
	v_cmp_gt_i32_e32 vcc_lo, s22, v21
	v_cndmask_b32_e32 v10, v10, v8, vcc_lo
	v_cndmask_b32_e32 v9, v9, v7, vcc_lo
	s_and_saveexec_b32 s23, s9
	s_xor_b32 s9, exec_lo, s23
	s_cbranch_execz .LBB126_47
; %bb.46:
	v_mov_b32_e32 v21, 0
	v_mov_b32_e32 v22, v21
	;; [unrolled: 1-line block ×4, first 2 shown]
	ds_write_b128 v14, v[21:24]
.LBB126_47:
	s_andn2_saveexec_b32 s9, s9
	s_cbranch_execz .LBB126_49
; %bb.48:
	global_load_dwordx4 v[21:24], v[9:10], off
	s_waitcnt vmcnt(0)
	ds_write2_b64 v14, v[21:22], v[23:24] offset1:1
.LBB126_49:
	s_or_b32 exec_lo, exec_lo, s9
	v_add_nc_u32_e32 v22, 8, v11
	v_mul_u32_u24_e32 v21, 0x210, v11
	v_cmp_le_i32_e64 s9, s19, v22
	s_and_saveexec_b32 s23, s9
	s_xor_b32 s9, exec_lo, s23
	s_cbranch_execz .LBB126_51
; %bb.50:
	v_mov_b32_e32 v22, 0
	v_add_nc_u32_e32 v26, v21, v12
	v_mov_b32_e32 v23, v22
	v_mov_b32_e32 v24, v22
	;; [unrolled: 1-line block ×3, first 2 shown]
	ds_write_b128 v26, v[22:25] offset:4224
.LBB126_51:
	s_andn2_saveexec_b32 s23, s9
	s_cbranch_execz .LBB126_53
; %bb.52:
	s_lshl_b64 s[30:31], s[16:17], 7
	v_add3_u32 v26, v21, v12, 0x1080
	v_add_co_u32 v22, s9, v9, s30
	v_add_co_ci_u32_e64 v23, null, s31, v10, s9
	global_load_dwordx4 v[22:25], v[22:23], off
	s_waitcnt vmcnt(0)
	ds_write2_b64 v26, v[22:23], v[24:25] offset1:1
.LBB126_53:
	s_or_b32 exec_lo, exec_lo, s23
	v_add_nc_u32_e32 v22, 16, v11
	v_cmp_le_i32_e64 s9, s19, v22
	s_and_saveexec_b32 s23, s9
	s_xor_b32 s9, exec_lo, s23
	s_cbranch_execz .LBB126_55
; %bb.54:
	v_mov_b32_e32 v22, 0
	v_add_nc_u32_e32 v26, v21, v12
	v_mov_b32_e32 v23, v22
	v_mov_b32_e32 v24, v22
	;; [unrolled: 1-line block ×3, first 2 shown]
	ds_write_b128 v26, v[22:25] offset:8448
.LBB126_55:
	s_andn2_saveexec_b32 s23, s9
	s_cbranch_execz .LBB126_57
; %bb.56:
	s_lshl_b64 s[30:31], s[16:17], 8
	v_add3_u32 v26, v21, v12, 0x2100
	v_add_co_u32 v22, s9, v9, s30
	v_add_co_ci_u32_e64 v23, null, s31, v10, s9
	global_load_dwordx4 v[22:25], v[22:23], off
	s_waitcnt vmcnt(0)
	ds_write2_b64 v26, v[22:23], v[24:25] offset1:1
.LBB126_57:
	s_or_b32 exec_lo, exec_lo, s23
	v_add_nc_u32_e32 v22, 24, v11
	v_cmp_le_i32_e64 s9, s19, v22
	s_and_saveexec_b32 s19, s9
	s_xor_b32 s9, exec_lo, s19
	s_cbranch_execz .LBB126_59
; %bb.58:
	v_mov_b32_e32 v22, 0
	v_add_nc_u32_e32 v21, v21, v12
	v_mov_b32_e32 v23, v22
	v_mov_b32_e32 v24, v22
	;; [unrolled: 1-line block ×3, first 2 shown]
	ds_write_b128 v21, v[22:25] offset:12672
                                        ; implicit-def: $vgpr21
.LBB126_59:
	s_andn2_saveexec_b32 s9, s9
	s_cbranch_execz .LBB126_61
; %bb.60:
	v_mad_u64_u32 v[22:23], null, 0x180, s16, v[9:10]
	v_add3_u32 v21, v21, v12, 0x3180
	v_mad_u64_u32 v[23:24], null, 0x180, s17, v[23:24]
	global_load_dwordx4 v[22:25], v[22:23], off
	s_waitcnt vmcnt(0)
	ds_write2_b64 v21, v[22:23], v[24:25] offset1:1
.LBB126_61:
	s_or_b32 exec_lo, exec_lo, s9
	v_add_co_u32 v9, s9, v9, v20
	v_add_co_ci_u32_e64 v10, null, 0, v10, s9
	v_sub_co_u32 v9, s9, v9, s14
	v_subrev_co_ci_u32_e64 v10, null, s15, v10, s9
	v_add_co_u32 v9, s9, 0x210, v9
	v_add_co_ci_u32_e64 v10, null, 0, v10, s9
	v_cndmask_b32_e32 v7, v9, v7, vcc_lo
	v_cndmask_b32_e32 v8, v10, v8, vcc_lo
.LBB126_62:
	v_add_nc_u32_e32 v9, 0x4700, v19
	v_add_nc_u32_e32 v10, 0x210, v16
	s_lshl_b64 s[14:15], s[16:17], 5
	s_waitcnt lgkmcnt(0)
	s_barrier
	buffer_gl0_inv
	s_and_saveexec_b32 s9, s3
	s_cbranch_execnz .LBB126_71
; %bb.63:
	s_or_b32 exec_lo, exec_lo, s9
	s_and_saveexec_b32 s3, s4
	s_cbranch_execnz .LBB126_72
.LBB126_64:
	s_or_b32 exec_lo, exec_lo, s3
	s_and_saveexec_b32 s3, s5
	s_cbranch_execnz .LBB126_73
.LBB126_65:
	s_or_b32 exec_lo, exec_lo, s3
	s_and_saveexec_b32 s3, s8
	s_cbranch_execz .LBB126_67
.LBB126_66:
	ds_read_b128 v[19:22], v17
	v_lshl_add_u32 v23, v13, 4, v45
	s_waitcnt lgkmcnt(0)
	ds_write_b128 v23, v[19:22] offset:48
.LBB126_67:
	s_or_b32 exec_lo, exec_lo, s3
	s_waitcnt lgkmcnt(0)
	s_barrier
	buffer_gl0_inv
	ds_read_b128 v[19:22], v15
	ds_read_b128 v[23:26], v9 offset:512
	ds_read_b128 v[27:30], v9 offset:528
	ds_read_b128 v[31:34], v16
	ds_read_b128 v[47:50], v9 offset:544
	ds_read_b128 v[51:54], v10
	v_cmp_eq_u32_e64 s3, 1, v11
	s_waitcnt lgkmcnt(4)
	v_mul_f64 v[15:16], v[25:26], v[21:22]
	v_mul_f64 v[21:22], v[23:24], v[21:22]
	s_waitcnt lgkmcnt(2)
	v_mul_f64 v[35:36], v[29:30], v[33:34]
	v_mul_f64 v[33:34], v[27:28], v[33:34]
	;; [unrolled: 3-line block ×3, first 2 shown]
	v_fma_f64 v[15:16], v[23:24], v[19:20], -v[15:16]
	v_fma_f64 v[42:43], v[25:26], v[19:20], v[21:22]
	v_fma_f64 v[27:28], v[27:28], v[31:32], -v[35:36]
	v_fma_f64 v[29:30], v[29:30], v[31:32], v[33:34]
	ds_read_b128 v[19:22], v9 offset:560
	ds_read_b128 v[23:26], v17
	v_fma_f64 v[35:36], v[47:48], v[51:52], -v[55:56]
	s_waitcnt lgkmcnt(0)
	s_barrier
	buffer_gl0_inv
	v_add_f64 v[15:16], v[15:16], 0
	v_add_f64 v[31:32], v[42:43], 0
	v_mul_f64 v[33:34], v[21:22], v[25:26]
	v_mul_f64 v[25:26], v[19:20], v[25:26]
	v_fma_f64 v[42:43], v[49:50], v[51:52], v[53:54]
	v_add_f64 v[15:16], v[15:16], v[27:28]
	v_add_f64 v[27:28], v[31:32], v[29:30]
	v_fma_f64 v[19:20], v[19:20], v[23:24], -v[33:34]
	v_fma_f64 v[21:22], v[21:22], v[23:24], v[25:26]
	v_add_f64 v[15:16], v[15:16], v[35:36]
	v_add_f64 v[23:24], v[27:28], v[42:43]
	v_add_f64 v[19:20], v[15:16], v[19:20]
	v_add_f64 v[21:22], v[23:24], v[21:22]
	ds_write_b128 v46, v[19:22]
	s_waitcnt lgkmcnt(0)
	s_barrier
	buffer_gl0_inv
	s_and_saveexec_b32 s4, s3
	s_cbranch_execz .LBB126_69
; %bb.68:
	ds_read_b128 v[2:5], v45
	ds_read_b128 v[19:22], v45 offset:16
	s_waitcnt lgkmcnt(0)
	v_add_f64 v[15:16], v[19:20], v[2:3]
	v_add_f64 v[23:24], v[21:22], v[4:5]
	ds_read_b128 v[2:5], v45 offset:32
	ds_read_b128 v[19:22], v45 offset:48
	s_waitcnt lgkmcnt(1)
	v_add_f64 v[2:3], v[15:16], v[2:3]
	v_add_f64 v[4:5], v[23:24], v[4:5]
	s_waitcnt lgkmcnt(0)
	v_add_f64 v[15:16], v[2:3], v[19:20]
	v_add_f64 v[23:24], v[4:5], v[21:22]
	ds_read_b128 v[2:5], v45 offset:64
	ds_read_b128 v[19:22], v45 offset:80
	s_waitcnt lgkmcnt(1)
	v_add_f64 v[2:3], v[15:16], v[2:3]
	v_add_f64 v[4:5], v[23:24], v[4:5]
	;; [unrolled: 8-line block ×3, first 2 shown]
	s_waitcnt lgkmcnt(0)
	v_add_f64 v[2:3], v[2:3], v[19:20]
	v_add_f64 v[4:5], v[4:5], v[21:22]
.LBB126_69:
	s_or_b32 exec_lo, exec_lo, s4
	s_lshl_b64 s[4:5], s[14:15], 4
	v_cmp_ne_u32_e32 vcc_lo, 1, v18
	v_sub_co_u32 v42, s4, v7, s4
	v_subrev_co_ci_u32_e64 v43, null, s5, v8, s4
	s_barrier
	buffer_gl0_inv
	s_cbranch_vccnz .LBB126_74
; %bb.70:
	s_lshl_b64 s[4:5], s[16:17], 7
	global_load_dwordx4 v[15:18], v[42:43], off
	v_add_co_u32 v7, vcc_lo, v42, s4
	v_add_co_ci_u32_e64 v8, null, s5, v43, vcc_lo
	v_add_nc_u32_e32 v10, 8, v11
	v_add_co_u32 v23, vcc_lo, v7, s4
	v_add_co_ci_u32_e64 v24, null, s5, v8, vcc_lo
	v_add_co_u32 v27, vcc_lo, v23, s4
	v_add_co_ci_u32_e64 v28, null, s5, v24, vcc_lo
	s_movk_i32 s4, 0x1080
	s_clause 0x2
	global_load_dwordx4 v[19:22], v[7:8], off
	global_load_dwordx4 v[23:26], v[23:24], off
	;; [unrolled: 1-line block ×3, first 2 shown]
	v_mad_u32_u24 v7, 0x210, v10, s4
	s_movk_i32 s4, 0x2100
	v_add_nc_u32_e32 v8, 16, v11
	v_add_nc_u32_e32 v31, v12, v7
	s_waitcnt vmcnt(3)
	ds_write2_b64 v14, v[15:16], v[17:18] offset1:1
	v_mad_u32_u24 v16, 0x210, v10, s4
	v_mul_u32_u24_e32 v17, 0x210, v10
	v_mad_u32_u24 v18, 0x210, v10, v12
	v_add_nc_u32_e32 v15, 24, v11
	v_add_nc_u32_e32 v32, v12, v16
	s_waitcnt vmcnt(2)
	ds_write2_b64 v18, v[19:20], v[21:22] offset1:1
	s_waitcnt vmcnt(1)
	ds_write2_b64 v31, v[23:24], v[25:26] offset1:1
	;; [unrolled: 2-line block ×3, first 2 shown]
	s_cbranch_execz .LBB126_75
	s_branch .LBB126_92
.LBB126_71:
	ds_read_b128 v[19:22], v15
	v_lshl_add_u32 v23, v13, 4, v45
	s_waitcnt lgkmcnt(0)
	ds_write_b128 v23, v[19:22]
	s_or_b32 exec_lo, exec_lo, s9
	s_and_saveexec_b32 s3, s4
	s_cbranch_execz .LBB126_64
.LBB126_72:
	ds_read_b128 v[19:22], v16
	v_lshl_add_u32 v23, v13, 4, v45
	s_waitcnt lgkmcnt(0)
	ds_write_b128 v23, v[19:22] offset:16
	s_or_b32 exec_lo, exec_lo, s3
	s_and_saveexec_b32 s3, s5
	s_cbranch_execz .LBB126_65
.LBB126_73:
	ds_read_b128 v[19:22], v10
	v_lshl_add_u32 v23, v13, 4, v45
	s_waitcnt lgkmcnt(0)
	ds_write_b128 v23, v[19:22] offset:32
	s_or_b32 exec_lo, exec_lo, s3
	s_and_saveexec_b32 s3, s8
	s_cbranch_execnz .LBB126_66
	s_branch .LBB126_67
.LBB126_74:
                                        ; implicit-def: $vgpr10
                                        ; implicit-def: $vgpr17
                                        ; implicit-def: $vgpr8
                                        ; implicit-def: $vgpr7
                                        ; implicit-def: $vgpr15
                                        ; implicit-def: $vgpr16
.LBB126_75:
	v_lshlrev_b32_e32 v17, 4, v6
	s_ashr_i32 s23, s22, 31
	v_or_b32_e32 v6, 32, v6
	s_lshl_b64 s[8:9], s[22:23], 4
	v_cmp_le_i32_e64 s4, s22, v11
	v_sub_co_u32 v7, vcc_lo, v42, v17
	v_subrev_co_ci_u32_e64 v8, null, 0, v43, vcc_lo
	v_add_co_u32 v7, vcc_lo, v7, s8
	v_add_co_ci_u32_e64 v8, null, s9, v8, vcc_lo
	v_add_co_u32 v10, vcc_lo, 0xfffffdf0, v7
	v_add_co_ci_u32_e64 v7, null, -1, v8, vcc_lo
	v_cmp_gt_i32_e32 vcc_lo, s22, v6
	v_cndmask_b32_e32 v7, v7, v43, vcc_lo
	v_cndmask_b32_e32 v6, v10, v42, vcc_lo
	s_and_saveexec_b32 s5, s4
	s_xor_b32 s4, exec_lo, s5
	s_cbranch_execz .LBB126_77
; %bb.76:
	v_mov_b32_e32 v18, 0
	v_mov_b32_e32 v19, v18
	;; [unrolled: 1-line block ×4, first 2 shown]
	ds_write_b128 v14, v[18:21]
.LBB126_77:
	s_andn2_saveexec_b32 s4, s4
	s_cbranch_execz .LBB126_79
; %bb.78:
	global_load_dwordx4 v[18:21], v[6:7], off
	s_waitcnt vmcnt(0)
	ds_write2_b64 v14, v[18:19], v[20:21] offset1:1
.LBB126_79:
	s_or_b32 exec_lo, exec_lo, s4
	v_add_nc_u32_e32 v10, 8, v11
	v_cmp_le_i32_e64 s4, s22, v10
	s_and_saveexec_b32 s5, s4
	s_xor_b32 s4, exec_lo, s5
	s_cbranch_execz .LBB126_81
; %bb.80:
	v_mov_b32_e32 v18, 0
	v_mad_u32_u24 v8, 0x210, v10, v12
	v_mov_b32_e32 v19, v18
	v_mov_b32_e32 v20, v18
	;; [unrolled: 1-line block ×3, first 2 shown]
	ds_write_b128 v8, v[18:21]
.LBB126_81:
	s_andn2_saveexec_b32 s5, s4
	s_cbranch_execz .LBB126_83
; %bb.82:
	s_lshl_b64 s[14:15], s[16:17], 7
	v_mad_u32_u24 v8, 0x210, v10, v12
	v_add_co_u32 v15, s4, v6, s14
	v_add_co_ci_u32_e64 v16, null, s15, v7, s4
	global_load_dwordx4 v[18:21], v[15:16], off
	s_waitcnt vmcnt(0)
	ds_write2_b64 v8, v[18:19], v[20:21] offset1:1
.LBB126_83:
	s_or_b32 exec_lo, exec_lo, s5
	v_add_nc_u32_e32 v8, 16, v11
	v_cmp_le_i32_e64 s4, s22, v8
	s_and_saveexec_b32 s5, s4
	s_xor_b32 s4, exec_lo, s5
	s_cbranch_execz .LBB126_85
; %bb.84:
	v_mov_b32_e32 v18, 0
	v_mad_u32_u24 v15, 0x210, v8, v12
	v_mov_b32_e32 v19, v18
	v_mov_b32_e32 v20, v18
	;; [unrolled: 1-line block ×3, first 2 shown]
	ds_write_b128 v15, v[18:21]
.LBB126_85:
	s_andn2_saveexec_b32 s5, s4
	s_cbranch_execz .LBB126_87
; %bb.86:
	s_lshl_b64 s[14:15], s[16:17], 8
	v_add_co_u32 v15, s4, v6, s14
	v_add_co_ci_u32_e64 v16, null, s15, v7, s4
	global_load_dwordx4 v[18:21], v[15:16], off
	v_mad_u32_u24 v15, 0x210, v8, v12
	s_waitcnt vmcnt(0)
	ds_write2_b64 v15, v[18:19], v[20:21] offset1:1
.LBB126_87:
	s_or_b32 exec_lo, exec_lo, s5
	v_add_nc_u32_e32 v15, 24, v11
                                        ; implicit-def: $vgpr16
	v_cmp_le_i32_e64 s4, s22, v15
	s_and_saveexec_b32 s5, s4
	s_xor_b32 s4, exec_lo, s5
	s_cbranch_execz .LBB126_89
; %bb.88:
	v_mov_b32_e32 v18, 0
	v_mad_u32_u24 v22, 0x210, v15, v12
	v_mul_u32_u24_e32 v16, 0x210, v15
	v_mov_b32_e32 v19, v18
	v_mov_b32_e32 v20, v18
	;; [unrolled: 1-line block ×3, first 2 shown]
	ds_write_b128 v22, v[18:21]
.LBB126_89:
	s_andn2_saveexec_b32 s4, s4
	s_cbranch_execz .LBB126_91
; %bb.90:
	v_mad_u64_u32 v[18:19], null, 0x180, s16, v[6:7]
	v_mad_u32_u24 v22, 0x210, v15, v12
	v_mov_b32_e32 v16, v19
	v_mad_u64_u32 v[19:20], null, 0x180, s17, v[16:17]
	v_mul_u32_u24_e32 v16, 0x210, v15
	global_load_dwordx4 v[18:21], v[18:19], off
	s_waitcnt vmcnt(0)
	ds_write2_b64 v22, v[18:19], v[20:21] offset1:1
.LBB126_91:
	s_or_b32 exec_lo, exec_lo, s4
	v_add_co_u32 v6, s4, v6, v17
	v_add_co_ci_u32_e64 v7, null, 0, v7, s4
	v_mul_u32_u24_e32 v17, 0x210, v10
	v_sub_co_u32 v6, s4, v6, s8
	v_subrev_co_ci_u32_e64 v7, null, s9, v7, s4
	v_add_co_u32 v6, s4, 0x210, v6
	v_add_co_ci_u32_e64 v7, null, 0, v7, s4
	s_movk_i32 s4, 0x1080
	v_cndmask_b32_e32 v42, v6, v42, vcc_lo
	v_cndmask_b32_e32 v43, v7, v43, vcc_lo
	v_mad_u32_u24 v7, 0x210, v10, s4
.LBB126_92:
	v_lshlrev_b32_e32 v6, 4, v11
	s_waitcnt lgkmcnt(0)
	s_barrier
	buffer_gl0_inv
	v_add_nc_u32_e32 v7, v12, v7
	ds_read_b128 v[18:21], v6 offset:18176
	ds_read_b128 v[22:25], v14
	v_lshlrev_b32_e32 v6, 4, v10
	v_add_nc_u32_e32 v10, v12, v17
	v_add_nc_u32_e32 v12, v12, v16
	v_lshl_add_u32 v51, v13, 4, v45
	ds_read_b128 v[26:29], v6 offset:18176
	ds_read_b128 v[30:33], v10
	v_lshlrev_b32_e32 v6, 4, v8
	v_lshlrev_b32_e32 v8, 4, v15
	ds_read_b128 v[34:37], v6 offset:18176
	ds_read_b128 v[47:50], v7
	s_waitcnt lgkmcnt(4)
	v_mul_f64 v[10:11], v[20:21], v[24:25]
	v_mul_f64 v[24:25], v[18:19], v[24:25]
	s_waitcnt lgkmcnt(2)
	v_mul_f64 v[6:7], v[28:29], v[32:33]
	v_mul_f64 v[32:33], v[26:27], v[32:33]
	v_fma_f64 v[10:11], v[18:19], v[22:23], -v[10:11]
	v_fma_f64 v[22:23], v[20:21], v[22:23], v[24:25]
	s_waitcnt lgkmcnt(0)
	v_mul_f64 v[24:25], v[36:37], v[49:50]
	v_mul_f64 v[49:50], v[34:35], v[49:50]
	ds_read_b128 v[14:17], v8 offset:18176
	ds_read2_b64 v[18:21], v12 offset1:1
	v_fma_f64 v[6:7], v[26:27], v[30:31], -v[6:7]
	v_fma_f64 v[26:27], v[28:29], v[30:31], v[32:33]
	v_add_f64 v[10:11], v[10:11], 0
	v_add_f64 v[22:23], v[22:23], 0
	s_waitcnt lgkmcnt(0)
	v_mul_f64 v[28:29], v[16:17], v[20:21]
	v_mul_f64 v[20:21], v[14:15], v[20:21]
	v_fma_f64 v[24:25], v[34:35], v[47:48], -v[24:25]
	v_fma_f64 v[30:31], v[36:37], v[47:48], v[49:50]
	v_add_f64 v[6:7], v[10:11], v[6:7]
	v_add_f64 v[10:11], v[22:23], v[26:27]
	v_fma_f64 v[14:15], v[14:15], v[18:19], -v[28:29]
	v_fma_f64 v[16:17], v[16:17], v[18:19], v[20:21]
	v_add_f64 v[6:7], v[6:7], v[24:25]
	v_add_f64 v[10:11], v[10:11], v[30:31]
	ds_read_b128 v[30:33], v9 offset:512
	ds_read_b128 v[22:25], v9 offset:528
	v_add_f64 v[47:48], v[6:7], v[14:15]
	v_add_f64 v[49:50], v[10:11], v[16:17]
	ds_read_b128 v[10:13], v9 offset:544
	ds_read_b128 v[6:9], v9 offset:560
	ds_read_b128 v[34:37], v51
	ds_read_b128 v[26:29], v51 offset:16
	ds_read_b128 v[18:21], v51 offset:32
	;; [unrolled: 1-line block ×3, first 2 shown]
	s_waitcnt lgkmcnt(0)
	s_barrier
	buffer_gl0_inv
	ds_write_b128 v46, v[47:50]
	s_waitcnt lgkmcnt(0)
	s_barrier
	buffer_gl0_inv
	s_and_saveexec_b32 s4, s3
	s_cbranch_execz .LBB126_94
; %bb.93:
	ds_read_b128 v[47:50], v45
	ds_read_b128 v[51:54], v45 offset:16
	s_waitcnt lgkmcnt(1)
	v_add_f64 v[2:3], v[2:3], v[47:48]
	v_add_f64 v[4:5], v[4:5], v[49:50]
	s_waitcnt lgkmcnt(0)
	v_add_f64 v[51:52], v[2:3], v[51:52]
	v_add_f64 v[53:54], v[4:5], v[53:54]
	ds_read_b128 v[2:5], v45 offset:32
	ds_read_b128 v[47:50], v45 offset:48
	s_waitcnt lgkmcnt(1)
	v_add_f64 v[2:3], v[51:52], v[2:3]
	v_add_f64 v[4:5], v[53:54], v[4:5]
	s_waitcnt lgkmcnt(0)
	v_add_f64 v[51:52], v[2:3], v[47:48]
	v_add_f64 v[53:54], v[4:5], v[49:50]
	ds_read_b128 v[2:5], v45 offset:64
	;; [unrolled: 8-line block ×3, first 2 shown]
	ds_read_b128 v[47:50], v45 offset:112
	s_waitcnt lgkmcnt(1)
	v_add_f64 v[2:3], v[51:52], v[2:3]
	v_add_f64 v[4:5], v[53:54], v[4:5]
	s_waitcnt lgkmcnt(0)
	v_add_f64 v[2:3], v[2:3], v[47:48]
	v_add_f64 v[4:5], v[4:5], v[49:50]
.LBB126_94:
	s_or_b32 exec_lo, exec_lo, s4
	v_mul_f64 v[47:48], v[36:37], v[32:33]
	v_mul_f64 v[32:33], v[34:35], v[32:33]
	v_mul_f64 v[49:50], v[28:29], v[24:25]
	v_mul_f64 v[24:25], v[26:27], v[24:25]
	s_barrier
	buffer_gl0_inv
	v_fma_f64 v[34:35], v[34:35], v[30:31], -v[47:48]
	v_fma_f64 v[30:31], v[36:37], v[30:31], v[32:33]
	v_mul_f64 v[32:33], v[20:21], v[12:13]
	v_mul_f64 v[12:13], v[18:19], v[12:13]
	v_fma_f64 v[26:27], v[26:27], v[22:23], -v[49:50]
	v_fma_f64 v[22:23], v[28:29], v[22:23], v[24:25]
	v_add_f64 v[24:25], v[34:35], 0
	v_add_f64 v[28:29], v[30:31], 0
	v_mul_f64 v[30:31], v[16:17], v[8:9]
	v_mul_f64 v[8:9], v[14:15], v[8:9]
	v_fma_f64 v[18:19], v[18:19], v[10:11], -v[32:33]
	v_fma_f64 v[10:11], v[20:21], v[10:11], v[12:13]
	v_add_f64 v[12:13], v[24:25], v[26:27]
	v_add_f64 v[20:21], v[28:29], v[22:23]
	v_fma_f64 v[14:15], v[14:15], v[6:7], -v[30:31]
	v_fma_f64 v[8:9], v[16:17], v[6:7], v[8:9]
	v_add_f64 v[6:7], v[12:13], v[18:19]
	v_add_f64 v[10:11], v[20:21], v[10:11]
	;; [unrolled: 1-line block ×4, first 2 shown]
	ds_write_b128 v46, v[6:9]
	s_waitcnt lgkmcnt(0)
	s_barrier
	buffer_gl0_inv
	s_and_saveexec_b32 s3, s2
	s_cbranch_execz .LBB126_96
; %bb.95:
	ds_read_b128 v[6:9], v45
	ds_read_b128 v[10:13], v45 offset:16
	s_waitcnt lgkmcnt(1)
	v_add_f64 v[2:3], v[2:3], v[6:7]
	v_add_f64 v[4:5], v[4:5], v[8:9]
	s_waitcnt lgkmcnt(0)
	v_add_f64 v[10:11], v[2:3], v[10:11]
	v_add_f64 v[12:13], v[4:5], v[12:13]
	ds_read_b128 v[2:5], v45 offset:32
	ds_read_b128 v[6:9], v45 offset:48
	s_waitcnt lgkmcnt(1)
	v_add_f64 v[2:3], v[10:11], v[2:3]
	v_add_f64 v[4:5], v[12:13], v[4:5]
	s_waitcnt lgkmcnt(0)
	v_add_f64 v[10:11], v[2:3], v[6:7]
	v_add_f64 v[12:13], v[4:5], v[8:9]
	ds_read_b128 v[2:5], v45 offset:64
	;; [unrolled: 8-line block ×3, first 2 shown]
	ds_read_b128 v[6:9], v45 offset:112
	s_waitcnt lgkmcnt(1)
	v_add_f64 v[2:3], v[10:11], v[2:3]
	v_add_f64 v[4:5], v[12:13], v[4:5]
	s_waitcnt lgkmcnt(0)
	v_add_f64 v[2:3], v[2:3], v[6:7]
	v_add_f64 v[4:5], v[4:5], v[8:9]
.LBB126_96:
	s_or_b32 exec_lo, exec_lo, s3
	s_mul_hi_u32 s2, s26, s7
	s_mul_i32 s28, s28, s7
	s_mul_i32 s3, s26, s7
	s_add_i32 s2, s2, s28
	s_mul_hi_u32 s5, s3, s27
	s_mul_i32 s4, s2, s27
	s_mul_i32 s2, s3, s27
	s_add_i32 s3, s5, s4
	s_mul_i32 s4, s26, s6
	s_lshl_b64 s[2:3], s[2:3], 4
	v_cmp_le_i32_e32 vcc_lo, s22, v0
	s_add_u32 s7, s10, s2
	s_addc_u32 s8, s11, s3
	s_ashr_i32 s5, s4, 31
	v_lshlrev_b32_e32 v140, 4, v0
	s_lshl_b64 s[2:3], s[4:5], 4
	s_add_u32 s7, s7, s2
	s_addc_u32 s8, s8, s3
	s_and_b32 vcc_lo, s18, vcc_lo
	s_cmp_lt_i32 s6, 1
	s_barrier
	buffer_gl0_inv
	s_cbranch_scc1 .LBB126_103
; %bb.97:
	v_lshlrev_b32_e32 v8, 2, v1
	v_sub_co_u32 v10, s2, v42, s12
	v_subrev_co_ci_u32_e64 v11, null, s13, v43, s2
	v_mad_u64_u32 v[6:7], null, s16, v8, 0
	v_sub_co_u32 v10, s2, v10, v40
	v_sub_co_ci_u32_e64 v11, null, v11, v41, s2
	s_ashr_i32 s23, s22, 31
	s_mul_i32 s3, s24, s21
	v_mad_u64_u32 v[7:8], null, s17, v8, v[7:8]
	s_lshl_b64 s[10:11], s[22:23], 4
	v_lshrrev_b32_e32 v8, 4, v44
	s_mul_hi_u32 s5, s24, s20
	v_and_b32_e32 v9, 15, v0
	s_mul_i32 s9, s25, s20
	s_add_i32 s3, s5, s3
	v_lshlrev_b64 v[6:7], 4, v[6:7]
	s_mul_i32 s4, s24, s20
	s_add_i32 s5, s3, s9
	v_or_b32_e32 v12, 0xf0, v140
	s_lshl_b64 s[4:5], s[4:5], 4
	v_mov_b32_e32 v137, 0
	v_add_co_u32 v6, s2, v10, v6
	v_add_co_ci_u32_e64 v7, null, v11, v7, s2
	v_add_nc_u32_e32 v143, 0x4300, v140
	v_add_co_u32 v10, s2, v6, s10
	v_add_co_ci_u32_e64 v11, null, s11, v7, s2
	v_add_co_u32 v6, s2, v6, v140
	v_add_co_ci_u32_e64 v7, null, 0, v7, s2
	v_add_co_u32 v10, s2, 0xfffffdf0, v10
	v_add_co_ci_u32_e64 v11, null, -1, v11, s2
	v_add_co_u32 v6, s2, 0xfffffe00, v6
	v_add_co_ci_u32_e64 v7, null, -1, v7, s2
	v_sub_co_u32 v141, s2, v38, s4
	v_cndmask_b32_e32 v6, v6, v10, vcc_lo
	v_cndmask_b32_e32 v7, v7, v11, vcc_lo
	v_and_b32_e32 v10, 48, v0
	v_lshlrev_b32_e32 v11, 6, v8
	v_mul_i32_i24_e32 v8, 0xffffffd0, v8
	v_subrev_co_ci_u32_e64 v142, null, s5, v39, s2
	v_lshlrev_b32_e32 v10, 4, v10
	v_mad_u32_u24 v147, 0x430, v9, v11
	v_lshl_add_u32 v144, v1, 6, 0x4300
	v_add_nc_u32_e32 v145, 0x4700, v140
	v_mad_u32_u24 v146, 0x10c0, v1, v140
	v_cmp_gt_u32_e64 s2, 64, v44
	v_mad_u32_u24 v148, 0x430, v9, v10
	v_mad_u32_u24 v149, 0x430, v9, v12
	v_add_nc_u32_e32 v150, v147, v8
	s_mul_i32 s3, s17, 0xd0
	s_mul_hi_u32 s9, s16, 0xd0
	s_lshl_b64 s[4:5], s[16:17], 4
	s_add_i32 s9, s9, s3
	s_mul_i32 s10, s16, 0xd0
	s_mov_b32 s11, 0
	s_branch .LBB126_99
.LBB126_98:                             ;   in Loop: Header=BB126_99 Depth=1
	s_or_b32 exec_lo, exec_lo, s12
	v_mul_f64 v[151:152], v[16:17], v[24:25]
	v_mul_f64 v[24:25], v[14:15], v[24:25]
	;; [unrolled: 1-line block ×4, first 2 shown]
	s_add_i32 s6, s6, -1
	s_add_i32 s11, s11, 64
	s_cmp_eq_u32 s6, 0
	s_waitcnt_vscnt null, 0x0
	s_barrier
	buffer_gl0_inv
	v_fma_f64 v[14:15], v[14:15], v[22:23], -v[151:152]
	v_fma_f64 v[16:17], v[16:17], v[22:23], v[24:25]
	v_mul_f64 v[22:23], v[12:13], v[32:33]
	v_mul_f64 v[24:25], v[10:11], v[32:33]
	v_fma_f64 v[18:19], v[18:19], v[26:27], -v[153:154]
	v_fma_f64 v[20:21], v[20:21], v[26:27], v[28:29]
	v_add_f64 v[2:3], v[2:3], v[14:15]
	v_add_f64 v[4:5], v[4:5], v[16:17]
	v_mul_f64 v[14:15], v[8:9], v[48:49]
	v_mul_f64 v[16:17], v[6:7], v[48:49]
	v_fma_f64 v[10:11], v[10:11], v[30:31], -v[22:23]
	v_fma_f64 v[12:13], v[12:13], v[30:31], v[24:25]
	v_add_f64 v[2:3], v[2:3], v[18:19]
	v_add_f64 v[4:5], v[4:5], v[20:21]
	v_mul_f64 v[18:19], v[52:53], v[84:85]
	v_mul_f64 v[20:21], v[50:51], v[84:85]
	v_fma_f64 v[6:7], v[6:7], v[46:47], -v[14:15]
	v_fma_f64 v[8:9], v[8:9], v[46:47], v[16:17]
	v_add_f64 v[2:3], v[2:3], v[10:11]
	v_add_f64 v[4:5], v[4:5], v[12:13]
	v_mul_f64 v[10:11], v[44:45], v[80:81]
	v_mul_f64 v[12:13], v[42:43], v[80:81]
	v_fma_f64 v[14:15], v[50:51], v[82:83], -v[18:19]
	v_fma_f64 v[16:17], v[52:53], v[82:83], v[20:21]
	v_add_f64 v[2:3], v[2:3], v[6:7]
	v_add_f64 v[4:5], v[4:5], v[8:9]
	v_mul_f64 v[6:7], v[40:41], v[76:77]
	v_mul_f64 v[8:9], v[38:39], v[76:77]
	v_fma_f64 v[10:11], v[42:43], v[78:79], -v[10:11]
	v_fma_f64 v[12:13], v[44:45], v[78:79], v[12:13]
	v_add_f64 v[2:3], v[2:3], v[14:15]
	v_add_f64 v[4:5], v[4:5], v[16:17]
	v_mul_f64 v[14:15], v[36:37], v[72:73]
	v_mul_f64 v[16:17], v[34:35], v[72:73]
	v_fma_f64 v[6:7], v[38:39], v[74:75], -v[6:7]
	v_fma_f64 v[8:9], v[40:41], v[74:75], v[8:9]
	v_add_f64 v[2:3], v[2:3], v[10:11]
	v_add_f64 v[4:5], v[4:5], v[12:13]
	v_mul_f64 v[10:11], v[68:69], v[108:109]
	v_mul_f64 v[12:13], v[66:67], v[108:109]
	v_fma_f64 v[14:15], v[34:35], v[70:71], -v[14:15]
	v_fma_f64 v[16:17], v[36:37], v[70:71], v[16:17]
	v_add_f64 v[2:3], v[2:3], v[6:7]
	v_add_f64 v[4:5], v[4:5], v[8:9]
	v_mul_f64 v[6:7], v[64:65], v[104:105]
	v_mul_f64 v[8:9], v[62:63], v[104:105]
	v_fma_f64 v[10:11], v[66:67], v[106:107], -v[10:11]
	v_fma_f64 v[12:13], v[68:69], v[106:107], v[12:13]
	v_add_f64 v[2:3], v[2:3], v[14:15]
	v_add_f64 v[4:5], v[4:5], v[16:17]
	v_mul_f64 v[14:15], v[60:61], v[100:101]
	v_mul_f64 v[16:17], v[58:59], v[100:101]
	v_fma_f64 v[6:7], v[62:63], v[102:103], -v[6:7]
	v_fma_f64 v[8:9], v[64:65], v[102:103], v[8:9]
	v_add_f64 v[2:3], v[2:3], v[10:11]
	v_add_f64 v[4:5], v[4:5], v[12:13]
	v_mul_f64 v[10:11], v[56:57], v[96:97]
	v_mul_f64 v[12:13], v[54:55], v[96:97]
	v_fma_f64 v[14:15], v[58:59], v[98:99], -v[14:15]
	v_fma_f64 v[16:17], v[60:61], v[98:99], v[16:17]
	v_add_f64 v[2:3], v[2:3], v[6:7]
	v_add_f64 v[4:5], v[4:5], v[8:9]
	v_mul_f64 v[6:7], v[92:93], v[132:133]
	v_mul_f64 v[8:9], v[90:91], v[132:133]
	v_fma_f64 v[10:11], v[54:55], v[94:95], -v[10:11]
	v_fma_f64 v[12:13], v[56:57], v[94:95], v[12:13]
	v_add_f64 v[2:3], v[2:3], v[14:15]
	v_add_f64 v[4:5], v[4:5], v[16:17]
	v_mul_f64 v[14:15], v[88:89], v[128:129]
	v_mul_f64 v[16:17], v[86:87], v[128:129]
	v_fma_f64 v[6:7], v[90:91], v[130:131], -v[6:7]
	v_fma_f64 v[8:9], v[92:93], v[130:131], v[8:9]
	v_add_f64 v[2:3], v[2:3], v[10:11]
	v_add_f64 v[4:5], v[4:5], v[12:13]
	v_mul_f64 v[10:11], v[112:113], v[124:125]
	v_mul_f64 v[12:13], v[110:111], v[124:125]
	v_fma_f64 v[14:15], v[86:87], v[126:127], -v[14:15]
	v_fma_f64 v[16:17], v[88:89], v[126:127], v[16:17]
	v_add_f64 v[2:3], v[2:3], v[6:7]
	v_add_f64 v[4:5], v[4:5], v[8:9]
	v_mul_f64 v[6:7], v[116:117], v[120:121]
	v_mul_f64 v[8:9], v[114:115], v[120:121]
	v_fma_f64 v[10:11], v[110:111], v[122:123], -v[10:11]
	v_fma_f64 v[12:13], v[112:113], v[122:123], v[12:13]
	v_add_f64 v[2:3], v[2:3], v[14:15]
	v_add_f64 v[4:5], v[4:5], v[16:17]
	v_fma_f64 v[6:7], v[114:115], v[118:119], -v[6:7]
	v_fma_f64 v[8:9], v[116:117], v[118:119], v[8:9]
	v_add_f64 v[2:3], v[2:3], v[10:11]
	v_add_f64 v[4:5], v[4:5], v[12:13]
	;; [unrolled: 1-line block ×4, first 2 shown]
	v_add_co_u32 v6, s3, v138, s10
	v_add_co_ci_u32_e64 v7, null, s9, v139, s3
	s_cbranch_scc1 .LBB126_103
.LBB126_99:                             ; =>This Inner Loop Header: Depth=1
	s_and_saveexec_b32 s12, s1
	s_cbranch_execz .LBB126_101
; %bb.100:                              ;   in Loop: Header=BB126_99 Depth=1
	s_mul_i32 s3, s25, s11
	s_mul_hi_u32 s13, s24, s11
	s_mul_i32 s14, s24, s11
	s_add_i32 s15, s13, s3
	s_lshl_b64 s[14:15], s[14:15], 4
	v_add_co_u32 v8, s3, v141, s14
	v_add_co_ci_u32_e64 v9, null, s15, v142, s3
	global_load_dwordx4 v[8:11], v[8:9], off
	s_waitcnt vmcnt(0)
	ds_write2_b64 v143, v[8:9], v[10:11] offset1:1
.LBB126_101:                            ;   in Loop: Header=BB126_99 Depth=1
	s_or_b32 exec_lo, exec_lo, s12
	v_add_co_u32 v8, s3, v6, s4
	v_add_co_ci_u32_e64 v9, null, s5, v7, s3
	s_waitcnt lgkmcnt(0)
	v_add_co_u32 v10, s3, v8, s4
	v_add_co_ci_u32_e64 v11, null, s5, v9, s3
	s_barrier
	v_add_co_u32 v29, s3, v10, s4
	buffer_gl0_inv
	global_load_dwordx4 v[14:17], v[6:7], off
	v_add_co_ci_u32_e64 v30, null, s5, v11, s3
	s_clause 0x2
	global_load_dwordx4 v[18:21], v[8:9], off
	global_load_dwordx4 v[10:13], v[10:11], off
	;; [unrolled: 1-line block ×3, first 2 shown]
	ds_read_b128 v[22:25], v145
	v_add_co_u32 v54, s3, v29, s10
	v_add_co_ci_u32_e64 v55, null, s9, v30, s3
	v_add_co_u32 v56, s3, v54, s4
	v_add_co_ci_u32_e64 v57, null, s5, v55, s3
	;; [unrolled: 2-line block ×5, first 2 shown]
	s_waitcnt vmcnt(3) lgkmcnt(0)
	v_mul_f64 v[26:27], v[16:17], v[24:25]
	v_mul_f64 v[31:32], v[14:15], v[24:25]
	s_waitcnt vmcnt(2)
	v_mul_f64 v[38:39], v[20:21], v[24:25]
	v_mul_f64 v[40:41], v[18:19], v[24:25]
	s_waitcnt vmcnt(1)
	;; [unrolled: 3-line block ×3, first 2 shown]
	v_mul_f64 v[46:47], v[8:9], v[24:25]
	v_mul_f64 v[24:25], v[6:7], v[24:25]
	v_fma_f64 v[34:35], v[14:15], v[22:23], -v[26:27]
	v_fma_f64 v[36:37], v[16:17], v[22:23], v[31:32]
	v_fma_f64 v[38:39], v[18:19], v[22:23], -v[38:39]
	v_fma_f64 v[40:41], v[20:21], v[22:23], v[40:41]
	;; [unrolled: 2-line block ×4, first 2 shown]
	ds_read_b128 v[22:25], v144
	ds_read_b128 v[26:29], v144 offset:16
	ds_read_b128 v[30:33], v144 offset:32
	;; [unrolled: 1-line block ×3, first 2 shown]
	ds_write_b128 v146, v[34:37]
	ds_write_b128 v146, v[38:41] offset:1072
	ds_write_b128 v146, v[42:45] offset:2144
	ds_write_b128 v146, v[50:53] offset:3216
	s_waitcnt lgkmcnt(0)
	s_barrier
	buffer_gl0_inv
	ds_read_b128 v[86:89], v147
	ds_read_b128 v[90:93], v147 offset:16
	ds_read_b128 v[94:97], v147 offset:32
	;; [unrolled: 1-line block ×3, first 2 shown]
	s_waitcnt lgkmcnt(0)
	s_barrier
	buffer_gl0_inv
	s_clause 0x3
	global_load_dwordx4 v[50:53], v[54:55], off
	global_load_dwordx4 v[42:45], v[56:57], off
	;; [unrolled: 1-line block ×4, first 2 shown]
	ds_read_b128 v[54:57], v145
	v_add_f64 v[86:87], v[86:87], 0
	v_add_f64 v[88:89], v[88:89], 0
	;; [unrolled: 1-line block ×7, first 2 shown]
	s_waitcnt vmcnt(2) lgkmcnt(0)
	v_mul_f64 v[62:63], v[44:45], v[56:57]
	v_mul_f64 v[58:59], v[52:53], v[56:57]
	;; [unrolled: 1-line block ×4, first 2 shown]
	s_waitcnt vmcnt(1)
	v_mul_f64 v[69:70], v[40:41], v[56:57]
	v_mul_f64 v[71:72], v[38:39], v[56:57]
	s_waitcnt vmcnt(0)
	v_mul_f64 v[73:74], v[36:37], v[56:57]
	v_mul_f64 v[75:76], v[34:35], v[56:57]
	v_fma_f64 v[56:57], v[50:51], v[54:55], -v[58:59]
	v_fma_f64 v[58:59], v[52:53], v[54:55], v[60:61]
	v_fma_f64 v[60:61], v[42:43], v[54:55], -v[62:63]
	v_fma_f64 v[62:63], v[44:45], v[54:55], v[64:65]
	;; [unrolled: 2-line block ×4, first 2 shown]
	v_add_co_u32 v54, s3, v102, s4
	v_add_co_ci_u32_e64 v55, null, s5, v103, s3
	ds_read_b128 v[82:85], v144 offset:256
	ds_read_b128 v[78:81], v144 offset:272
	;; [unrolled: 1-line block ×4, first 2 shown]
	v_add_co_u32 v104, s3, v54, s4
	v_add_co_ci_u32_e64 v105, null, s5, v55, s3
	ds_write_b128 v146, v[56:59]
	ds_write_b128 v146, v[60:63] offset:1072
	ds_write_b128 v146, v[64:67] offset:2144
	;; [unrolled: 1-line block ×3, first 2 shown]
	v_add_co_u32 v106, s3, v104, s4
	s_waitcnt lgkmcnt(0)
	s_barrier
	buffer_gl0_inv
	ds_read_b128 v[98:101], v147
	ds_read_b128 v[114:117], v147 offset:16
	ds_read_b128 v[118:121], v147 offset:32
	;; [unrolled: 1-line block ×3, first 2 shown]
	s_waitcnt lgkmcnt(0)
	s_barrier
	buffer_gl0_inv
	global_load_dwordx4 v[66:69], v[102:103], off
	v_add_co_ci_u32_e64 v107, null, s5, v105, s3
	s_clause 0x1
	global_load_dwordx4 v[62:65], v[54:55], off
	global_load_dwordx4 v[58:61], v[104:105], off
	global_load_dwordx4 v[54:57], v[106:107], off
	ds_read_b128 v[102:105], v145
	v_add_f64 v[157:158], v[98:99], 0
	v_add_f64 v[161:162], v[100:101], 0
	;; [unrolled: 1-line block ×9, first 2 shown]
	s_waitcnt vmcnt(3) lgkmcnt(0)
	v_mul_f64 v[108:109], v[68:69], v[104:105]
	v_mul_f64 v[126:127], v[66:67], v[104:105]
	s_waitcnt vmcnt(2)
	v_mul_f64 v[128:129], v[64:65], v[104:105]
	v_mul_f64 v[130:131], v[62:63], v[104:105]
	s_waitcnt vmcnt(1)
	;; [unrolled: 3-line block ×3, first 2 shown]
	v_mul_f64 v[151:152], v[56:57], v[104:105]
	v_mul_f64 v[104:105], v[54:55], v[104:105]
	v_fma_f64 v[86:87], v[66:67], v[102:103], -v[108:109]
	v_fma_f64 v[88:89], v[68:69], v[102:103], v[126:127]
	v_fma_f64 v[90:91], v[62:63], v[102:103], -v[128:129]
	v_fma_f64 v[92:93], v[64:65], v[102:103], v[130:131]
	v_fma_f64 v[126:127], v[58:59], v[102:103], -v[132:133]
	v_fma_f64 v[128:129], v[60:61], v[102:103], v[138:139]
	v_fma_f64 v[130:131], v[54:55], v[102:103], -v[151:152]
	v_fma_f64 v[132:133], v[56:57], v[102:103], v[104:105]
	v_add_co_u32 v138, s3, v106, s10
	v_add_co_ci_u32_e64 v139, null, s9, v107, s3
	ds_read_b128 v[106:109], v144 offset:512
	ds_read_b128 v[102:105], v144 offset:528
	;; [unrolled: 1-line block ×4, first 2 shown]
	ds_write_b128 v146, v[86:89]
	ds_write_b128 v146, v[90:93] offset:1072
	ds_write_b128 v146, v[126:129] offset:2144
	;; [unrolled: 1-line block ×3, first 2 shown]
	s_waitcnt lgkmcnt(0)
	s_barrier
	buffer_gl0_inv
	ds_read_b128 v[126:129], v147
	ds_read_b128 v[130:133], v147 offset:16
	ds_read_b128 v[151:154], v147 offset:32
	;; [unrolled: 1-line block ×3, first 2 shown]
	s_waitcnt lgkmcnt(0)
	s_barrier
	buffer_gl0_inv
	global_load_dwordx4 v[90:93], v[138:139], off
	ds_read_b128 v[118:121], v145
	v_add_co_u32 v167, s3, v138, s4
	v_add_co_ci_u32_e64 v168, null, s5, v139, s3
	v_add_co_u32 v171, s3, v167, s4
	global_load_dwordx4 v[86:89], v[167:168], off
	v_add_co_ci_u32_e64 v172, null, s5, v168, s3
	v_add_co_u32 v138, s3, v171, s4
	v_add_co_ci_u32_e64 v139, null, s5, v172, s3
	s_waitcnt vmcnt(1) lgkmcnt(0)
	v_mul_f64 v[110:111], v[92:93], v[120:121]
	v_mul_f64 v[112:113], v[90:91], v[120:121]
	s_waitcnt vmcnt(0)
	v_mul_f64 v[114:115], v[88:89], v[120:121]
	v_mul_f64 v[116:117], v[86:87], v[120:121]
	v_fma_f64 v[122:123], v[90:91], v[118:119], -v[110:111]
	v_fma_f64 v[124:125], v[92:93], v[118:119], v[112:113]
	global_load_dwordx4 v[110:113], v[171:172], off
	v_fma_f64 v[167:168], v[86:87], v[118:119], -v[114:115]
	v_fma_f64 v[169:170], v[88:89], v[118:119], v[116:117]
	ds_write_b128 v146, v[122:125]
	ds_read_b128 v[122:125], v144 offset:800
	ds_write_b128 v146, v[167:170] offset:1072
	s_waitcnt vmcnt(0)
	v_mul_f64 v[114:115], v[112:113], v[120:121]
	v_mul_f64 v[116:117], v[110:111], v[120:121]
	v_fma_f64 v[171:172], v[110:111], v[118:119], -v[114:115]
	v_fma_f64 v[173:174], v[112:113], v[118:119], v[116:117]
	global_load_dwordx4 v[114:117], v[138:139], off
	ds_write_b128 v146, v[171:174] offset:2144
	s_waitcnt vmcnt(0)
	v_mul_f64 v[175:176], v[116:117], v[120:121]
	v_mul_f64 v[120:121], v[114:115], v[120:121]
	v_fma_f64 v[175:176], v[114:115], v[118:119], -v[175:176]
	v_fma_f64 v[177:178], v[116:117], v[118:119], v[120:121]
	v_add_f64 v[118:119], v[126:127], 0
	v_add_f64 v[120:121], v[128:129], 0
	ds_read_b128 v[126:129], v144 offset:784
	ds_write_b128 v146, v[175:178] offset:3216
	v_add_f64 v[118:119], v[118:119], v[130:131]
	v_add_f64 v[120:121], v[120:121], v[132:133]
	ds_read_b128 v[130:133], v144 offset:768
	v_add_f64 v[118:119], v[118:119], v[151:152]
	v_add_f64 v[120:121], v[120:121], v[153:154]
	;; [unrolled: 1-line block ×4, first 2 shown]
	ds_read_b128 v[118:121], v144 offset:816
	s_waitcnt lgkmcnt(0)
	s_barrier
	buffer_gl0_inv
	ds_read_b128 v[155:158], v147
	s_waitcnt lgkmcnt(0)
	v_add_f64 v[167:168], v[155:156], 0
	v_add_f64 v[169:170], v[157:158], 0
	ds_read_b128 v[155:158], v147 offset:16
	s_waitcnt lgkmcnt(0)
	v_add_f64 v[167:168], v[167:168], v[155:156]
	v_add_f64 v[169:170], v[169:170], v[157:158]
	ds_read_b128 v[155:158], v147 offset:32
	;; [unrolled: 4-line block ×3, first 2 shown]
	s_waitcnt lgkmcnt(0)
	s_barrier
	buffer_gl0_inv
	v_add_f64 v[155:156], v[167:168], v[155:156]
	v_add_f64 v[157:158], v[169:170], v[157:158]
	ds_write_b128 v150, v[159:162]
	ds_write_b128 v150, v[163:166] offset:256
	ds_write_b128 v150, v[151:154] offset:512
	;; [unrolled: 1-line block ×3, first 2 shown]
	s_waitcnt lgkmcnt(0)
	s_barrier
	buffer_gl0_inv
	s_and_saveexec_b32 s12, s2
	s_cbranch_execz .LBB126_98
; %bb.102:                              ;   in Loop: Header=BB126_99 Depth=1
	ds_read_b128 v[151:154], v148
	ds_read_b128 v[155:158], v148 offset:16
	v_add_nc_u32_e32 v136, s11, v0
	s_waitcnt lgkmcnt(0)
	v_add_f64 v[159:160], v[155:156], v[151:152]
	v_add_f64 v[161:162], v[157:158], v[153:154]
	ds_read_b128 v[151:154], v148 offset:32
	ds_read_b128 v[155:158], v148 offset:48
	s_waitcnt lgkmcnt(1)
	v_add_f64 v[151:152], v[159:160], v[151:152]
	v_add_f64 v[153:154], v[161:162], v[153:154]
	s_waitcnt lgkmcnt(0)
	v_add_f64 v[159:160], v[151:152], v[155:156]
	v_add_f64 v[161:162], v[153:154], v[157:158]
	ds_read_b128 v[151:154], v148 offset:64
	ds_read_b128 v[155:158], v148 offset:80
	s_waitcnt lgkmcnt(1)
	v_add_f64 v[151:152], v[159:160], v[151:152]
	v_add_f64 v[153:154], v[161:162], v[153:154]
	;; [unrolled: 8-line block ×6, first 2 shown]
	s_waitcnt lgkmcnt(0)
	v_add_f64 v[159:160], v[151:152], v[155:156]
	v_add_f64 v[161:162], v[153:154], v[157:158]
	ds_read_b128 v[151:154], v148 offset:224
	ds_read_b128 v[155:158], v149
	s_waitcnt lgkmcnt(1)
	v_add_f64 v[151:152], v[159:160], v[151:152]
	v_add_f64 v[153:154], v[161:162], v[153:154]
	s_waitcnt lgkmcnt(0)
	v_add_f64 v[151:152], v[151:152], v[155:156]
	v_add_f64 v[153:154], v[153:154], v[157:158]
	v_lshlrev_b64 v[155:156], 4, v[136:137]
	v_add_co_u32 v155, s3, s7, v155
	v_add_co_ci_u32_e64 v156, null, s8, v156, s3
	global_store_dwordx4 v[155:156], v[151:154], off
	s_branch .LBB126_98
.LBB126_103:
	v_mad_u32_u24 v0, 0x430, v1, v140
	s_nor_b32 s0, s0, vcc_lo
	ds_write_b128 v0, v[2:5]
	s_waitcnt lgkmcnt(0)
	s_barrier
	buffer_gl0_inv
	s_and_saveexec_b32 s1, s0
	s_cbranch_execz .LBB126_105
; %bb.104:
	ds_read_b128 v[0:3], v140 offset:1072
	ds_read_b128 v[4:7], v140
	s_waitcnt lgkmcnt(0)
	v_add_f64 v[8:9], v[0:1], v[4:5]
	v_add_f64 v[10:11], v[2:3], v[6:7]
	ds_read_b128 v[0:3], v140 offset:2144
	ds_read_b128 v[4:7], v140 offset:3216
	s_waitcnt lgkmcnt(1)
	v_add_f64 v[0:1], v[8:9], v[0:1]
	v_add_f64 v[2:3], v[10:11], v[2:3]
	s_waitcnt lgkmcnt(0)
	v_add_f64 v[0:1], v[0:1], v[4:5]
	v_add_f64 v[2:3], v[2:3], v[6:7]
	v_lshlrev_b64 v[4:5], 4, v[134:135]
	v_add_co_u32 v4, vcc_lo, s7, v4
	v_add_co_ci_u32_e64 v5, null, s8, v5, vcc_lo
	global_store_dwordx4 v[4:5], v[0:3], off
.LBB126_105:
	s_endpgm
	.section	.rodata,"a",@progbits
	.p2align	6, 0x0
	.amdhsa_kernel _ZL26rocblas_hemvn_kernel_lowerILb0ELi64ELi4ELi33ELi32ELi16ElPK19rocblas_complex_numIdES3_PS1_EviT6_lT7_lT5_lS6_lS7_lS5_lT8_i
		.amdhsa_group_segment_fixed_size 19200
		.amdhsa_private_segment_fixed_size 0
		.amdhsa_kernarg_size 376
		.amdhsa_user_sgpr_count 6
		.amdhsa_user_sgpr_private_segment_buffer 1
		.amdhsa_user_sgpr_dispatch_ptr 0
		.amdhsa_user_sgpr_queue_ptr 0
		.amdhsa_user_sgpr_kernarg_segment_ptr 1
		.amdhsa_user_sgpr_dispatch_id 0
		.amdhsa_user_sgpr_flat_scratch_init 0
		.amdhsa_user_sgpr_private_segment_size 0
		.amdhsa_wavefront_size32 1
		.amdhsa_uses_dynamic_stack 0
		.amdhsa_system_sgpr_private_segment_wavefront_offset 0
		.amdhsa_system_sgpr_workgroup_id_x 1
		.amdhsa_system_sgpr_workgroup_id_y 0
		.amdhsa_system_sgpr_workgroup_id_z 1
		.amdhsa_system_sgpr_workgroup_info 0
		.amdhsa_system_vgpr_workitem_id 1
		.amdhsa_next_free_vgpr 179
		.amdhsa_next_free_sgpr 32
		.amdhsa_reserve_vcc 1
		.amdhsa_reserve_flat_scratch 0
		.amdhsa_float_round_mode_32 0
		.amdhsa_float_round_mode_16_64 0
		.amdhsa_float_denorm_mode_32 3
		.amdhsa_float_denorm_mode_16_64 3
		.amdhsa_dx10_clamp 1
		.amdhsa_ieee_mode 1
		.amdhsa_fp16_overflow 0
		.amdhsa_workgroup_processor_mode 1
		.amdhsa_memory_ordered 1
		.amdhsa_forward_progress 1
		.amdhsa_shared_vgpr_count 0
		.amdhsa_exception_fp_ieee_invalid_op 0
		.amdhsa_exception_fp_denorm_src 0
		.amdhsa_exception_fp_ieee_div_zero 0
		.amdhsa_exception_fp_ieee_overflow 0
		.amdhsa_exception_fp_ieee_underflow 0
		.amdhsa_exception_fp_ieee_inexact 0
		.amdhsa_exception_int_div_zero 0
	.end_amdhsa_kernel
	.section	.text._ZL26rocblas_hemvn_kernel_lowerILb0ELi64ELi4ELi33ELi32ELi16ElPK19rocblas_complex_numIdES3_PS1_EviT6_lT7_lT5_lS6_lS7_lS5_lT8_i,"axG",@progbits,_ZL26rocblas_hemvn_kernel_lowerILb0ELi64ELi4ELi33ELi32ELi16ElPK19rocblas_complex_numIdES3_PS1_EviT6_lT7_lT5_lS6_lS7_lS5_lT8_i,comdat
.Lfunc_end126:
	.size	_ZL26rocblas_hemvn_kernel_lowerILb0ELi64ELi4ELi33ELi32ELi16ElPK19rocblas_complex_numIdES3_PS1_EviT6_lT7_lT5_lS6_lS7_lS5_lT8_i, .Lfunc_end126-_ZL26rocblas_hemvn_kernel_lowerILb0ELi64ELi4ELi33ELi32ELi16ElPK19rocblas_complex_numIdES3_PS1_EviT6_lT7_lT5_lS6_lS7_lS5_lT8_i
                                        ; -- End function
	.set _ZL26rocblas_hemvn_kernel_lowerILb0ELi64ELi4ELi33ELi32ELi16ElPK19rocblas_complex_numIdES3_PS1_EviT6_lT7_lT5_lS6_lS7_lS5_lT8_i.num_vgpr, 179
	.set _ZL26rocblas_hemvn_kernel_lowerILb0ELi64ELi4ELi33ELi32ELi16ElPK19rocblas_complex_numIdES3_PS1_EviT6_lT7_lT5_lS6_lS7_lS5_lT8_i.num_agpr, 0
	.set _ZL26rocblas_hemvn_kernel_lowerILb0ELi64ELi4ELi33ELi32ELi16ElPK19rocblas_complex_numIdES3_PS1_EviT6_lT7_lT5_lS6_lS7_lS5_lT8_i.numbered_sgpr, 32
	.set _ZL26rocblas_hemvn_kernel_lowerILb0ELi64ELi4ELi33ELi32ELi16ElPK19rocblas_complex_numIdES3_PS1_EviT6_lT7_lT5_lS6_lS7_lS5_lT8_i.num_named_barrier, 0
	.set _ZL26rocblas_hemvn_kernel_lowerILb0ELi64ELi4ELi33ELi32ELi16ElPK19rocblas_complex_numIdES3_PS1_EviT6_lT7_lT5_lS6_lS7_lS5_lT8_i.private_seg_size, 0
	.set _ZL26rocblas_hemvn_kernel_lowerILb0ELi64ELi4ELi33ELi32ELi16ElPK19rocblas_complex_numIdES3_PS1_EviT6_lT7_lT5_lS6_lS7_lS5_lT8_i.uses_vcc, 1
	.set _ZL26rocblas_hemvn_kernel_lowerILb0ELi64ELi4ELi33ELi32ELi16ElPK19rocblas_complex_numIdES3_PS1_EviT6_lT7_lT5_lS6_lS7_lS5_lT8_i.uses_flat_scratch, 0
	.set _ZL26rocblas_hemvn_kernel_lowerILb0ELi64ELi4ELi33ELi32ELi16ElPK19rocblas_complex_numIdES3_PS1_EviT6_lT7_lT5_lS6_lS7_lS5_lT8_i.has_dyn_sized_stack, 0
	.set _ZL26rocblas_hemvn_kernel_lowerILb0ELi64ELi4ELi33ELi32ELi16ElPK19rocblas_complex_numIdES3_PS1_EviT6_lT7_lT5_lS6_lS7_lS5_lT8_i.has_recursion, 0
	.set _ZL26rocblas_hemvn_kernel_lowerILb0ELi64ELi4ELi33ELi32ELi16ElPK19rocblas_complex_numIdES3_PS1_EviT6_lT7_lT5_lS6_lS7_lS5_lT8_i.has_indirect_call, 0
	.section	.AMDGPU.csdata,"",@progbits
; Kernel info:
; codeLenInByte = 9864
; TotalNumSgprs: 34
; NumVgprs: 179
; ScratchSize: 0
; MemoryBound: 0
; FloatMode: 240
; IeeeMode: 1
; LDSByteSize: 19200 bytes/workgroup (compile time only)
; SGPRBlocks: 0
; VGPRBlocks: 22
; NumSGPRsForWavesPerEU: 34
; NumVGPRsForWavesPerEU: 179
; Occupancy: 5
; WaveLimiterHint : 0
; COMPUTE_PGM_RSRC2:SCRATCH_EN: 0
; COMPUTE_PGM_RSRC2:USER_SGPR: 6
; COMPUTE_PGM_RSRC2:TRAP_HANDLER: 0
; COMPUTE_PGM_RSRC2:TGID_X_EN: 1
; COMPUTE_PGM_RSRC2:TGID_Y_EN: 0
; COMPUTE_PGM_RSRC2:TGID_Z_EN: 1
; COMPUTE_PGM_RSRC2:TIDIG_COMP_CNT: 1
	.section	.text._ZL26rocblas_hemvn_kernel_lowerILb0ELi64ELi4ELi33ELi32ELi16EiPK19rocblas_complex_numIdES3_PS1_EviT6_lT7_lT5_lS6_lS7_lS5_lT8_i,"axG",@progbits,_ZL26rocblas_hemvn_kernel_lowerILb0ELi64ELi4ELi33ELi32ELi16EiPK19rocblas_complex_numIdES3_PS1_EviT6_lT7_lT5_lS6_lS7_lS5_lT8_i,comdat
	.globl	_ZL26rocblas_hemvn_kernel_lowerILb0ELi64ELi4ELi33ELi32ELi16EiPK19rocblas_complex_numIdES3_PS1_EviT6_lT7_lT5_lS6_lS7_lS5_lT8_i ; -- Begin function _ZL26rocblas_hemvn_kernel_lowerILb0ELi64ELi4ELi33ELi32ELi16EiPK19rocblas_complex_numIdES3_PS1_EviT6_lT7_lT5_lS6_lS7_lS5_lT8_i
	.p2align	8
	.type	_ZL26rocblas_hemvn_kernel_lowerILb0ELi64ELi4ELi33ELi32ELi16EiPK19rocblas_complex_numIdES3_PS1_EviT6_lT7_lT5_lS6_lS7_lS5_lT8_i,@function
_ZL26rocblas_hemvn_kernel_lowerILb0ELi64ELi4ELi33ELi32ELi16EiPK19rocblas_complex_numIdES3_PS1_EviT6_lT7_lT5_lS6_lS7_lS5_lT8_i: ; @_ZL26rocblas_hemvn_kernel_lowerILb0ELi64ELi4ELi33ELi32ELi16EiPK19rocblas_complex_numIdES3_PS1_EviT6_lT7_lT5_lS6_lS7_lS5_lT8_i
; %bb.0:
	s_load_dwordx2 s[2:3], s[4:5], 0x84
	s_add_u32 s0, s4, 0x78
	s_addc_u32 s1, s5, 0
	s_waitcnt lgkmcnt(0)
	s_lshr_b32 s8, s2, 16
	s_and_b32 s2, s2, 0xffff
	s_and_b32 s3, s3, 0xffff
	s_mul_i32 s2, s8, s2
	s_mul_i32 s2, s2, s3
	s_cmpk_lg_i32 s2, 0x100
	s_cbranch_scc1 .LBB127_105
; %bb.1:
	s_load_dwordx8 s[12:19], s[4:5], 0x8
	v_mov_b32_e32 v2, v1
	s_waitcnt lgkmcnt(0)
	s_mul_i32 s3, s15, s7
	s_mul_hi_u32 s8, s14, s7
	s_mul_i32 s2, s14, s7
	s_add_i32 s3, s8, s3
	s_lshl_b64 s[2:3], s[2:3], 4
	s_add_u32 s2, s12, s2
	s_addc_u32 s3, s13, s3
	s_load_dwordx4 s[8:11], s[2:3], 0x0
	s_waitcnt lgkmcnt(0)
	v_cmp_neq_f64_e64 s2, s[8:9], 0
	v_cmp_neq_f64_e64 s3, s[10:11], 0
	s_load_dwordx8 s[8:15], s[4:5], 0x50
	s_or_b32 s2, s2, s3
	s_mov_b32 s3, -1
	s_and_b32 vcc_lo, exec_lo, s2
	s_cbranch_vccnz .LBB127_3
; %bb.2:
	s_waitcnt lgkmcnt(0)
	s_mul_i32 s3, s13, s7
	s_mul_hi_u32 s13, s12, s7
	s_mul_i32 s12, s12, s7
	s_add_i32 s13, s13, s3
	s_lshl_b64 s[12:13], s[12:13], 4
	s_add_u32 s10, s10, s12
	s_addc_u32 s11, s11, s13
	s_load_dwordx4 s[20:23], s[10:11], 0x0
	s_waitcnt lgkmcnt(0)
	v_cmp_neq_f64_e64 s3, s[20:21], 1.0
	v_cmp_neq_f64_e64 s10, s[22:23], 0
	s_or_b32 s3, s3, s10
.LBB127_3:
	s_andn2_b32 vcc_lo, exec_lo, s3
	s_cbranch_vccnz .LBB127_105
; %bb.4:
	s_andn2_b32 vcc_lo, exec_lo, s2
	s_cbranch_vccnz .LBB127_105
; %bb.5:
	s_clause 0x2
	s_load_dwordx4 s[20:23], s[4:5], 0x30
	s_load_dwordx2 s[2:3], s[4:5], 0x40
	s_load_dword s24, s[4:5], 0x48
	s_waitcnt lgkmcnt(0)
	s_mul_i32 s9, s9, s7
	s_mul_hi_u32 s10, s8, s7
	s_mul_i32 s8, s8, s7
	s_add_i32 s9, s10, s9
	s_load_dword s25, s[4:5], 0x0
	s_lshl_b64 s[8:9], s[8:9], 4
	s_load_dword s26, s[0:1], 0x0
	s_add_u32 s8, s22, s8
	s_addc_u32 s9, s23, s9
	s_lshl_b64 s[2:3], s[2:3], 4
	s_add_u32 s2, s8, s2
	s_addc_u32 s3, s9, s3
	s_lshl_b32 s10, s6, 6
	s_waitcnt lgkmcnt(0)
	s_ashr_i32 s27, s25, 31
	v_add_nc_u32_e32 v139, s10, v0
	s_lshr_b32 s0, s27, 26
	s_add_i32 s8, s26, -1
	s_add_i32 s1, s25, s0
	v_cmp_ne_u32_e64 s0, 0, v2
	v_mul_lo_u32 v3, s24, v139
	s_andn2_b32 s1, s1, 63
	s_sub_i32 s9, s25, s1
	v_cmp_eq_u32_e64 s1, 0, v2
	s_cmp_eq_u32 s6, s8
	s_cselect_b32 s12, s9, 0
	v_ashrrev_i32_e32 v4, 31, v3
	v_lshlrev_b64 v[3:4], 4, v[3:4]
	v_add_co_u32 v39, vcc_lo, s2, v3
	v_add_co_ci_u32_e64 v40, null, s3, v4, vcc_lo
	s_mov_b32 s2, -1
	s_and_saveexec_b32 s3, s1
	s_cbranch_execz .LBB127_10
; %bb.6:
	v_cmp_le_i32_e32 vcc_lo, s12, v0
	s_cmp_lg_u32 s12, 0
	v_lshl_add_u32 v1, v0, 4, 0x4700
	s_cselect_b32 s8, -1, 0
	s_and_b32 s8, s8, vcc_lo
	s_and_saveexec_b32 s9, s8
	s_xor_b32 s8, exec_lo, s9
	s_cbranch_execz .LBB127_8
; %bb.7:
	v_mov_b32_e32 v3, 0
	v_mov_b32_e32 v4, v3
	;; [unrolled: 1-line block ×4, first 2 shown]
	ds_write_b128 v1, v[3:6]
                                        ; implicit-def: $vgpr1
.LBB127_8:
	s_andn2_saveexec_b32 s8, s8
	s_cbranch_execz .LBB127_10
; %bb.9:
	global_load_dwordx4 v[3:6], v[39:40], off
	s_waitcnt vmcnt(0)
	ds_write2_b64 v1, v[3:4], v[5:6] offset1:1
.LBB127_10:
	s_or_b32 exec_lo, exec_lo, s3
	s_load_dword s22, s[4:5], 0x28
	v_lshl_add_u32 v45, v2, 6, v0
	v_and_b32_e32 v1, 31, v0
	s_mul_i32 s3, s21, s7
	s_mul_hi_u32 s5, s20, s7
	s_mul_i32 s4, s20, s7
	v_lshrrev_b32_e32 v11, 5, v45
	s_add_i32 s5, s5, s3
	s_lshl_b64 s[4:5], s[4:5], 4
	s_add_u32 s3, s16, s4
	s_addc_u32 s8, s17, s5
	s_lshl_b64 s[4:5], s[18:19], 4
	s_add_u32 s3, s3, s4
	s_addc_u32 s8, s8, s5
	s_ashr_i32 s11, s10, 31
	s_lshl_b64 s[4:5], s[10:11], 4
	s_waitcnt lgkmcnt(0)
	v_mad_u64_u32 v[3:4], null, s22, v11, v[1:2]
	s_add_u32 s3, s3, s4
	s_mul_i32 s4, s22, s10
	s_addc_u32 s8, s8, s5
	s_ashr_i32 s5, s4, 31
	s_lshl_b64 s[16:17], s[4:5], 4
	v_ashrrev_i32_e32 v4, 31, v3
	s_cmp_lg_u32 s12, 0
	s_cselect_b32 s11, -1, 0
	s_cmp_eq_u32 s12, 0
	v_lshlrev_b64 v[41:42], 4, v[3:4]
	s_cselect_b32 s9, -1, 0
	v_add_co_u32 v3, vcc_lo, s3, v41
	v_add_co_ci_u32_e64 v4, null, s8, v42, vcc_lo
	v_add_co_u32 v7, vcc_lo, v3, s16
	v_add_co_ci_u32_e64 v8, null, s17, v4, vcc_lo
	s_and_b32 vcc_lo, exec_lo, s11
	s_cbranch_vccnz .LBB127_12
; %bb.11:
	s_lshl_b32 s2, s22, 3
	s_ashr_i32 s23, s22, 31
	s_ashr_i32 s3, s2, 31
	s_lshl_b64 s[2:3], s[2:3], 4
	v_add_co_u32 v9, vcc_lo, v7, s2
	v_add_co_ci_u32_e64 v10, null, s3, v8, vcc_lo
	s_lshl_b64 s[2:3], s[22:23], 7
	v_add_co_u32 v16, vcc_lo, v9, s2
	v_add_co_ci_u32_e64 v17, null, s3, v10, vcc_lo
	v_add_co_u32 v20, vcc_lo, v16, s2
	v_add_co_ci_u32_e64 v21, null, s3, v17, vcc_lo
	s_clause 0x3
	global_load_dwordx4 v[3:6], v[7:8], off
	global_load_dwordx4 v[12:15], v[9:10], off
	;; [unrolled: 1-line block ×4, first 2 shown]
	v_mul_u32_u24_e32 v9, 0x210, v11
	s_mov_b32 s2, 0
	v_lshl_add_u32 v9, v1, 4, v9
	v_add_nc_u32_e32 v25, 0x3180, v9
	v_add_nc_u32_e32 v10, 0x1080, v9
	;; [unrolled: 1-line block ×3, first 2 shown]
	s_waitcnt vmcnt(3)
	ds_write2_b64 v9, v[3:4], v[5:6] offset1:1
	s_waitcnt vmcnt(2)
	ds_write2_b64 v10, v[12:13], v[14:15] offset1:1
	;; [unrolled: 2-line block ×4, first 2 shown]
.LBB127_12:
	v_lshlrev_b32_e32 v12, 4, v1
	s_andn2_b32 vcc_lo, exec_lo, s2
	s_cbranch_vccnz .LBB127_30
; %bb.13:
	v_sub_co_u32 v3, vcc_lo, v7, v12
	s_ashr_i32 s13, s12, 31
	v_subrev_co_ci_u32_e64 v4, null, 0, v8, vcc_lo
	s_lshl_b64 s[4:5], s[12:13], 4
	v_cmp_le_i32_e64 s2, s12, v11
	v_add_co_u32 v3, vcc_lo, v3, s4
	v_add_co_ci_u32_e64 v4, null, s5, v4, vcc_lo
	v_mad_u32_u24 v5, 0x210, v11, v12
	v_add_co_u32 v3, vcc_lo, v3, -16
	v_add_co_ci_u32_e64 v4, null, -1, v4, vcc_lo
	v_cmp_gt_i32_e32 vcc_lo, s12, v1
	v_cndmask_b32_e32 v4, v4, v8, vcc_lo
	v_cndmask_b32_e32 v3, v3, v7, vcc_lo
	s_and_saveexec_b32 s3, s2
	s_xor_b32 s2, exec_lo, s3
	s_cbranch_execz .LBB127_15
; %bb.14:
	v_mov_b32_e32 v13, 0
	v_mov_b32_e32 v14, v13
	;; [unrolled: 1-line block ×4, first 2 shown]
	ds_write_b128 v5, v[13:16]
                                        ; implicit-def: $vgpr5
.LBB127_15:
	s_andn2_saveexec_b32 s2, s2
	s_cbranch_execz .LBB127_17
; %bb.16:
	global_load_dwordx4 v[13:16], v[3:4], off
	s_waitcnt vmcnt(0)
	ds_write2_b64 v5, v[13:14], v[15:16] offset1:1
.LBB127_17:
	s_or_b32 exec_lo, exec_lo, s2
	v_add_nc_u32_e32 v6, 8, v11
	v_mul_u32_u24_e32 v5, 0x210, v11
	v_cmp_le_i32_e64 s2, s12, v6
	s_and_saveexec_b32 s3, s2
	s_xor_b32 s2, exec_lo, s3
	s_cbranch_execz .LBB127_19
; %bb.18:
	v_mov_b32_e32 v13, 0
	v_add_nc_u32_e32 v6, v5, v12
	v_mov_b32_e32 v14, v13
	v_mov_b32_e32 v15, v13
	;; [unrolled: 1-line block ×3, first 2 shown]
	ds_write_b128 v6, v[13:16] offset:4224
.LBB127_19:
	s_andn2_saveexec_b32 s3, s2
	s_cbranch_execz .LBB127_21
; %bb.20:
	s_lshl_b32 s18, s22, 3
	v_add3_u32 v6, v5, v12, 0x1080
	s_ashr_i32 s19, s18, 31
	s_lshl_b64 s[18:19], s[18:19], 4
	v_add_co_u32 v9, s2, v3, s18
	v_add_co_ci_u32_e64 v10, null, s19, v4, s2
	global_load_dwordx4 v[13:16], v[9:10], off
	s_waitcnt vmcnt(0)
	ds_write2_b64 v6, v[13:14], v[15:16] offset1:1
.LBB127_21:
	s_or_b32 exec_lo, exec_lo, s3
	v_add_nc_u32_e32 v6, 16, v11
	v_cmp_le_i32_e64 s2, s12, v6
	s_and_saveexec_b32 s3, s2
	s_xor_b32 s2, exec_lo, s3
	s_cbranch_execz .LBB127_23
; %bb.22:
	v_mov_b32_e32 v13, 0
	v_add_nc_u32_e32 v6, v5, v12
	v_mov_b32_e32 v14, v13
	v_mov_b32_e32 v15, v13
	;; [unrolled: 1-line block ×3, first 2 shown]
	ds_write_b128 v6, v[13:16] offset:8448
.LBB127_23:
	s_andn2_saveexec_b32 s3, s2
	s_cbranch_execz .LBB127_25
; %bb.24:
	s_lshl_b32 s18, s22, 4
	v_add3_u32 v6, v5, v12, 0x2100
	s_ashr_i32 s19, s18, 31
	s_lshl_b64 s[18:19], s[18:19], 4
	v_add_co_u32 v9, s2, v3, s18
	v_add_co_ci_u32_e64 v10, null, s19, v4, s2
	global_load_dwordx4 v[13:16], v[9:10], off
	s_waitcnt vmcnt(0)
	ds_write2_b64 v6, v[13:14], v[15:16] offset1:1
.LBB127_25:
	s_or_b32 exec_lo, exec_lo, s3
	v_add_nc_u32_e32 v6, 24, v11
	v_cmp_le_i32_e64 s2, s12, v6
	s_and_saveexec_b32 s3, s2
	s_xor_b32 s2, exec_lo, s3
	s_cbranch_execz .LBB127_27
; %bb.26:
	v_mov_b32_e32 v13, 0
	v_add_nc_u32_e32 v5, v5, v12
	v_mov_b32_e32 v14, v13
	v_mov_b32_e32 v15, v13
	;; [unrolled: 1-line block ×3, first 2 shown]
	ds_write_b128 v5, v[13:16] offset:12672
                                        ; implicit-def: $vgpr5
.LBB127_27:
	s_andn2_saveexec_b32 s3, s2
	s_cbranch_execz .LBB127_29
; %bb.28:
	s_mul_i32 s18, s22, 24
	v_add3_u32 v5, v5, v12, 0x3180
	s_ashr_i32 s19, s18, 31
	s_lshl_b64 s[18:19], s[18:19], 4
	v_add_co_u32 v9, s2, v3, s18
	v_add_co_ci_u32_e64 v10, null, s19, v4, s2
	global_load_dwordx4 v[13:16], v[9:10], off
	s_waitcnt vmcnt(0)
	ds_write2_b64 v5, v[13:14], v[15:16] offset1:1
.LBB127_29:
	s_or_b32 exec_lo, exec_lo, s3
	v_add_co_u32 v3, s2, v3, v12
	v_add_co_ci_u32_e64 v4, null, 0, v4, s2
	v_sub_co_u32 v3, s2, v3, s4
	v_subrev_co_ci_u32_e64 v4, null, s5, v4, s2
	v_add_co_u32 v3, s2, v3, 16
	v_add_co_ci_u32_e64 v4, null, 0, v4, s2
	v_cndmask_b32_e32 v7, v3, v7, vcc_lo
	v_cndmask_b32_e32 v8, v4, v8, vcc_lo
.LBB127_30:
	v_lshlrev_b32_e32 v13, 2, v11
	v_lshl_or_b32 v4, v1, 9, v12
	v_mad_u32_u24 v14, 0x840, v11, v12
	s_waitcnt lgkmcnt(0)
	s_barrier
	v_cmp_lt_u32_e64 s3, v13, v1
	buffer_gl0_inv
	s_and_saveexec_b32 s2, s3
	s_cbranch_execz .LBB127_32
; %bb.31:
	ds_read_b128 v[15:18], v14
	v_lshl_add_u32 v3, v13, 4, v4
	s_waitcnt lgkmcnt(0)
	ds_write_b128 v3, v[15:18]
.LBB127_32:
	s_or_b32 exec_lo, exec_lo, s2
	v_or_b32_e32 v3, 1, v13
	v_cmp_lt_u32_e64 s4, v3, v1
	v_mad_u32_u24 v15, 0x210, v3, v12
	s_and_saveexec_b32 s2, s4
	s_cbranch_execz .LBB127_34
; %bb.33:
	ds_read_b128 v[16:19], v15
	v_lshl_add_u32 v3, v13, 4, v4
	s_waitcnt lgkmcnt(0)
	ds_write_b128 v3, v[16:19] offset:16
.LBB127_34:
	s_or_b32 exec_lo, exec_lo, s2
	v_or_b32_e32 v3, 2, v13
	v_cmp_lt_u32_e64 s5, v3, v1
	s_and_saveexec_b32 s2, s5
	s_cbranch_execz .LBB127_36
; %bb.35:
	v_mad_u32_u24 v3, 0x210, v3, v12
	ds_read_b128 v[16:19], v3
	v_lshl_add_u32 v3, v13, 4, v4
	s_waitcnt lgkmcnt(0)
	ds_write_b128 v3, v[16:19] offset:32
.LBB127_36:
	s_or_b32 exec_lo, exec_lo, s2
	v_or_b32_e32 v5, 3, v13
	s_mov_b32 s2, exec_lo
                                        ; implicit-def: $vgpr3
	v_cmp_lt_u32_e64 s8, v5, v1
	v_cmpx_ge_u32_e64 v5, v1
	s_xor_b32 s2, exec_lo, s2
; %bb.37:
	v_mul_u32_u24_e32 v3, 0x210, v5
                                        ; implicit-def: $vgpr4
                                        ; implicit-def: $vgpr5
; %bb.38:
	s_andn2_saveexec_b32 s2, s2
	s_cbranch_execz .LBB127_40
; %bb.39:
	v_mad_u32_u24 v3, 0x210, v5, v12
	v_lshl_add_u32 v4, v13, 4, v4
	ds_read_b128 v[16:19], v3
	v_mul_u32_u24_e32 v3, 0x210, v5
	s_waitcnt lgkmcnt(0)
	ds_write_b128 v4, v[16:19] offset:48
.LBB127_40:
	s_or_b32 exec_lo, exec_lo, s2
	v_lshlrev_b32_e32 v18, 4, v13
	s_waitcnt lgkmcnt(0)
	s_barrier
	buffer_gl0_inv
	ds_read_b128 v[19:22], v14
	ds_read_b128 v[23:26], v18 offset:18176
	v_add_nc_u32_e32 v16, v12, v3
	ds_read_b128 v[3:6], v15 offset:528
	ds_read_b128 v[27:30], v18 offset:18192
	ds_read_b128 v[31:34], v15
	ds_read_b128 v[35:38], v16
	ds_read_b128 v[46:49], v18 offset:18208
	v_cmp_gt_u32_e64 s2, 32, v45
	s_waitcnt lgkmcnt(5)
	v_mul_f64 v[9:10], v[25:26], v[21:22]
	v_mul_f64 v[21:22], v[23:24], v[21:22]
	s_waitcnt lgkmcnt(2)
	v_mul_f64 v[43:44], v[29:30], v[33:34]
	v_mul_f64 v[33:34], v[27:28], v[33:34]
	v_fma_f64 v[9:10], v[23:24], v[19:20], -v[9:10]
	v_fma_f64 v[23:24], v[25:26], v[19:20], v[21:22]
	ds_read_b128 v[19:22], v18 offset:18224
	s_waitcnt lgkmcnt(1)
	v_mul_f64 v[25:26], v[48:49], v[5:6]
	v_mul_f64 v[5:6], v[46:47], v[5:6]
	v_fma_f64 v[27:28], v[27:28], v[31:32], -v[43:44]
	v_fma_f64 v[29:30], v[29:30], v[31:32], v[33:34]
	s_waitcnt lgkmcnt(0)
	s_barrier
	buffer_gl0_inv
	v_mul_f64 v[31:32], v[21:22], v[37:38]
	v_add_f64 v[9:10], v[9:10], 0
	v_add_f64 v[23:24], v[23:24], 0
	v_mul_f64 v[33:34], v[19:20], v[37:38]
	v_fma_f64 v[25:26], v[46:47], v[3:4], -v[25:26]
	v_fma_f64 v[3:4], v[48:49], v[3:4], v[5:6]
	v_fma_f64 v[19:20], v[19:20], v[35:36], -v[31:32]
	v_add_f64 v[5:6], v[9:10], v[27:28]
	v_add_f64 v[9:10], v[23:24], v[29:30]
	v_fma_f64 v[21:22], v[21:22], v[35:36], v[33:34]
	v_add_f64 v[5:6], v[5:6], v[25:26]
	v_add_f64 v[3:4], v[9:10], v[3:4]
	;; [unrolled: 1-line block ×4, first 2 shown]
	v_mul_u32_u24_e32 v3, 33, v1
	v_mov_b32_e32 v5, 0
	v_mov_b32_e32 v6, 0
	v_lshlrev_b32_e32 v46, 4, v3
	v_mov_b32_e32 v3, 0
	v_mov_b32_e32 v4, 0
	v_lshl_add_u32 v47, v11, 4, v46
	ds_write_b128 v47, v[19:22]
	s_waitcnt lgkmcnt(0)
	s_barrier
	buffer_gl0_inv
	s_and_saveexec_b32 s13, s2
	s_cbranch_execz .LBB127_42
; %bb.41:
	ds_read_b128 v[3:6], v46
	ds_read_b128 v[19:22], v46 offset:16
	s_waitcnt lgkmcnt(0)
	v_add_f64 v[9:10], v[19:20], v[3:4]
	v_add_f64 v[23:24], v[21:22], v[5:6]
	ds_read_b128 v[3:6], v46 offset:32
	ds_read_b128 v[19:22], v46 offset:48
	s_waitcnt lgkmcnt(1)
	v_add_f64 v[3:4], v[9:10], v[3:4]
	v_add_f64 v[5:6], v[23:24], v[5:6]
	s_waitcnt lgkmcnt(0)
	v_add_f64 v[9:10], v[3:4], v[19:20]
	v_add_f64 v[23:24], v[5:6], v[21:22]
	ds_read_b128 v[3:6], v46 offset:64
	ds_read_b128 v[19:22], v46 offset:80
	s_waitcnt lgkmcnt(1)
	v_add_f64 v[3:4], v[9:10], v[3:4]
	v_add_f64 v[5:6], v[23:24], v[5:6]
	;; [unrolled: 8-line block ×3, first 2 shown]
	s_waitcnt lgkmcnt(0)
	v_add_f64 v[3:4], v[3:4], v[19:20]
	v_add_f64 v[5:6], v[5:6], v[21:22]
.LBB127_42:
	s_or_b32 exec_lo, exec_lo, s13
	s_lshl_b32 s18, s22, 5
	v_cndmask_b32_e64 v17, 0, 1, s9
	s_ashr_i32 s19, s18, 31
	s_lshl_b64 s[18:19], s[18:19], 4
	s_barrier
	v_add_co_u32 v9, vcc_lo, v7, s18
	v_add_co_ci_u32_e64 v10, null, s19, v8, vcc_lo
	buffer_gl0_inv
	v_add_co_u32 v7, vcc_lo, 0x200, v9
	v_add_co_ci_u32_e64 v8, null, 0, v10, vcc_lo
	s_andn2_b32 vcc_lo, exec_lo, s9
	s_mov_b32 s9, -1
	s_cbranch_vccnz .LBB127_44
; %bb.43:
	s_lshl_b32 s20, s22, 3
	s_ashr_i32 s23, s22, 31
	s_ashr_i32 s21, s20, 31
	v_mad_u32_u24 v35, 0x210, v11, v12
	s_lshl_b64 s[20:21], s[20:21], 4
	s_mov_b32 s9, 0
	v_add_co_u32 v23, vcc_lo, v9, s20
	v_add_co_ci_u32_e64 v24, null, s21, v10, vcc_lo
	s_lshl_b64 s[20:21], s[22:23], 7
	v_add_nc_u32_e32 v38, 0x3180, v35
	v_add_co_u32 v27, vcc_lo, v23, s20
	v_add_co_ci_u32_e64 v28, null, s21, v24, vcc_lo
	v_add_nc_u32_e32 v36, 0x1080, v35
	v_add_co_u32 v31, vcc_lo, v27, s20
	v_add_co_ci_u32_e64 v32, null, s21, v28, vcc_lo
	s_clause 0x3
	global_load_dwordx4 v[19:22], v[7:8], off
	global_load_dwordx4 v[23:26], v[23:24], off offset:512
	global_load_dwordx4 v[27:30], v[27:28], off offset:512
	;; [unrolled: 1-line block ×3, first 2 shown]
	v_add_nc_u32_e32 v37, 0x2100, v35
	s_waitcnt vmcnt(3)
	ds_write2_b64 v35, v[19:20], v[21:22] offset1:1
	s_waitcnt vmcnt(2)
	ds_write2_b64 v36, v[23:24], v[25:26] offset1:1
	s_waitcnt vmcnt(1)
	ds_write2_b64 v37, v[27:28], v[29:30] offset1:1
	s_waitcnt vmcnt(0)
	ds_write2_b64 v38, v[31:32], v[33:34] offset1:1
.LBB127_44:
	s_andn2_b32 vcc_lo, exec_lo, s9
	s_cbranch_vccnz .LBB127_62
; %bb.45:
	v_sub_co_u32 v9, vcc_lo, v9, v12
	s_ashr_i32 s13, s12, 31
	v_subrev_co_ci_u32_e64 v10, null, 0, v10, vcc_lo
	s_lshl_b64 s[20:21], s[12:13], 4
	v_or_b32_e32 v19, 32, v1
	v_add_co_u32 v9, vcc_lo, v9, s20
	v_add_co_ci_u32_e64 v10, null, s21, v10, vcc_lo
	s_sub_i32 s13, s12, 32
	v_add_co_u32 v9, vcc_lo, v9, -16
	v_add_co_ci_u32_e64 v10, null, -1, v10, vcc_lo
	v_cmp_gt_i32_e32 vcc_lo, s12, v19
	v_cmp_le_i32_e64 s9, s13, v11
	v_mad_u32_u24 v19, 0x210, v11, v12
	v_cndmask_b32_e32 v10, v10, v8, vcc_lo
	v_cndmask_b32_e32 v9, v9, v7, vcc_lo
	s_and_saveexec_b32 s23, s9
	s_xor_b32 s9, exec_lo, s23
	s_cbranch_execz .LBB127_47
; %bb.46:
	v_mov_b32_e32 v20, 0
	v_mov_b32_e32 v21, v20
	;; [unrolled: 1-line block ×4, first 2 shown]
	ds_write_b128 v19, v[20:23]
                                        ; implicit-def: $vgpr19
.LBB127_47:
	s_andn2_saveexec_b32 s9, s9
	s_cbranch_execz .LBB127_49
; %bb.48:
	global_load_dwordx4 v[20:23], v[9:10], off
	s_waitcnt vmcnt(0)
	ds_write2_b64 v19, v[20:21], v[22:23] offset1:1
.LBB127_49:
	s_or_b32 exec_lo, exec_lo, s9
	v_add_nc_u32_e32 v20, 8, v11
	v_mul_u32_u24_e32 v19, 0x210, v11
	v_cmp_le_i32_e64 s9, s13, v20
	s_and_saveexec_b32 s23, s9
	s_xor_b32 s9, exec_lo, s23
	s_cbranch_execz .LBB127_51
; %bb.50:
	v_mov_b32_e32 v20, 0
	v_add_nc_u32_e32 v24, v19, v12
	v_mov_b32_e32 v21, v20
	v_mov_b32_e32 v22, v20
	;; [unrolled: 1-line block ×3, first 2 shown]
	ds_write_b128 v24, v[20:23] offset:4224
.LBB127_51:
	s_andn2_saveexec_b32 s23, s9
	s_cbranch_execz .LBB127_53
; %bb.52:
	s_lshl_b32 s28, s22, 3
	v_add3_u32 v24, v19, v12, 0x1080
	s_ashr_i32 s29, s28, 31
	s_lshl_b64 s[28:29], s[28:29], 4
	v_add_co_u32 v20, s9, v9, s28
	v_add_co_ci_u32_e64 v21, null, s29, v10, s9
	global_load_dwordx4 v[20:23], v[20:21], off
	s_waitcnt vmcnt(0)
	ds_write2_b64 v24, v[20:21], v[22:23] offset1:1
.LBB127_53:
	s_or_b32 exec_lo, exec_lo, s23
	v_add_nc_u32_e32 v20, 16, v11
	v_cmp_le_i32_e64 s9, s13, v20
	s_and_saveexec_b32 s23, s9
	s_xor_b32 s9, exec_lo, s23
	s_cbranch_execz .LBB127_55
; %bb.54:
	v_mov_b32_e32 v20, 0
	v_add_nc_u32_e32 v24, v19, v12
	v_mov_b32_e32 v21, v20
	v_mov_b32_e32 v22, v20
	;; [unrolled: 1-line block ×3, first 2 shown]
	ds_write_b128 v24, v[20:23] offset:8448
.LBB127_55:
	s_andn2_saveexec_b32 s23, s9
	s_cbranch_execz .LBB127_57
; %bb.56:
	s_lshl_b32 s28, s22, 4
	v_add3_u32 v24, v19, v12, 0x2100
	s_ashr_i32 s29, s28, 31
	s_lshl_b64 s[28:29], s[28:29], 4
	v_add_co_u32 v20, s9, v9, s28
	v_add_co_ci_u32_e64 v21, null, s29, v10, s9
	global_load_dwordx4 v[20:23], v[20:21], off
	s_waitcnt vmcnt(0)
	ds_write2_b64 v24, v[20:21], v[22:23] offset1:1
.LBB127_57:
	s_or_b32 exec_lo, exec_lo, s23
	v_add_nc_u32_e32 v20, 24, v11
	v_cmp_le_i32_e64 s9, s13, v20
	s_and_saveexec_b32 s13, s9
	s_xor_b32 s9, exec_lo, s13
	s_cbranch_execz .LBB127_59
; %bb.58:
	v_mov_b32_e32 v20, 0
	v_add_nc_u32_e32 v19, v19, v12
	v_mov_b32_e32 v21, v20
	v_mov_b32_e32 v22, v20
	;; [unrolled: 1-line block ×3, first 2 shown]
	ds_write_b128 v19, v[20:23] offset:12672
                                        ; implicit-def: $vgpr19
.LBB127_59:
	s_andn2_saveexec_b32 s13, s9
	s_cbranch_execz .LBB127_61
; %bb.60:
	s_mul_i32 s28, s22, 24
	v_add3_u32 v19, v19, v12, 0x3180
	s_ashr_i32 s29, s28, 31
	s_lshl_b64 s[28:29], s[28:29], 4
	v_add_co_u32 v20, s9, v9, s28
	v_add_co_ci_u32_e64 v21, null, s29, v10, s9
	global_load_dwordx4 v[20:23], v[20:21], off
	s_waitcnt vmcnt(0)
	ds_write2_b64 v19, v[20:21], v[22:23] offset1:1
.LBB127_61:
	s_or_b32 exec_lo, exec_lo, s13
	v_add_co_u32 v9, s9, v9, v12
	v_add_co_ci_u32_e64 v10, null, 0, v10, s9
	v_sub_co_u32 v9, s9, v9, s20
	v_subrev_co_ci_u32_e64 v10, null, s21, v10, s9
	v_add_co_u32 v9, s9, 0x210, v9
	v_add_co_ci_u32_e64 v10, null, 0, v10, s9
	v_cndmask_b32_e32 v7, v9, v7, vcc_lo
	v_cndmask_b32_e32 v8, v10, v8, vcc_lo
.LBB127_62:
	v_add_nc_u32_e32 v9, 0x4700, v18
	v_add_nc_u32_e32 v10, 0x210, v15
	s_waitcnt lgkmcnt(0)
	s_barrier
	buffer_gl0_inv
	s_and_saveexec_b32 s9, s3
	s_cbranch_execnz .LBB127_71
; %bb.63:
	s_or_b32 exec_lo, exec_lo, s9
	s_and_saveexec_b32 s3, s4
	s_cbranch_execnz .LBB127_72
.LBB127_64:
	s_or_b32 exec_lo, exec_lo, s3
	s_and_saveexec_b32 s3, s5
	s_cbranch_execnz .LBB127_73
.LBB127_65:
	s_or_b32 exec_lo, exec_lo, s3
	s_and_saveexec_b32 s3, s8
	s_cbranch_execz .LBB127_67
.LBB127_66:
	ds_read_b128 v[18:21], v16
	v_lshl_add_u32 v22, v13, 4, v46
	s_waitcnt lgkmcnt(0)
	ds_write_b128 v22, v[18:21] offset:48
.LBB127_67:
	s_or_b32 exec_lo, exec_lo, s3
	s_waitcnt lgkmcnt(0)
	s_barrier
	buffer_gl0_inv
	ds_read_b128 v[18:21], v14
	ds_read_b128 v[22:25], v9 offset:512
	ds_read_b128 v[26:29], v9 offset:528
	ds_read_b128 v[30:33], v15
	ds_read_b128 v[34:37], v9 offset:544
	ds_read_b128 v[48:51], v10
	v_cmp_eq_u32_e64 s3, 1, v11
	s_waitcnt lgkmcnt(4)
	v_mul_f64 v[14:15], v[24:25], v[20:21]
	v_mul_f64 v[20:21], v[22:23], v[20:21]
	s_waitcnt lgkmcnt(2)
	v_mul_f64 v[43:44], v[28:29], v[32:33]
	v_mul_f64 v[32:33], v[26:27], v[32:33]
	;; [unrolled: 3-line block ×3, first 2 shown]
	v_fma_f64 v[14:15], v[22:23], v[18:19], -v[14:15]
	v_fma_f64 v[52:53], v[24:25], v[18:19], v[20:21]
	v_fma_f64 v[26:27], v[26:27], v[30:31], -v[43:44]
	v_fma_f64 v[28:29], v[28:29], v[30:31], v[32:33]
	ds_read_b128 v[18:21], v9 offset:560
	ds_read_b128 v[22:25], v16
	v_fma_f64 v[34:35], v[34:35], v[48:49], -v[54:55]
	v_fma_f64 v[36:37], v[36:37], v[48:49], v[50:51]
	s_waitcnt lgkmcnt(0)
	s_barrier
	buffer_gl0_inv
	v_add_f64 v[14:15], v[14:15], 0
	v_add_f64 v[30:31], v[52:53], 0
	v_mul_f64 v[32:33], v[20:21], v[24:25]
	v_mul_f64 v[24:25], v[18:19], v[24:25]
	v_add_f64 v[14:15], v[14:15], v[26:27]
	v_add_f64 v[26:27], v[30:31], v[28:29]
	v_fma_f64 v[18:19], v[18:19], v[22:23], -v[32:33]
	v_fma_f64 v[20:21], v[20:21], v[22:23], v[24:25]
	v_add_f64 v[14:15], v[14:15], v[34:35]
	v_add_f64 v[22:23], v[26:27], v[36:37]
	;; [unrolled: 1-line block ×4, first 2 shown]
	ds_write_b128 v47, v[18:21]
	s_waitcnt lgkmcnt(0)
	s_barrier
	buffer_gl0_inv
	s_and_saveexec_b32 s4, s3
	s_cbranch_execz .LBB127_69
; %bb.68:
	ds_read_b128 v[3:6], v46
	ds_read_b128 v[18:21], v46 offset:16
	s_waitcnt lgkmcnt(0)
	v_add_f64 v[14:15], v[18:19], v[3:4]
	v_add_f64 v[22:23], v[20:21], v[5:6]
	ds_read_b128 v[3:6], v46 offset:32
	ds_read_b128 v[18:21], v46 offset:48
	s_waitcnt lgkmcnt(1)
	v_add_f64 v[3:4], v[14:15], v[3:4]
	v_add_f64 v[5:6], v[22:23], v[5:6]
	s_waitcnt lgkmcnt(0)
	v_add_f64 v[14:15], v[3:4], v[18:19]
	v_add_f64 v[22:23], v[5:6], v[20:21]
	ds_read_b128 v[3:6], v46 offset:64
	ds_read_b128 v[18:21], v46 offset:80
	s_waitcnt lgkmcnt(1)
	v_add_f64 v[3:4], v[14:15], v[3:4]
	v_add_f64 v[5:6], v[22:23], v[5:6]
	;; [unrolled: 8-line block ×3, first 2 shown]
	s_waitcnt lgkmcnt(0)
	v_add_f64 v[3:4], v[3:4], v[18:19]
	v_add_f64 v[5:6], v[5:6], v[20:21]
.LBB127_69:
	s_or_b32 exec_lo, exec_lo, s4
	v_cmp_ne_u32_e32 vcc_lo, 1, v17
	v_sub_co_u32 v43, s4, v7, s18
	v_subrev_co_ci_u32_e64 v44, null, s19, v8, s4
	s_barrier
	buffer_gl0_inv
	s_cbranch_vccnz .LBB127_74
; %bb.70:
	s_lshl_b32 s4, s22, 3
	s_ashr_i32 s23, s22, 31
	s_ashr_i32 s5, s4, 31
	global_load_dwordx4 v[16:19], v[43:44], off
	s_lshl_b64 s[4:5], s[4:5], 4
	v_mad_u32_u24 v10, 0x210, v11, v12
	v_add_co_u32 v7, vcc_lo, v43, s4
	v_add_co_ci_u32_e64 v8, null, s5, v44, vcc_lo
	s_lshl_b64 s[4:5], s[22:23], 7
	v_add_co_u32 v14, vcc_lo, v7, s4
	v_add_co_ci_u32_e64 v15, null, s5, v8, vcc_lo
	v_add_co_u32 v28, vcc_lo, v14, s4
	v_add_co_ci_u32_e64 v29, null, s5, v15, vcc_lo
	s_clause 0x2
	global_load_dwordx4 v[20:23], v[7:8], off
	global_load_dwordx4 v[24:27], v[14:15], off
	global_load_dwordx4 v[28:31], v[28:29], off
	s_movk_i32 s4, 0x1080
	s_movk_i32 s5, 0x2100
	v_mad_u32_u24 v8, 0x210, v11, s4
	s_movk_i32 s4, 0x3180
	v_mad_u32_u24 v7, 0x210, v11, s5
	v_mul_u32_u24_e32 v15, 0x210, v11
	v_add_nc_u32_e32 v14, 8, v11
	s_waitcnt vmcnt(3)
	ds_write2_b64 v10, v[16:17], v[18:19] offset1:1
	v_mad_u32_u24 v17, 0x210, v11, s4
	v_add_nc_u32_e32 v18, v12, v8
	v_add_nc_u32_e32 v10, 16, v11
	;; [unrolled: 1-line block ×5, first 2 shown]
	s_waitcnt vmcnt(2)
	ds_write2_b64 v18, v[20:21], v[22:23] offset1:1
	s_waitcnt vmcnt(1)
	ds_write2_b64 v19, v[24:25], v[26:27] offset1:1
	;; [unrolled: 2-line block ×3, first 2 shown]
	s_cbranch_execz .LBB127_75
	s_branch .LBB127_92
.LBB127_71:
	ds_read_b128 v[18:21], v14
	v_lshl_add_u32 v22, v13, 4, v46
	s_waitcnt lgkmcnt(0)
	ds_write_b128 v22, v[18:21]
	s_or_b32 exec_lo, exec_lo, s9
	s_and_saveexec_b32 s3, s4
	s_cbranch_execz .LBB127_64
.LBB127_72:
	ds_read_b128 v[18:21], v15
	v_lshl_add_u32 v22, v13, 4, v46
	s_waitcnt lgkmcnt(0)
	ds_write_b128 v22, v[18:21] offset:16
	s_or_b32 exec_lo, exec_lo, s3
	s_and_saveexec_b32 s3, s5
	s_cbranch_execz .LBB127_65
.LBB127_73:
	ds_read_b128 v[18:21], v10
	v_lshl_add_u32 v22, v13, 4, v46
	s_waitcnt lgkmcnt(0)
	ds_write_b128 v22, v[18:21] offset:32
	s_or_b32 exec_lo, exec_lo, s3
	s_and_saveexec_b32 s3, s8
	s_cbranch_execnz .LBB127_66
	s_branch .LBB127_67
.LBB127_74:
                                        ; implicit-def: $vgpr15
                                        ; implicit-def: $vgpr14
                                        ; implicit-def: $vgpr8
                                        ; implicit-def: $vgpr10
                                        ; implicit-def: $vgpr7
                                        ; implicit-def: $vgpr16
                                        ; implicit-def: $vgpr17
.LBB127_75:
	v_sub_co_u32 v7, vcc_lo, v43, v12
	s_ashr_i32 s13, s12, 31
	v_subrev_co_ci_u32_e64 v8, null, 0, v44, vcc_lo
	s_lshl_b64 s[8:9], s[12:13], 4
	v_or_b32_e32 v1, 32, v1
	v_add_co_u32 v7, vcc_lo, v7, s8
	v_add_co_ci_u32_e64 v8, null, s9, v8, vcc_lo
	v_cmp_le_i32_e64 s4, s12, v11
	v_add_co_u32 v7, vcc_lo, 0xfffffdf0, v7
	v_add_co_ci_u32_e64 v8, null, -1, v8, vcc_lo
	v_cmp_gt_i32_e32 vcc_lo, s12, v1
	v_mad_u32_u24 v1, 0x210, v11, v12
	v_cndmask_b32_e32 v8, v8, v44, vcc_lo
	v_cndmask_b32_e32 v7, v7, v43, vcc_lo
	s_and_saveexec_b32 s5, s4
	s_xor_b32 s4, exec_lo, s5
	s_cbranch_execz .LBB127_77
; %bb.76:
	v_mov_b32_e32 v14, 0
	v_mov_b32_e32 v15, v14
	;; [unrolled: 1-line block ×4, first 2 shown]
	ds_write_b128 v1, v[14:17]
                                        ; implicit-def: $vgpr1
.LBB127_77:
	s_andn2_saveexec_b32 s4, s4
	s_cbranch_execz .LBB127_79
; %bb.78:
	global_load_dwordx4 v[14:17], v[7:8], off
	s_waitcnt vmcnt(0)
	ds_write2_b64 v1, v[14:15], v[16:17] offset1:1
.LBB127_79:
	s_or_b32 exec_lo, exec_lo, s4
	v_add_nc_u32_e32 v14, 8, v11
	v_mul_u32_u24_e32 v15, 0x210, v11
	v_cmp_le_i32_e64 s4, s12, v14
	s_and_saveexec_b32 s5, s4
	s_xor_b32 s4, exec_lo, s5
	s_cbranch_execz .LBB127_81
; %bb.80:
	v_mov_b32_e32 v16, 0
	v_add_nc_u32_e32 v1, v15, v12
	v_mov_b32_e32 v17, v16
	v_mov_b32_e32 v18, v16
	;; [unrolled: 1-line block ×3, first 2 shown]
	ds_write_b128 v1, v[16:19] offset:4224
.LBB127_81:
	s_andn2_saveexec_b32 s5, s4
	s_cbranch_execz .LBB127_83
; %bb.82:
	s_lshl_b32 s18, s22, 3
	v_add3_u32 v1, v15, v12, 0x1080
	s_ashr_i32 s19, s18, 31
	s_lshl_b64 s[18:19], s[18:19], 4
	v_add_co_u32 v16, s4, v7, s18
	v_add_co_ci_u32_e64 v17, null, s19, v8, s4
	global_load_dwordx4 v[16:19], v[16:17], off
	s_waitcnt vmcnt(0)
	ds_write2_b64 v1, v[16:17], v[18:19] offset1:1
.LBB127_83:
	s_or_b32 exec_lo, exec_lo, s5
	v_add_nc_u32_e32 v10, 16, v11
	v_cmp_le_i32_e64 s4, s12, v10
	s_and_saveexec_b32 s5, s4
	s_xor_b32 s4, exec_lo, s5
	s_cbranch_execz .LBB127_85
; %bb.84:
	v_mov_b32_e32 v16, 0
	v_add_nc_u32_e32 v1, v15, v12
	v_mov_b32_e32 v17, v16
	v_mov_b32_e32 v18, v16
	;; [unrolled: 1-line block ×3, first 2 shown]
	ds_write_b128 v1, v[16:19] offset:8448
.LBB127_85:
	s_andn2_saveexec_b32 s5, s4
	s_cbranch_execz .LBB127_87
; %bb.86:
	s_lshl_b32 s18, s22, 4
	v_add3_u32 v1, v15, v12, 0x2100
	s_ashr_i32 s19, s18, 31
	s_lshl_b64 s[18:19], s[18:19], 4
	v_add_co_u32 v16, s4, v7, s18
	v_add_co_ci_u32_e64 v17, null, s19, v8, s4
	global_load_dwordx4 v[16:19], v[16:17], off
	s_waitcnt vmcnt(0)
	ds_write2_b64 v1, v[16:17], v[18:19] offset1:1
.LBB127_87:
	s_or_b32 exec_lo, exec_lo, s5
	v_add_nc_u32_e32 v16, 24, v11
                                        ; implicit-def: $vgpr17
	v_cmp_le_i32_e64 s4, s12, v16
	s_and_saveexec_b32 s5, s4
	s_xor_b32 s4, exec_lo, s5
	s_cbranch_execz .LBB127_89
; %bb.88:
	v_add_nc_u32_e32 v17, 0x3180, v15
	v_mov_b32_e32 v18, 0
	v_add_nc_u32_e32 v1, v12, v17
	v_mov_b32_e32 v19, v18
	v_mov_b32_e32 v20, v18
	;; [unrolled: 1-line block ×3, first 2 shown]
	ds_write_b128 v1, v[18:21]
.LBB127_89:
	s_andn2_saveexec_b32 s5, s4
	s_cbranch_execz .LBB127_91
; %bb.90:
	s_mul_i32 s18, s22, 24
	s_ashr_i32 s19, s18, 31
	s_lshl_b64 s[18:19], s[18:19], 4
	v_add_co_u32 v17, s4, v7, s18
	v_add_co_ci_u32_e64 v18, null, s19, v8, s4
	global_load_dwordx4 v[18:21], v[17:18], off
	v_add_nc_u32_e32 v17, 0x3180, v15
	v_add_nc_u32_e32 v1, v12, v17
	s_waitcnt vmcnt(0)
	ds_write2_b64 v1, v[18:19], v[20:21] offset1:1
.LBB127_91:
	s_or_b32 exec_lo, exec_lo, s5
	v_add_co_u32 v1, s4, v7, v12
	v_add_co_ci_u32_e64 v7, null, 0, v8, s4
	v_add_nc_u32_e32 v8, 0x1080, v15
	v_sub_co_u32 v1, s4, v1, s8
	v_subrev_co_ci_u32_e64 v7, null, s9, v7, s4
	v_add_co_u32 v1, s4, 0x210, v1
	v_add_co_ci_u32_e64 v7, null, 0, v7, s4
	v_cndmask_b32_e32 v43, v1, v43, vcc_lo
	v_cndmask_b32_e32 v44, v7, v44, vcc_lo
	v_add_nc_u32_e32 v7, 0x2100, v15
.LBB127_92:
	v_lshlrev_b32_e32 v1, 4, v11
	v_add_nc_u32_e32 v11, v12, v15
	s_waitcnt lgkmcnt(0)
	s_barrier
	buffer_gl0_inv
	ds_read_b128 v[18:21], v1 offset:18176
	ds_read_b128 v[22:25], v11
	v_lshlrev_b32_e32 v1, 4, v14
	v_add_nc_u32_e32 v8, v12, v8
	v_add_nc_u32_e32 v7, v12, v7
	v_add_nc_u32_e32 v12, v12, v17
	ds_read_b128 v[26:29], v1 offset:18176
	ds_read_b128 v[30:33], v8
	v_lshlrev_b32_e32 v1, 4, v10
	ds_read_b128 v[34:37], v1 offset:18176
	ds_read_b128 v[48:51], v7
	v_lshlrev_b32_e32 v1, 4, v16
	s_waitcnt lgkmcnt(4)
	v_mul_f64 v[14:15], v[20:21], v[24:25]
	v_mul_f64 v[24:25], v[18:19], v[24:25]
	s_waitcnt lgkmcnt(2)
	v_mul_f64 v[7:8], v[28:29], v[32:33]
	v_mul_f64 v[10:11], v[26:27], v[32:33]
	v_fma_f64 v[32:33], v[18:19], v[22:23], -v[14:15]
	v_fma_f64 v[22:23], v[20:21], v[22:23], v[24:25]
	s_waitcnt lgkmcnt(0)
	v_mul_f64 v[24:25], v[36:37], v[50:51]
	v_mul_f64 v[50:51], v[34:35], v[50:51]
	ds_read_b128 v[14:17], v1 offset:18176
	ds_read2_b64 v[18:21], v12 offset1:1
	v_lshl_add_u32 v1, v13, 4, v46
	v_fma_f64 v[7:8], v[26:27], v[30:31], -v[7:8]
	v_fma_f64 v[10:11], v[28:29], v[30:31], v[10:11]
	v_add_f64 v[26:27], v[32:33], 0
	v_add_f64 v[22:23], v[22:23], 0
	s_waitcnt lgkmcnt(0)
	v_mul_f64 v[28:29], v[16:17], v[20:21]
	v_mul_f64 v[20:21], v[14:15], v[20:21]
	v_fma_f64 v[24:25], v[34:35], v[48:49], -v[24:25]
	v_fma_f64 v[30:31], v[36:37], v[48:49], v[50:51]
	v_add_f64 v[7:8], v[26:27], v[7:8]
	v_add_f64 v[10:11], v[22:23], v[10:11]
	v_fma_f64 v[14:15], v[14:15], v[18:19], -v[28:29]
	v_fma_f64 v[16:17], v[16:17], v[18:19], v[20:21]
	v_add_f64 v[7:8], v[7:8], v[24:25]
	v_add_f64 v[10:11], v[10:11], v[30:31]
	ds_read_b128 v[31:34], v9 offset:512
	ds_read_b128 v[23:26], v9 offset:528
	v_add_f64 v[48:49], v[7:8], v[14:15]
	v_add_f64 v[50:51], v[10:11], v[16:17]
	ds_read_b128 v[11:14], v9 offset:544
	ds_read_b128 v[7:10], v9 offset:560
	ds_read_b128 v[35:38], v1
	ds_read_b128 v[27:30], v1 offset:16
	ds_read_b128 v[19:22], v1 offset:32
	;; [unrolled: 1-line block ×3, first 2 shown]
	s_waitcnt lgkmcnt(0)
	s_barrier
	buffer_gl0_inv
	ds_write_b128 v47, v[48:51]
	s_waitcnt lgkmcnt(0)
	s_barrier
	buffer_gl0_inv
	s_and_saveexec_b32 s4, s3
	s_cbranch_execz .LBB127_94
; %bb.93:
	ds_read_b128 v[48:51], v46
	ds_read_b128 v[52:55], v46 offset:16
	s_waitcnt lgkmcnt(1)
	v_add_f64 v[3:4], v[3:4], v[48:49]
	v_add_f64 v[5:6], v[5:6], v[50:51]
	s_waitcnt lgkmcnt(0)
	v_add_f64 v[52:53], v[3:4], v[52:53]
	v_add_f64 v[54:55], v[5:6], v[54:55]
	ds_read_b128 v[3:6], v46 offset:32
	ds_read_b128 v[48:51], v46 offset:48
	s_waitcnt lgkmcnt(1)
	v_add_f64 v[3:4], v[52:53], v[3:4]
	v_add_f64 v[5:6], v[54:55], v[5:6]
	s_waitcnt lgkmcnt(0)
	v_add_f64 v[52:53], v[3:4], v[48:49]
	v_add_f64 v[54:55], v[5:6], v[50:51]
	ds_read_b128 v[3:6], v46 offset:64
	;; [unrolled: 8-line block ×3, first 2 shown]
	ds_read_b128 v[48:51], v46 offset:112
	s_waitcnt lgkmcnt(1)
	v_add_f64 v[3:4], v[52:53], v[3:4]
	v_add_f64 v[5:6], v[54:55], v[5:6]
	s_waitcnt lgkmcnt(0)
	v_add_f64 v[3:4], v[3:4], v[48:49]
	v_add_f64 v[5:6], v[5:6], v[50:51]
.LBB127_94:
	s_or_b32 exec_lo, exec_lo, s4
	v_mul_f64 v[48:49], v[37:38], v[33:34]
	v_mul_f64 v[33:34], v[35:36], v[33:34]
	;; [unrolled: 1-line block ×4, first 2 shown]
	s_barrier
	buffer_gl0_inv
	v_fma_f64 v[35:36], v[35:36], v[31:32], -v[48:49]
	v_fma_f64 v[31:32], v[37:38], v[31:32], v[33:34]
	v_mul_f64 v[33:34], v[21:22], v[13:14]
	v_mul_f64 v[13:14], v[19:20], v[13:14]
	v_fma_f64 v[27:28], v[27:28], v[23:24], -v[50:51]
	v_fma_f64 v[23:24], v[29:30], v[23:24], v[25:26]
	v_add_f64 v[25:26], v[35:36], 0
	v_add_f64 v[29:30], v[31:32], 0
	v_mul_f64 v[31:32], v[17:18], v[9:10]
	v_mul_f64 v[9:10], v[15:16], v[9:10]
	v_fma_f64 v[19:20], v[19:20], v[11:12], -v[33:34]
	v_fma_f64 v[11:12], v[21:22], v[11:12], v[13:14]
	v_add_f64 v[13:14], v[25:26], v[27:28]
	v_add_f64 v[21:22], v[29:30], v[23:24]
	v_fma_f64 v[15:16], v[15:16], v[7:8], -v[31:32]
	v_fma_f64 v[9:10], v[17:18], v[7:8], v[9:10]
	v_add_f64 v[7:8], v[13:14], v[19:20]
	v_add_f64 v[11:12], v[21:22], v[11:12]
	;; [unrolled: 1-line block ×4, first 2 shown]
	ds_write_b128 v47, v[7:10]
	s_waitcnt lgkmcnt(0)
	s_barrier
	buffer_gl0_inv
	s_and_saveexec_b32 s3, s2
	s_cbranch_execz .LBB127_96
; %bb.95:
	ds_read_b128 v[7:10], v46
	ds_read_b128 v[11:14], v46 offset:16
	s_waitcnt lgkmcnt(1)
	v_add_f64 v[3:4], v[3:4], v[7:8]
	v_add_f64 v[5:6], v[5:6], v[9:10]
	s_waitcnt lgkmcnt(0)
	v_add_f64 v[11:12], v[3:4], v[11:12]
	v_add_f64 v[13:14], v[5:6], v[13:14]
	ds_read_b128 v[3:6], v46 offset:32
	ds_read_b128 v[7:10], v46 offset:48
	s_waitcnt lgkmcnt(1)
	v_add_f64 v[3:4], v[11:12], v[3:4]
	v_add_f64 v[5:6], v[13:14], v[5:6]
	s_waitcnt lgkmcnt(0)
	v_add_f64 v[11:12], v[3:4], v[7:8]
	v_add_f64 v[13:14], v[5:6], v[9:10]
	ds_read_b128 v[3:6], v46 offset:64
	;; [unrolled: 8-line block ×3, first 2 shown]
	ds_read_b128 v[7:10], v46 offset:112
	s_waitcnt lgkmcnt(1)
	v_add_f64 v[3:4], v[11:12], v[3:4]
	v_add_f64 v[5:6], v[13:14], v[5:6]
	s_waitcnt lgkmcnt(0)
	v_add_f64 v[3:4], v[3:4], v[7:8]
	v_add_f64 v[5:6], v[5:6], v[9:10]
.LBB127_96:
	s_or_b32 exec_lo, exec_lo, s3
	s_mul_hi_u32 s2, s25, s7
	s_mul_i32 s27, s27, s7
	s_mul_i32 s3, s25, s7
	s_add_i32 s2, s2, s27
	s_mul_hi_u32 s5, s3, s26
	s_mul_i32 s4, s2, s26
	s_mul_i32 s2, s3, s26
	s_add_i32 s3, s5, s4
	s_mul_i32 s4, s25, s6
	s_lshl_b64 s[2:3], s[2:3], 4
	v_cmp_le_i32_e32 vcc_lo, s12, v0
	s_add_u32 s7, s14, s2
	s_addc_u32 s8, s15, s3
	s_ashr_i32 s5, s4, 31
	v_lshlrev_b32_e32 v142, 4, v0
	s_lshl_b64 s[2:3], s[4:5], 4
	s_add_u32 s7, s7, s2
	s_addc_u32 s14, s8, s3
	s_and_b32 vcc_lo, s11, vcc_lo
	s_cmp_lt_i32 s6, 1
	s_barrier
	buffer_gl0_inv
	s_cbranch_scc1 .LBB127_103
; %bb.97:
	v_mul_lo_u32 v1, v2, s22
	v_sub_co_u32 v11, s2, v43, s16
	v_subrev_co_ci_u32_e64 v12, null, s17, v44, s2
	s_ashr_i32 s13, s12, 31
	v_sub_co_u32 v11, s2, v11, v41
	v_lshl_add_u32 v7, v1, 2, v0
	v_sub_co_ci_u32_e64 v12, null, v12, v42, s2
	s_lshl_b64 s[8:9], s[12:13], 4
	v_lshrrev_b32_e32 v9, 4, v45
	v_ashrrev_i32_e32 v8, 31, v7
	v_and_b32_e32 v10, 15, v0
	s_mul_i32 s4, s24, s10
	v_mov_b32_e32 v1, 0
	s_ashr_i32 s5, s4, 31
	v_lshlrev_b64 v[7:8], 4, v[7:8]
	s_lshl_b64 s[4:5], s[4:5], 4
	v_add_nc_u32_e32 v145, 0x4300, v142
	v_lshl_add_u32 v146, v2, 6, 0x4300
	v_add_nc_u32_e32 v147, 0x4700, v142
	v_mad_u32_u24 v148, 0x10c0, v2, v142
	v_add_co_u32 v7, s2, v11, v7
	v_add_co_ci_u32_e64 v8, null, v12, v8, s2
	s_ashr_i32 s23, s22, 31
	v_sub_co_u32 v11, s2, v7, v142
	v_subrev_co_ci_u32_e64 v12, null, 0, v8, s2
	s_lshl_b32 s10, s24, 6
	v_add_co_u32 v11, s2, v11, s8
	v_add_co_ci_u32_e64 v12, null, s9, v12, s2
	v_add_co_u32 v7, s2, 0xfffffe00, v7
	v_add_co_ci_u32_e64 v8, null, -1, v8, s2
	v_add_co_u32 v11, s2, 0xfffffdf0, v11
	v_add_co_ci_u32_e64 v12, null, -1, v12, s2
	v_sub_co_u32 v143, s2, v39, s4
	v_cndmask_b32_e32 v7, v7, v11, vcc_lo
	v_cndmask_b32_e32 v8, v8, v12, vcc_lo
	v_and_b32_e32 v11, 48, v0
	v_lshlrev_b32_e32 v12, 6, v9
	v_mul_i32_i24_e32 v9, 0xffffffd0, v9
	v_subrev_co_ci_u32_e64 v144, null, s5, v40, s2
	v_lshlrev_b32_e32 v11, 4, v11
	v_mad_u32_u24 v149, 0x430, v10, v12
	v_or_b32_e32 v12, 0xf0, v142
	v_cmp_gt_u32_e64 s2, 64, v45
	s_lshl_b64 s[4:5], s[22:23], 4
	v_mad_u32_u24 v150, 0x430, v10, v11
	v_add_nc_u32_e32 v152, v149, v9
	v_mad_u32_u24 v151, 0x430, v10, v12
	s_mul_hi_i32 s11, s22, 0xd0
	s_mul_i32 s12, s22, 0xd0
	s_mov_b32 s8, 0
	s_branch .LBB127_99
.LBB127_98:                             ;   in Loop: Header=BB127_99 Depth=1
	s_or_b32 exec_lo, exec_lo, s9
	v_mul_f64 v[87:88], v[17:18], v[29:30]
	v_mul_f64 v[29:30], v[15:16], v[29:30]
	;; [unrolled: 1-line block ×4, first 2 shown]
	v_add_nc_u32_e32 v0, 64, v0
	s_add_i32 s6, s6, -1
	s_add_i32 s8, s8, s10
	s_cmp_eq_u32 s6, 0
	s_waitcnt_vscnt null, 0x0
	s_barrier
	buffer_gl0_inv
	v_fma_f64 v[15:16], v[15:16], v[27:28], -v[87:88]
	v_fma_f64 v[17:18], v[17:18], v[27:28], v[29:30]
	v_mul_f64 v[27:28], v[13:14], v[33:34]
	v_mul_f64 v[29:30], v[11:12], v[33:34]
	v_fma_f64 v[19:20], v[19:20], v[23:24], -v[89:90]
	v_fma_f64 v[21:22], v[21:22], v[23:24], v[25:26]
	v_add_f64 v[3:4], v[3:4], v[15:16]
	v_add_f64 v[5:6], v[5:6], v[17:18]
	v_mul_f64 v[15:16], v[9:10], v[49:50]
	v_mul_f64 v[17:18], v[7:8], v[49:50]
	v_fma_f64 v[11:12], v[11:12], v[31:32], -v[27:28]
	v_fma_f64 v[13:14], v[13:14], v[31:32], v[29:30]
	v_add_f64 v[3:4], v[3:4], v[19:20]
	v_add_f64 v[5:6], v[5:6], v[21:22]
	v_mul_f64 v[19:20], v[53:54], v[85:86]
	v_mul_f64 v[21:22], v[51:52], v[85:86]
	v_fma_f64 v[7:8], v[7:8], v[47:48], -v[15:16]
	v_fma_f64 v[9:10], v[9:10], v[47:48], v[17:18]
	v_add_f64 v[3:4], v[3:4], v[11:12]
	v_add_f64 v[5:6], v[5:6], v[13:14]
	v_mul_f64 v[11:12], v[45:46], v[81:82]
	v_mul_f64 v[13:14], v[43:44], v[81:82]
	v_fma_f64 v[15:16], v[51:52], v[83:84], -v[19:20]
	v_fma_f64 v[17:18], v[53:54], v[83:84], v[21:22]
	v_add_f64 v[3:4], v[3:4], v[7:8]
	v_add_f64 v[5:6], v[5:6], v[9:10]
	v_mul_f64 v[7:8], v[41:42], v[77:78]
	v_mul_f64 v[9:10], v[39:40], v[77:78]
	v_fma_f64 v[11:12], v[43:44], v[79:80], -v[11:12]
	v_fma_f64 v[13:14], v[45:46], v[79:80], v[13:14]
	v_add_f64 v[3:4], v[3:4], v[15:16]
	v_add_f64 v[5:6], v[5:6], v[17:18]
	v_mul_f64 v[15:16], v[37:38], v[73:74]
	v_mul_f64 v[17:18], v[35:36], v[73:74]
	v_fma_f64 v[7:8], v[39:40], v[75:76], -v[7:8]
	v_fma_f64 v[9:10], v[41:42], v[75:76], v[9:10]
	v_add_f64 v[3:4], v[3:4], v[11:12]
	v_add_f64 v[5:6], v[5:6], v[13:14]
	v_mul_f64 v[11:12], v[69:70], v[121:122]
	v_mul_f64 v[13:14], v[67:68], v[121:122]
	v_fma_f64 v[15:16], v[35:36], v[71:72], -v[15:16]
	v_fma_f64 v[17:18], v[37:38], v[71:72], v[17:18]
	v_add_f64 v[3:4], v[3:4], v[7:8]
	v_add_f64 v[5:6], v[5:6], v[9:10]
	v_mul_f64 v[7:8], v[65:66], v[117:118]
	v_mul_f64 v[9:10], v[63:64], v[117:118]
	v_fma_f64 v[11:12], v[67:68], v[119:120], -v[11:12]
	v_fma_f64 v[13:14], v[69:70], v[119:120], v[13:14]
	v_add_f64 v[3:4], v[3:4], v[15:16]
	v_add_f64 v[5:6], v[5:6], v[17:18]
	v_mul_f64 v[15:16], v[61:62], v[113:114]
	v_mul_f64 v[17:18], v[59:60], v[113:114]
	v_fma_f64 v[7:8], v[63:64], v[115:116], -v[7:8]
	v_fma_f64 v[9:10], v[65:66], v[115:116], v[9:10]
	v_add_f64 v[3:4], v[3:4], v[11:12]
	v_add_f64 v[5:6], v[5:6], v[13:14]
	v_mul_f64 v[11:12], v[57:58], v[109:110]
	v_mul_f64 v[13:14], v[55:56], v[109:110]
	v_fma_f64 v[15:16], v[59:60], v[111:112], -v[15:16]
	v_fma_f64 v[17:18], v[61:62], v[111:112], v[17:18]
	v_add_f64 v[3:4], v[3:4], v[7:8]
	v_add_f64 v[5:6], v[5:6], v[9:10]
	v_mul_f64 v[7:8], v[101:102], v[137:138]
	v_mul_f64 v[9:10], v[99:100], v[137:138]
	v_fma_f64 v[11:12], v[55:56], v[107:108], -v[11:12]
	v_fma_f64 v[13:14], v[57:58], v[107:108], v[13:14]
	v_add_f64 v[3:4], v[3:4], v[15:16]
	v_add_f64 v[5:6], v[5:6], v[17:18]
	v_mul_f64 v[15:16], v[97:98], v[133:134]
	v_mul_f64 v[17:18], v[95:96], v[133:134]
	v_fma_f64 v[7:8], v[99:100], v[135:136], -v[7:8]
	v_fma_f64 v[9:10], v[101:102], v[135:136], v[9:10]
	v_add_f64 v[3:4], v[3:4], v[11:12]
	v_add_f64 v[5:6], v[5:6], v[13:14]
	v_mul_f64 v[11:12], v[93:94], v[129:130]
	v_mul_f64 v[13:14], v[91:92], v[129:130]
	v_fma_f64 v[15:16], v[95:96], v[131:132], -v[15:16]
	v_fma_f64 v[17:18], v[97:98], v[131:132], v[17:18]
	v_add_f64 v[3:4], v[3:4], v[7:8]
	v_add_f64 v[5:6], v[5:6], v[9:10]
	v_mul_f64 v[7:8], v[105:106], v[125:126]
	v_mul_f64 v[9:10], v[103:104], v[125:126]
	v_fma_f64 v[11:12], v[91:92], v[127:128], -v[11:12]
	v_fma_f64 v[13:14], v[93:94], v[127:128], v[13:14]
	v_add_f64 v[3:4], v[3:4], v[15:16]
	v_add_f64 v[5:6], v[5:6], v[17:18]
	v_fma_f64 v[7:8], v[103:104], v[123:124], -v[7:8]
	v_fma_f64 v[9:10], v[105:106], v[123:124], v[9:10]
	v_add_f64 v[3:4], v[3:4], v[11:12]
	v_add_f64 v[5:6], v[5:6], v[13:14]
	;; [unrolled: 1-line block ×4, first 2 shown]
	v_add_co_u32 v7, s3, v140, s12
	v_add_co_ci_u32_e64 v8, null, s11, v141, s3
	s_cbranch_scc1 .LBB127_103
.LBB127_99:                             ; =>This Inner Loop Header: Depth=1
	s_and_saveexec_b32 s13, s1
	s_cbranch_execz .LBB127_101
; %bb.100:                              ;   in Loop: Header=BB127_99 Depth=1
	s_ashr_i32 s9, s8, 31
	s_lshl_b64 s[16:17], s[8:9], 4
	v_add_co_u32 v9, s3, v143, s16
	v_add_co_ci_u32_e64 v10, null, s17, v144, s3
	global_load_dwordx4 v[9:12], v[9:10], off
	s_waitcnt vmcnt(0)
	ds_write2_b64 v145, v[9:10], v[11:12] offset1:1
.LBB127_101:                            ;   in Loop: Header=BB127_99 Depth=1
	s_or_b32 exec_lo, exec_lo, s13
	v_add_co_u32 v9, s3, v7, s4
	v_add_co_ci_u32_e64 v10, null, s5, v8, s3
	s_waitcnt lgkmcnt(0)
	v_add_co_u32 v11, s3, v9, s4
	v_add_co_ci_u32_e64 v12, null, s5, v10, s3
	s_barrier
	v_add_co_u32 v27, s3, v11, s4
	buffer_gl0_inv
	global_load_dwordx4 v[15:18], v[7:8], off
	v_add_co_ci_u32_e64 v28, null, s5, v12, s3
	s_clause 0x2
	global_load_dwordx4 v[19:22], v[9:10], off
	global_load_dwordx4 v[11:14], v[11:12], off
	;; [unrolled: 1-line block ×3, first 2 shown]
	ds_read_b128 v[23:26], v147
	v_add_co_u32 v55, s3, v27, s12
	v_add_co_ci_u32_e64 v56, null, s11, v28, s3
	v_add_co_u32 v57, s3, v55, s4
	v_add_co_ci_u32_e64 v58, null, s5, v56, s3
	;; [unrolled: 2-line block ×4, first 2 shown]
	s_waitcnt vmcnt(3) lgkmcnt(0)
	v_mul_f64 v[29:30], v[17:18], v[25:26]
	v_mul_f64 v[31:32], v[15:16], v[25:26]
	s_waitcnt vmcnt(2)
	v_mul_f64 v[33:34], v[21:22], v[25:26]
	v_mul_f64 v[41:42], v[19:20], v[25:26]
	s_waitcnt vmcnt(1)
	;; [unrolled: 3-line block ×3, first 2 shown]
	v_mul_f64 v[47:48], v[9:10], v[25:26]
	v_mul_f64 v[25:26], v[7:8], v[25:26]
	v_fma_f64 v[35:36], v[15:16], v[23:24], -v[29:30]
	v_fma_f64 v[37:38], v[17:18], v[23:24], v[31:32]
	v_fma_f64 v[39:40], v[19:20], v[23:24], -v[33:34]
	v_fma_f64 v[41:42], v[21:22], v[23:24], v[41:42]
	v_fma_f64 v[43:44], v[11:12], v[23:24], -v[43:44]
	v_fma_f64 v[45:46], v[13:14], v[23:24], v[45:46]
	v_fma_f64 v[51:52], v[7:8], v[23:24], -v[47:48]
	v_fma_f64 v[53:54], v[9:10], v[23:24], v[25:26]
	ds_read_b128 v[27:30], v146
	ds_read_b128 v[23:26], v146 offset:16
	ds_read_b128 v[31:34], v146 offset:32
	;; [unrolled: 1-line block ×3, first 2 shown]
	ds_write_b128 v148, v[35:38]
	ds_write_b128 v148, v[39:42] offset:1072
	ds_write_b128 v148, v[43:46] offset:2144
	;; [unrolled: 1-line block ×3, first 2 shown]
	s_waitcnt lgkmcnt(0)
	s_barrier
	buffer_gl0_inv
	ds_read_b128 v[123:126], v149
	ds_read_b128 v[153:156], v149 offset:16
	ds_read_b128 v[157:160], v149 offset:32
	;; [unrolled: 1-line block ×3, first 2 shown]
	s_waitcnt lgkmcnt(0)
	s_barrier
	buffer_gl0_inv
	s_clause 0x3
	global_load_dwordx4 v[51:54], v[55:56], off
	global_load_dwordx4 v[43:46], v[57:58], off
	;; [unrolled: 1-line block ×4, first 2 shown]
	ds_read_b128 v[55:58], v147
	v_add_f64 v[205:206], v[123:124], 0
	v_add_f64 v[207:208], v[125:126], 0
	s_waitcnt vmcnt(2) lgkmcnt(0)
	v_mul_f64 v[63:64], v[45:46], v[57:58]
	v_mul_f64 v[59:60], v[53:54], v[57:58]
	;; [unrolled: 1-line block ×4, first 2 shown]
	s_waitcnt vmcnt(1)
	v_mul_f64 v[67:68], v[41:42], v[57:58]
	v_mul_f64 v[71:72], v[39:40], v[57:58]
	s_waitcnt vmcnt(0)
	v_mul_f64 v[73:74], v[37:38], v[57:58]
	v_mul_f64 v[75:76], v[35:36], v[57:58]
	v_fma_f64 v[57:58], v[51:52], v[55:56], -v[59:60]
	v_fma_f64 v[59:60], v[53:54], v[55:56], v[61:62]
	v_fma_f64 v[61:62], v[43:44], v[55:56], -v[63:64]
	v_fma_f64 v[63:64], v[45:46], v[55:56], v[65:66]
	;; [unrolled: 2-line block ×4, first 2 shown]
	v_add_co_u32 v55, s3, v69, s12
	v_add_co_ci_u32_e64 v56, null, s11, v70, s3
	ds_read_b128 v[83:86], v146 offset:256
	ds_read_b128 v[79:82], v146 offset:272
	;; [unrolled: 1-line block ×4, first 2 shown]
	v_add_co_u32 v95, s3, v55, s4
	v_add_co_ci_u32_e64 v96, null, s5, v56, s3
	ds_write_b128 v148, v[57:60]
	ds_write_b128 v148, v[61:64] offset:1072
	ds_write_b128 v148, v[65:68] offset:2144
	;; [unrolled: 1-line block ×3, first 2 shown]
	v_add_co_u32 v97, s3, v95, s4
	v_add_co_ci_u32_e64 v98, null, s5, v96, s3
	s_waitcnt lgkmcnt(0)
	v_add_co_u32 v105, s3, v97, s4
	v_add_co_ci_u32_e64 v106, null, s5, v98, s3
	s_barrier
	buffer_gl0_inv
	ds_read_b128 v[161:164], v149
	ds_read_b128 v[165:168], v149 offset:16
	ds_read_b128 v[169:172], v149 offset:32
	ds_read_b128 v[173:176], v149 offset:48
	s_waitcnt lgkmcnt(0)
	s_barrier
	buffer_gl0_inv
	s_clause 0x2
	global_load_dwordx4 v[67:70], v[55:56], off
	global_load_dwordx4 v[63:66], v[95:96], off
	;; [unrolled: 1-line block ×4, first 2 shown]
	ds_read_b128 v[91:94], v147
	v_add_f64 v[161:162], v[161:162], 0
	v_add_f64 v[163:164], v[163:164], 0
	;; [unrolled: 1-line block ×6, first 2 shown]
	s_waitcnt vmcnt(2) lgkmcnt(0)
	v_mul_f64 v[99:100], v[65:66], v[93:94]
	v_mul_f64 v[95:96], v[69:70], v[93:94]
	;; [unrolled: 1-line block ×4, first 2 shown]
	s_waitcnt vmcnt(1)
	v_mul_f64 v[103:104], v[61:62], v[93:94]
	v_mul_f64 v[107:108], v[59:60], v[93:94]
	s_waitcnt vmcnt(0)
	v_mul_f64 v[109:110], v[57:58], v[93:94]
	v_mul_f64 v[111:112], v[55:56], v[93:94]
	v_fma_f64 v[93:94], v[67:68], v[91:92], -v[95:96]
	v_fma_f64 v[95:96], v[69:70], v[91:92], v[97:98]
	v_fma_f64 v[97:98], v[63:64], v[91:92], -v[99:100]
	v_fma_f64 v[99:100], v[65:66], v[91:92], v[101:102]
	v_fma_f64 v[101:102], v[59:60], v[91:92], -v[103:104]
	v_fma_f64 v[103:104], v[61:62], v[91:92], v[107:108]
	v_fma_f64 v[127:128], v[55:56], v[91:92], -v[109:110]
	v_fma_f64 v[129:130], v[57:58], v[91:92], v[111:112]
	v_add_co_u32 v91, s3, v105, s12
	v_add_co_ci_u32_e64 v92, null, s11, v106, s3
	ds_read_b128 v[119:122], v146 offset:512
	ds_read_b128 v[115:118], v146 offset:528
	ds_read_b128 v[111:114], v146 offset:544
	ds_read_b128 v[107:110], v146 offset:560
	v_add_co_u32 v105, s3, v91, s4
	v_add_co_ci_u32_e64 v106, null, s5, v92, s3
	ds_write_b128 v148, v[93:96]
	ds_write_b128 v148, v[97:100] offset:1072
	ds_write_b128 v148, v[101:104] offset:2144
	;; [unrolled: 1-line block ×3, first 2 shown]
	v_add_co_u32 v131, s3, v105, s4
	v_add_co_ci_u32_e64 v132, null, s5, v106, s3
	s_waitcnt lgkmcnt(0)
	v_add_co_u32 v140, s3, v131, s4
	v_add_co_ci_u32_e64 v141, null, s5, v132, s3
	s_barrier
	buffer_gl0_inv
	ds_read_b128 v[177:180], v149
	ds_read_b128 v[181:184], v149 offset:16
	ds_read_b128 v[185:188], v149 offset:32
	;; [unrolled: 1-line block ×3, first 2 shown]
	s_waitcnt lgkmcnt(0)
	s_barrier
	buffer_gl0_inv
	global_load_dwordx4 v[99:102], v[91:92], off
	global_load_dwordx4 v[95:98], v[105:106], off
	;; [unrolled: 1-line block ×4, first 2 shown]
	ds_read_b128 v[127:130], v147
	v_add_f64 v[177:178], v[177:178], 0
	v_add_f64 v[179:180], v[179:180], 0
	;; [unrolled: 1-line block ×6, first 2 shown]
	s_waitcnt vmcnt(3) lgkmcnt(0)
	v_mul_f64 v[131:132], v[101:102], v[129:130]
	v_mul_f64 v[133:134], v[99:100], v[129:130]
	s_waitcnt vmcnt(2)
	v_mul_f64 v[135:136], v[97:98], v[129:130]
	v_mul_f64 v[137:138], v[95:96], v[129:130]
	s_waitcnt vmcnt(1)
	;; [unrolled: 3-line block ×3, first 2 shown]
	v_mul_f64 v[201:202], v[105:106], v[129:130]
	v_mul_f64 v[129:130], v[103:104], v[129:130]
	v_fma_f64 v[131:132], v[99:100], v[127:128], -v[131:132]
	v_fma_f64 v[133:134], v[101:102], v[127:128], v[133:134]
	v_fma_f64 v[193:194], v[95:96], v[127:128], -v[135:136]
	v_fma_f64 v[195:196], v[97:98], v[127:128], v[137:138]
	;; [unrolled: 2-line block ×4, first 2 shown]
	ds_write_b128 v148, v[131:134]
	ds_read_b128 v[135:138], v146 offset:768
	ds_read_b128 v[131:134], v146 offset:784
	ds_write_b128 v148, v[193:196] offset:1072
	ds_write_b128 v148, v[197:200] offset:2144
	ds_read_b128 v[127:130], v146 offset:800
	ds_read_b128 v[123:126], v146 offset:816
	v_add_f64 v[197:198], v[205:206], v[153:154]
	ds_write_b128 v148, v[201:204] offset:3216
	s_waitcnt lgkmcnt(0)
	s_barrier
	buffer_gl0_inv
	ds_read_b128 v[193:196], v149
	v_add_f64 v[199:200], v[207:208], v[155:156]
	ds_read_b128 v[153:156], v149 offset:16
	v_add_f64 v[181:182], v[197:198], v[157:158]
	s_waitcnt lgkmcnt(1)
	v_add_f64 v[193:194], v[193:194], 0
	v_add_f64 v[195:196], v[195:196], 0
	;; [unrolled: 1-line block ×3, first 2 shown]
	ds_read_b128 v[157:160], v149 offset:48
	v_add_f64 v[87:88], v[181:182], v[87:88]
	s_waitcnt lgkmcnt(1)
	v_add_f64 v[177:178], v[193:194], v[153:154]
	v_add_f64 v[179:180], v[195:196], v[155:156]
	ds_read_b128 v[153:156], v149 offset:32
	v_add_f64 v[89:90], v[183:184], v[89:90]
	s_waitcnt lgkmcnt(0)
	s_barrier
	buffer_gl0_inv
	v_add_f64 v[169:170], v[177:178], v[153:154]
	v_add_f64 v[171:172], v[179:180], v[155:156]
	;; [unrolled: 1-line block ×8, first 2 shown]
	ds_write_b128 v152, v[87:90]
	ds_write_b128 v152, v[153:156] offset:256
	ds_write_b128 v152, v[161:164] offset:512
	ds_write_b128 v152, v[157:160] offset:768
	s_waitcnt lgkmcnt(0)
	s_barrier
	buffer_gl0_inv
	s_and_saveexec_b32 s9, s2
	s_cbranch_execz .LBB127_98
; %bb.102:                              ;   in Loop: Header=BB127_99 Depth=1
	ds_read_b128 v[87:90], v150
	ds_read_b128 v[153:156], v150 offset:16
	s_waitcnt lgkmcnt(0)
	v_add_f64 v[157:158], v[153:154], v[87:88]
	v_add_f64 v[159:160], v[155:156], v[89:90]
	ds_read_b128 v[87:90], v150 offset:32
	ds_read_b128 v[153:156], v150 offset:48
	s_waitcnt lgkmcnt(1)
	v_add_f64 v[87:88], v[157:158], v[87:88]
	v_add_f64 v[89:90], v[159:160], v[89:90]
	s_waitcnt lgkmcnt(0)
	v_add_f64 v[157:158], v[87:88], v[153:154]
	v_add_f64 v[159:160], v[89:90], v[155:156]
	ds_read_b128 v[87:90], v150 offset:64
	ds_read_b128 v[153:156], v150 offset:80
	s_waitcnt lgkmcnt(1)
	v_add_f64 v[87:88], v[157:158], v[87:88]
	v_add_f64 v[89:90], v[159:160], v[89:90]
	;; [unrolled: 8-line block ×6, first 2 shown]
	s_waitcnt lgkmcnt(0)
	v_add_f64 v[157:158], v[87:88], v[153:154]
	v_add_f64 v[159:160], v[89:90], v[155:156]
	ds_read_b128 v[87:90], v150 offset:224
	ds_read_b128 v[153:156], v151
	s_waitcnt lgkmcnt(1)
	v_add_f64 v[87:88], v[157:158], v[87:88]
	v_add_f64 v[89:90], v[159:160], v[89:90]
	s_waitcnt lgkmcnt(0)
	v_add_f64 v[87:88], v[87:88], v[153:154]
	v_add_f64 v[89:90], v[89:90], v[155:156]
	v_lshlrev_b64 v[153:154], 4, v[0:1]
	v_add_co_u32 v153, s3, s7, v153
	v_add_co_ci_u32_e64 v154, null, s14, v154, s3
	global_store_dwordx4 v[153:154], v[87:90], off
	s_branch .LBB127_98
.LBB127_103:
	v_mad_u32_u24 v0, 0x430, v2, v142
	s_nor_b32 s0, s0, vcc_lo
	ds_write_b128 v0, v[3:6]
	s_waitcnt lgkmcnt(0)
	s_barrier
	buffer_gl0_inv
	s_and_saveexec_b32 s1, s0
	s_cbranch_execz .LBB127_105
; %bb.104:
	ds_read_b128 v[0:3], v142 offset:1072
	ds_read_b128 v[4:7], v142
	v_ashrrev_i32_e32 v140, 31, v139
	s_waitcnt lgkmcnt(0)
	v_add_f64 v[8:9], v[0:1], v[4:5]
	v_add_f64 v[10:11], v[2:3], v[6:7]
	ds_read_b128 v[0:3], v142 offset:2144
	ds_read_b128 v[4:7], v142 offset:3216
	s_waitcnt lgkmcnt(1)
	v_add_f64 v[0:1], v[8:9], v[0:1]
	v_add_f64 v[2:3], v[10:11], v[2:3]
	s_waitcnt lgkmcnt(0)
	v_add_f64 v[0:1], v[0:1], v[4:5]
	v_add_f64 v[2:3], v[2:3], v[6:7]
	v_lshlrev_b64 v[4:5], 4, v[139:140]
	v_add_co_u32 v4, vcc_lo, s7, v4
	v_add_co_ci_u32_e64 v5, null, s14, v5, vcc_lo
	global_store_dwordx4 v[4:5], v[0:3], off
.LBB127_105:
	s_endpgm
	.section	.rodata,"a",@progbits
	.p2align	6, 0x0
	.amdhsa_kernel _ZL26rocblas_hemvn_kernel_lowerILb0ELi64ELi4ELi33ELi32ELi16EiPK19rocblas_complex_numIdES3_PS1_EviT6_lT7_lT5_lS6_lS7_lS5_lT8_i
		.amdhsa_group_segment_fixed_size 19200
		.amdhsa_private_segment_fixed_size 0
		.amdhsa_kernarg_size 376
		.amdhsa_user_sgpr_count 6
		.amdhsa_user_sgpr_private_segment_buffer 1
		.amdhsa_user_sgpr_dispatch_ptr 0
		.amdhsa_user_sgpr_queue_ptr 0
		.amdhsa_user_sgpr_kernarg_segment_ptr 1
		.amdhsa_user_sgpr_dispatch_id 0
		.amdhsa_user_sgpr_flat_scratch_init 0
		.amdhsa_user_sgpr_private_segment_size 0
		.amdhsa_wavefront_size32 1
		.amdhsa_uses_dynamic_stack 0
		.amdhsa_system_sgpr_private_segment_wavefront_offset 0
		.amdhsa_system_sgpr_workgroup_id_x 1
		.amdhsa_system_sgpr_workgroup_id_y 0
		.amdhsa_system_sgpr_workgroup_id_z 1
		.amdhsa_system_sgpr_workgroup_info 0
		.amdhsa_system_vgpr_workitem_id 1
		.amdhsa_next_free_vgpr 209
		.amdhsa_next_free_sgpr 30
		.amdhsa_reserve_vcc 1
		.amdhsa_reserve_flat_scratch 0
		.amdhsa_float_round_mode_32 0
		.amdhsa_float_round_mode_16_64 0
		.amdhsa_float_denorm_mode_32 3
		.amdhsa_float_denorm_mode_16_64 3
		.amdhsa_dx10_clamp 1
		.amdhsa_ieee_mode 1
		.amdhsa_fp16_overflow 0
		.amdhsa_workgroup_processor_mode 1
		.amdhsa_memory_ordered 1
		.amdhsa_forward_progress 1
		.amdhsa_shared_vgpr_count 0
		.amdhsa_exception_fp_ieee_invalid_op 0
		.amdhsa_exception_fp_denorm_src 0
		.amdhsa_exception_fp_ieee_div_zero 0
		.amdhsa_exception_fp_ieee_overflow 0
		.amdhsa_exception_fp_ieee_underflow 0
		.amdhsa_exception_fp_ieee_inexact 0
		.amdhsa_exception_int_div_zero 0
	.end_amdhsa_kernel
	.section	.text._ZL26rocblas_hemvn_kernel_lowerILb0ELi64ELi4ELi33ELi32ELi16EiPK19rocblas_complex_numIdES3_PS1_EviT6_lT7_lT5_lS6_lS7_lS5_lT8_i,"axG",@progbits,_ZL26rocblas_hemvn_kernel_lowerILb0ELi64ELi4ELi33ELi32ELi16EiPK19rocblas_complex_numIdES3_PS1_EviT6_lT7_lT5_lS6_lS7_lS5_lT8_i,comdat
.Lfunc_end127:
	.size	_ZL26rocblas_hemvn_kernel_lowerILb0ELi64ELi4ELi33ELi32ELi16EiPK19rocblas_complex_numIdES3_PS1_EviT6_lT7_lT5_lS6_lS7_lS5_lT8_i, .Lfunc_end127-_ZL26rocblas_hemvn_kernel_lowerILb0ELi64ELi4ELi33ELi32ELi16EiPK19rocblas_complex_numIdES3_PS1_EviT6_lT7_lT5_lS6_lS7_lS5_lT8_i
                                        ; -- End function
	.set _ZL26rocblas_hemvn_kernel_lowerILb0ELi64ELi4ELi33ELi32ELi16EiPK19rocblas_complex_numIdES3_PS1_EviT6_lT7_lT5_lS6_lS7_lS5_lT8_i.num_vgpr, 209
	.set _ZL26rocblas_hemvn_kernel_lowerILb0ELi64ELi4ELi33ELi32ELi16EiPK19rocblas_complex_numIdES3_PS1_EviT6_lT7_lT5_lS6_lS7_lS5_lT8_i.num_agpr, 0
	.set _ZL26rocblas_hemvn_kernel_lowerILb0ELi64ELi4ELi33ELi32ELi16EiPK19rocblas_complex_numIdES3_PS1_EviT6_lT7_lT5_lS6_lS7_lS5_lT8_i.numbered_sgpr, 30
	.set _ZL26rocblas_hemvn_kernel_lowerILb0ELi64ELi4ELi33ELi32ELi16EiPK19rocblas_complex_numIdES3_PS1_EviT6_lT7_lT5_lS6_lS7_lS5_lT8_i.num_named_barrier, 0
	.set _ZL26rocblas_hemvn_kernel_lowerILb0ELi64ELi4ELi33ELi32ELi16EiPK19rocblas_complex_numIdES3_PS1_EviT6_lT7_lT5_lS6_lS7_lS5_lT8_i.private_seg_size, 0
	.set _ZL26rocblas_hemvn_kernel_lowerILb0ELi64ELi4ELi33ELi32ELi16EiPK19rocblas_complex_numIdES3_PS1_EviT6_lT7_lT5_lS6_lS7_lS5_lT8_i.uses_vcc, 1
	.set _ZL26rocblas_hemvn_kernel_lowerILb0ELi64ELi4ELi33ELi32ELi16EiPK19rocblas_complex_numIdES3_PS1_EviT6_lT7_lT5_lS6_lS7_lS5_lT8_i.uses_flat_scratch, 0
	.set _ZL26rocblas_hemvn_kernel_lowerILb0ELi64ELi4ELi33ELi32ELi16EiPK19rocblas_complex_numIdES3_PS1_EviT6_lT7_lT5_lS6_lS7_lS5_lT8_i.has_dyn_sized_stack, 0
	.set _ZL26rocblas_hemvn_kernel_lowerILb0ELi64ELi4ELi33ELi32ELi16EiPK19rocblas_complex_numIdES3_PS1_EviT6_lT7_lT5_lS6_lS7_lS5_lT8_i.has_recursion, 0
	.set _ZL26rocblas_hemvn_kernel_lowerILb0ELi64ELi4ELi33ELi32ELi16EiPK19rocblas_complex_numIdES3_PS1_EviT6_lT7_lT5_lS6_lS7_lS5_lT8_i.has_indirect_call, 0
	.section	.AMDGPU.csdata,"",@progbits
; Kernel info:
; codeLenInByte = 9916
; TotalNumSgprs: 32
; NumVgprs: 209
; ScratchSize: 0
; MemoryBound: 0
; FloatMode: 240
; IeeeMode: 1
; LDSByteSize: 19200 bytes/workgroup (compile time only)
; SGPRBlocks: 0
; VGPRBlocks: 26
; NumSGPRsForWavesPerEU: 32
; NumVGPRsForWavesPerEU: 209
; Occupancy: 4
; WaveLimiterHint : 1
; COMPUTE_PGM_RSRC2:SCRATCH_EN: 0
; COMPUTE_PGM_RSRC2:USER_SGPR: 6
; COMPUTE_PGM_RSRC2:TRAP_HANDLER: 0
; COMPUTE_PGM_RSRC2:TGID_X_EN: 1
; COMPUTE_PGM_RSRC2:TGID_Y_EN: 0
; COMPUTE_PGM_RSRC2:TGID_Z_EN: 1
; COMPUTE_PGM_RSRC2:TIDIG_COMP_CNT: 1
	.section	.text._ZL26rocblas_hemvn_kernel_lowerILb0ELi64ELi4ELi33ELi32ELi16El19rocblas_complex_numIdEPKS1_PS1_EviT6_lT7_lT5_lS6_lS7_lS5_lT8_i,"axG",@progbits,_ZL26rocblas_hemvn_kernel_lowerILb0ELi64ELi4ELi33ELi32ELi16El19rocblas_complex_numIdEPKS1_PS1_EviT6_lT7_lT5_lS6_lS7_lS5_lT8_i,comdat
	.globl	_ZL26rocblas_hemvn_kernel_lowerILb0ELi64ELi4ELi33ELi32ELi16El19rocblas_complex_numIdEPKS1_PS1_EviT6_lT7_lT5_lS6_lS7_lS5_lT8_i ; -- Begin function _ZL26rocblas_hemvn_kernel_lowerILb0ELi64ELi4ELi33ELi32ELi16El19rocblas_complex_numIdEPKS1_PS1_EviT6_lT7_lT5_lS6_lS7_lS5_lT8_i
	.p2align	8
	.type	_ZL26rocblas_hemvn_kernel_lowerILb0ELi64ELi4ELi33ELi32ELi16El19rocblas_complex_numIdEPKS1_PS1_EviT6_lT7_lT5_lS6_lS7_lS5_lT8_i,@function
_ZL26rocblas_hemvn_kernel_lowerILb0ELi64ELi4ELi33ELi32ELi16El19rocblas_complex_numIdEPKS1_PS1_EviT6_lT7_lT5_lS6_lS7_lS5_lT8_i: ; @_ZL26rocblas_hemvn_kernel_lowerILb0ELi64ELi4ELi33ELi32ELi16El19rocblas_complex_numIdEPKS1_PS1_EviT6_lT7_lT5_lS6_lS7_lS5_lT8_i
; %bb.0:
	s_load_dwordx2 s[2:3], s[4:5], 0x94
	s_add_u32 s0, s4, 0x88
	s_addc_u32 s1, s5, 0
	s_waitcnt lgkmcnt(0)
	s_lshr_b32 s8, s2, 16
	s_and_b32 s2, s2, 0xffff
	s_and_b32 s3, s3, 0xffff
	s_mul_i32 s2, s8, s2
	s_mul_i32 s2, s2, s3
	s_cmpk_lg_i32 s2, 0x100
	s_cbranch_scc1 .LBB128_105
; %bb.1:
	s_load_dwordx4 s[8:11], s[4:5], 0x8
	s_waitcnt lgkmcnt(0)
	v_cmp_neq_f64_e64 s2, s[8:9], 0
	v_cmp_neq_f64_e64 s3, s[10:11], 0
	s_or_b32 s2, s2, s3
	s_mov_b32 s3, -1
	s_and_b32 vcc_lo, exec_lo, s2
	s_cbranch_vccnz .LBB128_3
; %bb.2:
	s_load_dwordx4 s[8:11], s[4:5], 0x60
	s_waitcnt lgkmcnt(0)
	v_cmp_neq_f64_e64 s3, s[8:9], 1.0
	v_cmp_neq_f64_e64 s8, s[10:11], 0
	s_or_b32 s3, s3, s8
.LBB128_3:
	s_andn2_b32 vcc_lo, exec_lo, s3
	s_cbranch_vccnz .LBB128_105
; %bb.4:
	s_andn2_b32 vcc_lo, exec_lo, s2
	s_cbranch_vccnz .LBB128_105
; %bb.5:
	s_clause 0x1
	s_load_dwordx16 s[8:23], s[4:5], 0x20
	s_load_dword s24, s[4:5], 0x0
	s_load_dword s25, s[0:1], 0x0
	s_waitcnt lgkmcnt(0)
	s_mul_i32 s3, s23, s7
	s_mul_hi_u32 s23, s22, s7
	s_mul_i32 s2, s22, s7
	s_add_i32 s3, s23, s3
	s_lshl_b64 s[2:3], s[2:3], 4
	s_add_u32 s16, s16, s2
	s_addc_u32 s17, s17, s3
	s_lshl_b64 s[2:3], s[18:19], 4
	s_add_u32 s2, s16, s2
	s_addc_u32 s3, s17, s3
	s_lshl_b32 s16, s6, 6
	s_ashr_i32 s26, s24, 31
	v_add_nc_u32_e32 v134, s16, v0
	s_lshr_b32 s0, s26, 26
	s_add_i32 s17, s25, -1
	s_add_i32 s1, s24, s0
	v_cmp_ne_u32_e64 s0, 0, v1
	v_ashrrev_i32_e32 v135, 31, v134
	v_mul_lo_u32 v4, s21, v134
	v_mad_u64_u32 v[2:3], null, s20, v134, 0
	s_andn2_b32 s1, s1, 63
	v_mul_lo_u32 v5, s20, v135
	s_sub_i32 s18, s24, s1
	v_cmp_eq_u32_e64 s1, 0, v1
	s_cmp_eq_u32 s6, s17
	s_cselect_b32 s18, s18, 0
	v_add3_u32 v3, v3, v5, v4
	v_lshlrev_b64 v[2:3], 4, v[2:3]
	v_add_co_u32 v38, vcc_lo, s2, v2
	v_add_co_ci_u32_e64 v39, null, s3, v3, vcc_lo
	s_mov_b32 s2, -1
	s_and_saveexec_b32 s3, s1
	s_cbranch_execz .LBB128_10
; %bb.6:
	v_cmp_le_i32_e32 vcc_lo, s18, v0
	s_cmp_lg_u32 s18, 0
	v_lshl_add_u32 v2, v0, 4, 0x4700
	s_cselect_b32 s17, -1, 0
	s_and_b32 s17, s17, vcc_lo
	s_and_saveexec_b32 s19, s17
	s_xor_b32 s17, exec_lo, s19
	s_cbranch_execz .LBB128_8
; %bb.7:
	v_mov_b32_e32 v3, 0
	v_mov_b32_e32 v4, v3
	;; [unrolled: 1-line block ×4, first 2 shown]
	ds_write_b128 v2, v[3:6]
                                        ; implicit-def: $vgpr2
.LBB128_8:
	s_andn2_saveexec_b32 s17, s17
	s_cbranch_execz .LBB128_10
; %bb.9:
	global_load_dwordx4 v[3:6], v[38:39], off
	s_waitcnt vmcnt(0)
	ds_write2_b64 v2, v[3:4], v[5:6] offset1:1
.LBB128_10:
	s_or_b32 exec_lo, exec_lo, s3
	v_lshl_add_u32 v44, v1, 6, v0
	v_and_b32_e32 v6, 31, v0
	v_mov_b32_e32 v7, 0
	s_mul_i32 s3, s15, s7
	s_mul_hi_u32 s15, s14, s7
	v_lshrrev_b32_e32 v11, 5, v44
	s_mul_i32 s14, s14, s7
	s_add_i32 s15, s15, s3
	s_lshl_b64 s[14:15], s[14:15], 4
	v_mad_u64_u32 v[2:3], null, s12, v11, v[6:7]
	s_add_u32 s3, s8, s14
	s_addc_u32 s14, s9, s15
	s_lshl_b64 s[8:9], s[10:11], 4
	s_mul_hi_u32 s10, s12, s16
	s_add_u32 s3, s3, s8
	s_addc_u32 s11, s14, s9
	v_mad_u64_u32 v[3:4], null, s13, v11, v[3:4]
	s_ashr_i32 s17, s16, 31
	s_mul_i32 s14, s13, s16
	s_lshl_b64 s[8:9], s[16:17], 4
	s_mul_i32 s15, s12, s17
	s_add_u32 s3, s3, s8
	s_addc_u32 s11, s11, s9
	v_lshlrev_b64 v[40:41], 4, v[2:3]
	s_add_i32 s9, s10, s15
	s_mul_i32 s8, s12, s16
	s_add_i32 s9, s9, s14
	s_lshl_b64 s[14:15], s[8:9], 4
	v_add_co_u32 v2, vcc_lo, s3, v40
	v_add_co_ci_u32_e64 v3, null, s11, v41, vcc_lo
	s_cmp_lg_u32 s18, 0
	v_add_co_u32 v7, vcc_lo, v2, s14
	v_add_co_ci_u32_e64 v8, null, s15, v3, vcc_lo
	s_cselect_b32 s27, -1, 0
	s_cmp_eq_u32 s18, 0
	s_cselect_b32 s11, -1, 0
	s_and_b32 vcc_lo, exec_lo, s27
	s_cbranch_vccnz .LBB128_12
; %bb.11:
	s_lshl_b64 s[2:3], s[12:13], 7
	v_add_co_u32 v9, vcc_lo, v7, s2
	v_add_co_ci_u32_e64 v10, null, s3, v8, vcc_lo
	v_add_co_u32 v16, vcc_lo, v9, s2
	v_add_co_ci_u32_e64 v17, null, s3, v10, vcc_lo
	;; [unrolled: 2-line block ×3, first 2 shown]
	s_clause 0x3
	global_load_dwordx4 v[2:5], v[7:8], off
	global_load_dwordx4 v[12:15], v[9:10], off
	;; [unrolled: 1-line block ×4, first 2 shown]
	v_mul_u32_u24_e32 v9, 0x210, v11
	s_mov_b32 s2, 0
	v_lshl_add_u32 v9, v6, 4, v9
	v_add_nc_u32_e32 v25, 0x3180, v9
	v_add_nc_u32_e32 v10, 0x1080, v9
	;; [unrolled: 1-line block ×3, first 2 shown]
	s_waitcnt vmcnt(3)
	ds_write2_b64 v9, v[2:3], v[4:5] offset1:1
	s_waitcnt vmcnt(2)
	ds_write2_b64 v10, v[12:13], v[14:15] offset1:1
	;; [unrolled: 2-line block ×4, first 2 shown]
.LBB128_12:
	v_lshlrev_b32_e32 v12, 4, v6
	s_andn2_b32 vcc_lo, exec_lo, s2
	s_cbranch_vccnz .LBB128_30
; %bb.13:
	v_lshlrev_b32_e32 v4, 4, v6
	s_ashr_i32 s19, s18, 31
	v_cmp_le_i32_e64 s2, s18, v11
	s_lshl_b64 s[8:9], s[18:19], 4
	v_mad_u32_u24 v5, 0x210, v11, v12
	v_sub_co_u32 v2, vcc_lo, v7, v4
	v_subrev_co_ci_u32_e64 v3, null, 0, v8, vcc_lo
	v_add_co_u32 v2, vcc_lo, v2, s8
	v_add_co_ci_u32_e64 v3, null, s9, v3, vcc_lo
	v_add_co_u32 v2, vcc_lo, v2, -16
	v_add_co_ci_u32_e64 v3, null, -1, v3, vcc_lo
	v_cmp_gt_i32_e32 vcc_lo, s18, v6
	v_cndmask_b32_e32 v3, v3, v8, vcc_lo
	v_cndmask_b32_e32 v2, v2, v7, vcc_lo
	s_and_saveexec_b32 s3, s2
	s_xor_b32 s2, exec_lo, s3
	s_cbranch_execz .LBB128_15
; %bb.14:
	v_mov_b32_e32 v13, 0
	v_mov_b32_e32 v14, v13
	;; [unrolled: 1-line block ×4, first 2 shown]
	ds_write_b128 v5, v[13:16]
                                        ; implicit-def: $vgpr5
.LBB128_15:
	s_andn2_saveexec_b32 s2, s2
	s_cbranch_execz .LBB128_17
; %bb.16:
	global_load_dwordx4 v[13:16], v[2:3], off
	s_waitcnt vmcnt(0)
	ds_write2_b64 v5, v[13:14], v[15:16] offset1:1
.LBB128_17:
	s_or_b32 exec_lo, exec_lo, s2
	v_add_nc_u32_e32 v9, 8, v11
	v_mul_u32_u24_e32 v5, 0x210, v11
	v_cmp_le_i32_e64 s2, s18, v9
	s_and_saveexec_b32 s3, s2
	s_xor_b32 s2, exec_lo, s3
	s_cbranch_execz .LBB128_19
; %bb.18:
	v_mov_b32_e32 v13, 0
	v_add_nc_u32_e32 v9, v5, v12
	v_mov_b32_e32 v14, v13
	v_mov_b32_e32 v15, v13
	;; [unrolled: 1-line block ×3, first 2 shown]
	ds_write_b128 v9, v[13:16] offset:4224
.LBB128_19:
	s_andn2_saveexec_b32 s3, s2
	s_cbranch_execz .LBB128_21
; %bb.20:
	s_lshl_b64 s[22:23], s[12:13], 7
	v_add_co_u32 v9, s2, v2, s22
	v_add_co_ci_u32_e64 v10, null, s23, v3, s2
	global_load_dwordx4 v[13:16], v[9:10], off
	v_add3_u32 v9, v5, v12, 0x1080
	s_waitcnt vmcnt(0)
	ds_write2_b64 v9, v[13:14], v[15:16] offset1:1
.LBB128_21:
	s_or_b32 exec_lo, exec_lo, s3
	v_add_nc_u32_e32 v9, 16, v11
	v_cmp_le_i32_e64 s2, s18, v9
	s_and_saveexec_b32 s3, s2
	s_xor_b32 s2, exec_lo, s3
	s_cbranch_execz .LBB128_23
; %bb.22:
	v_mov_b32_e32 v13, 0
	v_add_nc_u32_e32 v9, v5, v12
	v_mov_b32_e32 v14, v13
	v_mov_b32_e32 v15, v13
	;; [unrolled: 1-line block ×3, first 2 shown]
	ds_write_b128 v9, v[13:16] offset:8448
.LBB128_23:
	s_andn2_saveexec_b32 s3, s2
	s_cbranch_execz .LBB128_25
; %bb.24:
	s_lshl_b64 s[22:23], s[12:13], 8
	v_add_co_u32 v9, s2, v2, s22
	v_add_co_ci_u32_e64 v10, null, s23, v3, s2
	global_load_dwordx4 v[13:16], v[9:10], off
	v_add3_u32 v9, v5, v12, 0x2100
	s_waitcnt vmcnt(0)
	ds_write2_b64 v9, v[13:14], v[15:16] offset1:1
.LBB128_25:
	s_or_b32 exec_lo, exec_lo, s3
	v_add_nc_u32_e32 v9, 24, v11
	v_cmp_le_i32_e64 s2, s18, v9
	s_and_saveexec_b32 s3, s2
	s_xor_b32 s2, exec_lo, s3
	s_cbranch_execz .LBB128_27
; %bb.26:
	v_mov_b32_e32 v13, 0
	v_add_nc_u32_e32 v5, v5, v12
	v_mov_b32_e32 v14, v13
	v_mov_b32_e32 v15, v13
	;; [unrolled: 1-line block ×3, first 2 shown]
	ds_write_b128 v5, v[13:16] offset:12672
                                        ; implicit-def: $vgpr5
.LBB128_27:
	s_andn2_saveexec_b32 s2, s2
	s_cbranch_execz .LBB128_29
; %bb.28:
	v_mad_u64_u32 v[9:10], null, 0x180, s12, v[2:3]
	v_add3_u32 v5, v5, v12, 0x3180
	v_mad_u64_u32 v[13:14], null, 0x180, s13, v[10:11]
	v_mov_b32_e32 v10, v13
	global_load_dwordx4 v[13:16], v[9:10], off
	s_waitcnt vmcnt(0)
	ds_write2_b64 v5, v[13:14], v[15:16] offset1:1
.LBB128_29:
	s_or_b32 exec_lo, exec_lo, s2
	v_add_co_u32 v2, s2, v2, v4
	v_add_co_ci_u32_e64 v3, null, 0, v3, s2
	v_sub_co_u32 v2, s2, v2, s8
	v_subrev_co_ci_u32_e64 v3, null, s9, v3, s2
	v_add_co_u32 v2, s2, v2, 16
	v_add_co_ci_u32_e64 v3, null, 0, v3, s2
	v_cndmask_b32_e32 v7, v2, v7, vcc_lo
	v_cndmask_b32_e32 v8, v3, v8, vcc_lo
.LBB128_30:
	v_lshlrev_b32_e32 v13, 2, v11
	v_lshl_or_b32 v3, v6, 9, v12
	v_mad_u32_u24 v15, 0x840, v11, v12
	s_waitcnt lgkmcnt(0)
	s_barrier
	v_cmp_lt_u32_e64 s3, v13, v6
	buffer_gl0_inv
	s_and_saveexec_b32 s2, s3
	s_cbranch_execz .LBB128_32
; %bb.31:
	ds_read_b128 v[16:19], v15
	v_lshl_add_u32 v2, v13, 4, v3
	s_waitcnt lgkmcnt(0)
	ds_write_b128 v2, v[16:19]
.LBB128_32:
	s_or_b32 exec_lo, exec_lo, s2
	v_or_b32_e32 v2, 1, v13
	v_cmp_lt_u32_e64 s8, v2, v6
	v_mad_u32_u24 v16, 0x210, v2, v12
	s_and_saveexec_b32 s2, s8
	s_cbranch_execz .LBB128_34
; %bb.33:
	ds_read_b128 v[17:20], v16
	v_lshl_add_u32 v2, v13, 4, v3
	s_waitcnt lgkmcnt(0)
	ds_write_b128 v2, v[17:20] offset:16
.LBB128_34:
	s_or_b32 exec_lo, exec_lo, s2
	v_or_b32_e32 v2, 2, v13
	v_cmp_lt_u32_e64 s9, v2, v6
	s_and_saveexec_b32 s2, s9
	s_cbranch_execz .LBB128_36
; %bb.35:
	v_mad_u32_u24 v2, 0x210, v2, v12
	ds_read_b128 v[17:20], v2
	v_lshl_add_u32 v2, v13, 4, v3
	s_waitcnt lgkmcnt(0)
	ds_write_b128 v2, v[17:20] offset:32
.LBB128_36:
	s_or_b32 exec_lo, exec_lo, s2
	v_or_b32_e32 v4, 3, v13
	s_mov_b32 s2, exec_lo
                                        ; implicit-def: $vgpr2
	v_cmp_lt_u32_e64 s10, v4, v6
	v_cmpx_ge_u32_e64 v4, v6
	s_xor_b32 s2, exec_lo, s2
; %bb.37:
	v_mul_u32_u24_e32 v2, 0x210, v4
                                        ; implicit-def: $vgpr3
                                        ; implicit-def: $vgpr4
; %bb.38:
	s_andn2_saveexec_b32 s2, s2
	s_cbranch_execz .LBB128_40
; %bb.39:
	v_mad_u32_u24 v2, 0x210, v4, v12
	v_lshl_add_u32 v3, v13, 4, v3
	ds_read_b128 v[17:20], v2
	v_mul_u32_u24_e32 v2, 0x210, v4
	s_waitcnt lgkmcnt(0)
	ds_write_b128 v3, v[17:20] offset:48
.LBB128_40:
	s_or_b32 exec_lo, exec_lo, s2
	v_lshlrev_b32_e32 v19, 4, v13
	s_waitcnt lgkmcnt(0)
	s_barrier
	buffer_gl0_inv
	ds_read_b128 v[20:23], v15
	ds_read_b128 v[24:27], v19 offset:18176
	v_add_nc_u32_e32 v17, v12, v2
	ds_read_b128 v[2:5], v16 offset:528
	ds_read_b128 v[28:31], v19 offset:18192
	ds_read_b128 v[32:35], v16
	ds_read_b128 v[45:48], v17
	ds_read_b128 v[49:52], v19 offset:18208
	v_cmp_gt_u32_e64 s2, 32, v44
	s_waitcnt lgkmcnt(5)
	v_mul_f64 v[9:10], v[26:27], v[22:23]
	v_mul_f64 v[22:23], v[24:25], v[22:23]
	s_waitcnt lgkmcnt(2)
	v_mul_f64 v[36:37], v[30:31], v[34:35]
	v_mul_f64 v[34:35], v[28:29], v[34:35]
	v_fma_f64 v[9:10], v[24:25], v[20:21], -v[9:10]
	v_fma_f64 v[24:25], v[26:27], v[20:21], v[22:23]
	ds_read_b128 v[20:23], v19 offset:18224
	s_waitcnt lgkmcnt(1)
	v_mul_f64 v[26:27], v[51:52], v[4:5]
	v_mul_f64 v[4:5], v[49:50], v[4:5]
	v_fma_f64 v[28:29], v[28:29], v[32:33], -v[36:37]
	v_fma_f64 v[30:31], v[30:31], v[32:33], v[34:35]
	s_waitcnt lgkmcnt(0)
	s_barrier
	buffer_gl0_inv
	v_mul_f64 v[32:33], v[22:23], v[47:48]
	v_add_f64 v[9:10], v[9:10], 0
	v_add_f64 v[24:25], v[24:25], 0
	v_mul_f64 v[34:35], v[20:21], v[47:48]
	v_fma_f64 v[26:27], v[49:50], v[2:3], -v[26:27]
	v_fma_f64 v[2:3], v[51:52], v[2:3], v[4:5]
	v_fma_f64 v[20:21], v[20:21], v[45:46], -v[32:33]
	v_add_f64 v[4:5], v[9:10], v[28:29]
	v_add_f64 v[9:10], v[24:25], v[30:31]
	v_fma_f64 v[22:23], v[22:23], v[45:46], v[34:35]
	v_add_f64 v[4:5], v[4:5], v[26:27]
	v_add_f64 v[2:3], v[9:10], v[2:3]
	;; [unrolled: 1-line block ×4, first 2 shown]
	v_mul_u32_u24_e32 v2, 33, v6
	v_mov_b32_e32 v4, 0
	v_mov_b32_e32 v5, 0
	v_lshlrev_b32_e32 v45, 4, v2
	v_mov_b32_e32 v2, 0
	v_mov_b32_e32 v3, 0
	v_lshl_add_u32 v46, v11, 4, v45
	ds_write_b128 v46, v[20:23]
	s_waitcnt lgkmcnt(0)
	s_barrier
	buffer_gl0_inv
	s_and_saveexec_b32 s19, s2
	s_cbranch_execz .LBB128_42
; %bb.41:
	ds_read_b128 v[2:5], v45
	ds_read_b128 v[20:23], v45 offset:16
	s_waitcnt lgkmcnt(0)
	v_add_f64 v[9:10], v[20:21], v[2:3]
	v_add_f64 v[24:25], v[22:23], v[4:5]
	ds_read_b128 v[2:5], v45 offset:32
	ds_read_b128 v[20:23], v45 offset:48
	s_waitcnt lgkmcnt(1)
	v_add_f64 v[2:3], v[9:10], v[2:3]
	v_add_f64 v[4:5], v[24:25], v[4:5]
	s_waitcnt lgkmcnt(0)
	v_add_f64 v[9:10], v[2:3], v[20:21]
	v_add_f64 v[24:25], v[4:5], v[22:23]
	ds_read_b128 v[2:5], v45 offset:64
	ds_read_b128 v[20:23], v45 offset:80
	s_waitcnt lgkmcnt(1)
	v_add_f64 v[2:3], v[9:10], v[2:3]
	v_add_f64 v[4:5], v[24:25], v[4:5]
	;; [unrolled: 8-line block ×3, first 2 shown]
	s_waitcnt lgkmcnt(0)
	v_add_f64 v[2:3], v[2:3], v[20:21]
	v_add_f64 v[4:5], v[4:5], v[22:23]
.LBB128_42:
	s_or_b32 exec_lo, exec_lo, s19
	s_lshl_b64 s[22:23], s[12:13], 9
	v_cndmask_b32_e64 v18, 0, 1, s11
	v_add_co_u32 v9, vcc_lo, v7, s22
	v_add_co_ci_u32_e64 v10, null, s23, v8, vcc_lo
	v_mad_u32_u24 v14, 0x210, v11, v12
	v_add_co_u32 v7, vcc_lo, 0x200, v9
	v_add_co_ci_u32_e64 v8, null, 0, v10, vcc_lo
	s_andn2_b32 vcc_lo, exec_lo, s11
	s_mov_b32 s11, -1
	s_barrier
	buffer_gl0_inv
	s_cbranch_vccnz .LBB128_44
; %bb.43:
	s_lshl_b64 s[22:23], s[12:13], 7
	v_add_nc_u32_e32 v42, 0x3180, v14
	v_add_co_u32 v24, vcc_lo, v9, s22
	v_add_co_ci_u32_e64 v25, null, s23, v10, vcc_lo
	v_add_nc_u32_e32 v36, 0x1080, v14
	v_add_co_u32 v28, vcc_lo, v24, s22
	v_add_co_ci_u32_e64 v29, null, s23, v25, vcc_lo
	;; [unrolled: 3-line block ×3, first 2 shown]
	s_clause 0x3
	global_load_dwordx4 v[20:23], v[7:8], off
	global_load_dwordx4 v[24:27], v[24:25], off offset:512
	global_load_dwordx4 v[28:31], v[28:29], off offset:512
	;; [unrolled: 1-line block ×3, first 2 shown]
	s_mov_b32 s11, 0
	s_waitcnt vmcnt(3)
	ds_write2_b64 v14, v[20:21], v[22:23] offset1:1
	s_waitcnt vmcnt(2)
	ds_write2_b64 v36, v[24:25], v[26:27] offset1:1
	;; [unrolled: 2-line block ×4, first 2 shown]
.LBB128_44:
	s_andn2_b32 vcc_lo, exec_lo, s11
	s_cbranch_vccnz .LBB128_62
; %bb.45:
	v_lshlrev_b32_e32 v20, 4, v6
	s_ashr_i32 s19, s18, 31
	v_or_b32_e32 v21, 32, v6
	s_lshl_b64 s[22:23], s[18:19], 4
	s_sub_i32 s19, s18, 32
	v_sub_co_u32 v9, vcc_lo, v9, v20
	v_subrev_co_ci_u32_e64 v10, null, 0, v10, vcc_lo
	v_cmp_le_i32_e64 s11, s19, v11
	v_add_co_u32 v9, vcc_lo, v9, s22
	v_add_co_ci_u32_e64 v10, null, s23, v10, vcc_lo
	v_add_co_u32 v9, vcc_lo, v9, -16
	v_add_co_ci_u32_e64 v10, null, -1, v10, vcc_lo
	v_cmp_gt_i32_e32 vcc_lo, s18, v21
	v_cndmask_b32_e32 v10, v10, v8, vcc_lo
	v_cndmask_b32_e32 v9, v9, v7, vcc_lo
	s_and_saveexec_b32 s28, s11
	s_xor_b32 s11, exec_lo, s28
	s_cbranch_execz .LBB128_47
; %bb.46:
	v_mov_b32_e32 v21, 0
	v_mov_b32_e32 v22, v21
	;; [unrolled: 1-line block ×4, first 2 shown]
	ds_write_b128 v14, v[21:24]
.LBB128_47:
	s_andn2_saveexec_b32 s11, s11
	s_cbranch_execz .LBB128_49
; %bb.48:
	global_load_dwordx4 v[21:24], v[9:10], off
	s_waitcnt vmcnt(0)
	ds_write2_b64 v14, v[21:22], v[23:24] offset1:1
.LBB128_49:
	s_or_b32 exec_lo, exec_lo, s11
	v_add_nc_u32_e32 v22, 8, v11
	v_mul_u32_u24_e32 v21, 0x210, v11
	v_cmp_le_i32_e64 s11, s19, v22
	s_and_saveexec_b32 s28, s11
	s_xor_b32 s11, exec_lo, s28
	s_cbranch_execz .LBB128_51
; %bb.50:
	v_mov_b32_e32 v22, 0
	v_add_nc_u32_e32 v26, v21, v12
	v_mov_b32_e32 v23, v22
	v_mov_b32_e32 v24, v22
	;; [unrolled: 1-line block ×3, first 2 shown]
	ds_write_b128 v26, v[22:25] offset:4224
.LBB128_51:
	s_andn2_saveexec_b32 s28, s11
	s_cbranch_execz .LBB128_53
; %bb.52:
	s_lshl_b64 s[30:31], s[12:13], 7
	v_add3_u32 v26, v21, v12, 0x1080
	v_add_co_u32 v22, s11, v9, s30
	v_add_co_ci_u32_e64 v23, null, s31, v10, s11
	global_load_dwordx4 v[22:25], v[22:23], off
	s_waitcnt vmcnt(0)
	ds_write2_b64 v26, v[22:23], v[24:25] offset1:1
.LBB128_53:
	s_or_b32 exec_lo, exec_lo, s28
	v_add_nc_u32_e32 v22, 16, v11
	v_cmp_le_i32_e64 s11, s19, v22
	s_and_saveexec_b32 s28, s11
	s_xor_b32 s11, exec_lo, s28
	s_cbranch_execz .LBB128_55
; %bb.54:
	v_mov_b32_e32 v22, 0
	v_add_nc_u32_e32 v26, v21, v12
	v_mov_b32_e32 v23, v22
	v_mov_b32_e32 v24, v22
	;; [unrolled: 1-line block ×3, first 2 shown]
	ds_write_b128 v26, v[22:25] offset:8448
.LBB128_55:
	s_andn2_saveexec_b32 s28, s11
	s_cbranch_execz .LBB128_57
; %bb.56:
	s_lshl_b64 s[30:31], s[12:13], 8
	v_add3_u32 v26, v21, v12, 0x2100
	v_add_co_u32 v22, s11, v9, s30
	v_add_co_ci_u32_e64 v23, null, s31, v10, s11
	global_load_dwordx4 v[22:25], v[22:23], off
	s_waitcnt vmcnt(0)
	ds_write2_b64 v26, v[22:23], v[24:25] offset1:1
.LBB128_57:
	s_or_b32 exec_lo, exec_lo, s28
	v_add_nc_u32_e32 v22, 24, v11
	v_cmp_le_i32_e64 s11, s19, v22
	s_and_saveexec_b32 s19, s11
	s_xor_b32 s11, exec_lo, s19
	s_cbranch_execz .LBB128_59
; %bb.58:
	v_mov_b32_e32 v22, 0
	v_add_nc_u32_e32 v21, v21, v12
	v_mov_b32_e32 v23, v22
	v_mov_b32_e32 v24, v22
	;; [unrolled: 1-line block ×3, first 2 shown]
	ds_write_b128 v21, v[22:25] offset:12672
                                        ; implicit-def: $vgpr21
.LBB128_59:
	s_andn2_saveexec_b32 s11, s11
	s_cbranch_execz .LBB128_61
; %bb.60:
	v_mad_u64_u32 v[22:23], null, 0x180, s12, v[9:10]
	v_add3_u32 v21, v21, v12, 0x3180
	v_mad_u64_u32 v[23:24], null, 0x180, s13, v[23:24]
	global_load_dwordx4 v[22:25], v[22:23], off
	s_waitcnt vmcnt(0)
	ds_write2_b64 v21, v[22:23], v[24:25] offset1:1
.LBB128_61:
	s_or_b32 exec_lo, exec_lo, s11
	v_add_co_u32 v9, s11, v9, v20
	v_add_co_ci_u32_e64 v10, null, 0, v10, s11
	v_sub_co_u32 v9, s11, v9, s22
	v_subrev_co_ci_u32_e64 v10, null, s23, v10, s11
	v_add_co_u32 v9, s11, 0x210, v9
	v_add_co_ci_u32_e64 v10, null, 0, v10, s11
	v_cndmask_b32_e32 v7, v9, v7, vcc_lo
	v_cndmask_b32_e32 v8, v10, v8, vcc_lo
.LBB128_62:
	v_add_nc_u32_e32 v9, 0x4700, v19
	v_add_nc_u32_e32 v10, 0x210, v16
	s_lshl_b64 s[22:23], s[12:13], 5
	s_waitcnt lgkmcnt(0)
	s_barrier
	buffer_gl0_inv
	s_and_saveexec_b32 s11, s3
	s_cbranch_execnz .LBB128_71
; %bb.63:
	s_or_b32 exec_lo, exec_lo, s11
	s_and_saveexec_b32 s3, s8
	s_cbranch_execnz .LBB128_72
.LBB128_64:
	s_or_b32 exec_lo, exec_lo, s3
	s_and_saveexec_b32 s3, s9
	s_cbranch_execnz .LBB128_73
.LBB128_65:
	s_or_b32 exec_lo, exec_lo, s3
	s_and_saveexec_b32 s3, s10
	s_cbranch_execz .LBB128_67
.LBB128_66:
	ds_read_b128 v[19:22], v17
	v_lshl_add_u32 v23, v13, 4, v45
	s_waitcnt lgkmcnt(0)
	ds_write_b128 v23, v[19:22] offset:48
.LBB128_67:
	s_or_b32 exec_lo, exec_lo, s3
	s_waitcnt lgkmcnt(0)
	s_barrier
	buffer_gl0_inv
	ds_read_b128 v[19:22], v15
	ds_read_b128 v[23:26], v9 offset:512
	ds_read_b128 v[27:30], v9 offset:528
	ds_read_b128 v[31:34], v16
	ds_read_b128 v[47:50], v9 offset:544
	ds_read_b128 v[51:54], v10
	v_cmp_eq_u32_e64 s3, 1, v11
	s_waitcnt lgkmcnt(4)
	v_mul_f64 v[15:16], v[25:26], v[21:22]
	v_mul_f64 v[21:22], v[23:24], v[21:22]
	s_waitcnt lgkmcnt(2)
	v_mul_f64 v[35:36], v[29:30], v[33:34]
	v_mul_f64 v[33:34], v[27:28], v[33:34]
	;; [unrolled: 3-line block ×3, first 2 shown]
	v_fma_f64 v[15:16], v[23:24], v[19:20], -v[15:16]
	v_fma_f64 v[42:43], v[25:26], v[19:20], v[21:22]
	v_fma_f64 v[27:28], v[27:28], v[31:32], -v[35:36]
	v_fma_f64 v[29:30], v[29:30], v[31:32], v[33:34]
	ds_read_b128 v[19:22], v9 offset:560
	ds_read_b128 v[23:26], v17
	v_fma_f64 v[35:36], v[47:48], v[51:52], -v[55:56]
	s_waitcnt lgkmcnt(0)
	s_barrier
	buffer_gl0_inv
	v_add_f64 v[15:16], v[15:16], 0
	v_add_f64 v[31:32], v[42:43], 0
	v_mul_f64 v[33:34], v[21:22], v[25:26]
	v_mul_f64 v[25:26], v[19:20], v[25:26]
	v_fma_f64 v[42:43], v[49:50], v[51:52], v[53:54]
	v_add_f64 v[15:16], v[15:16], v[27:28]
	v_add_f64 v[27:28], v[31:32], v[29:30]
	v_fma_f64 v[19:20], v[19:20], v[23:24], -v[33:34]
	v_fma_f64 v[21:22], v[21:22], v[23:24], v[25:26]
	v_add_f64 v[15:16], v[15:16], v[35:36]
	v_add_f64 v[23:24], v[27:28], v[42:43]
	;; [unrolled: 1-line block ×4, first 2 shown]
	ds_write_b128 v46, v[19:22]
	s_waitcnt lgkmcnt(0)
	s_barrier
	buffer_gl0_inv
	s_and_saveexec_b32 s8, s3
	s_cbranch_execz .LBB128_69
; %bb.68:
	ds_read_b128 v[2:5], v45
	ds_read_b128 v[19:22], v45 offset:16
	s_waitcnt lgkmcnt(0)
	v_add_f64 v[15:16], v[19:20], v[2:3]
	v_add_f64 v[23:24], v[21:22], v[4:5]
	ds_read_b128 v[2:5], v45 offset:32
	ds_read_b128 v[19:22], v45 offset:48
	s_waitcnt lgkmcnt(1)
	v_add_f64 v[2:3], v[15:16], v[2:3]
	v_add_f64 v[4:5], v[23:24], v[4:5]
	s_waitcnt lgkmcnt(0)
	v_add_f64 v[15:16], v[2:3], v[19:20]
	v_add_f64 v[23:24], v[4:5], v[21:22]
	ds_read_b128 v[2:5], v45 offset:64
	ds_read_b128 v[19:22], v45 offset:80
	s_waitcnt lgkmcnt(1)
	v_add_f64 v[2:3], v[15:16], v[2:3]
	v_add_f64 v[4:5], v[23:24], v[4:5]
	;; [unrolled: 8-line block ×3, first 2 shown]
	s_waitcnt lgkmcnt(0)
	v_add_f64 v[2:3], v[2:3], v[19:20]
	v_add_f64 v[4:5], v[4:5], v[21:22]
.LBB128_69:
	s_or_b32 exec_lo, exec_lo, s8
	s_lshl_b64 s[8:9], s[22:23], 4
	v_cmp_ne_u32_e32 vcc_lo, 1, v18
	v_sub_co_u32 v42, s8, v7, s8
	v_subrev_co_ci_u32_e64 v43, null, s9, v8, s8
	s_barrier
	buffer_gl0_inv
	s_cbranch_vccnz .LBB128_74
; %bb.70:
	s_lshl_b64 s[8:9], s[12:13], 7
	global_load_dwordx4 v[15:18], v[42:43], off
	v_add_co_u32 v7, vcc_lo, v42, s8
	v_add_co_ci_u32_e64 v8, null, s9, v43, vcc_lo
	v_add_nc_u32_e32 v10, 8, v11
	v_add_co_u32 v23, vcc_lo, v7, s8
	v_add_co_ci_u32_e64 v24, null, s9, v8, vcc_lo
	v_add_co_u32 v27, vcc_lo, v23, s8
	v_add_co_ci_u32_e64 v28, null, s9, v24, vcc_lo
	s_movk_i32 s8, 0x1080
	s_clause 0x2
	global_load_dwordx4 v[19:22], v[7:8], off
	global_load_dwordx4 v[23:26], v[23:24], off
	;; [unrolled: 1-line block ×3, first 2 shown]
	v_mad_u32_u24 v7, 0x210, v10, s8
	s_movk_i32 s8, 0x2100
	v_add_nc_u32_e32 v8, 16, v11
	v_add_nc_u32_e32 v31, v12, v7
	s_waitcnt vmcnt(3)
	ds_write2_b64 v14, v[15:16], v[17:18] offset1:1
	v_mad_u32_u24 v16, 0x210, v10, s8
	v_mul_u32_u24_e32 v17, 0x210, v10
	v_mad_u32_u24 v18, 0x210, v10, v12
	v_add_nc_u32_e32 v15, 24, v11
	v_add_nc_u32_e32 v32, v12, v16
	s_waitcnt vmcnt(2)
	ds_write2_b64 v18, v[19:20], v[21:22] offset1:1
	s_waitcnt vmcnt(1)
	ds_write2_b64 v31, v[23:24], v[25:26] offset1:1
	;; [unrolled: 2-line block ×3, first 2 shown]
	s_cbranch_execz .LBB128_75
	s_branch .LBB128_92
.LBB128_71:
	ds_read_b128 v[19:22], v15
	v_lshl_add_u32 v23, v13, 4, v45
	s_waitcnt lgkmcnt(0)
	ds_write_b128 v23, v[19:22]
	s_or_b32 exec_lo, exec_lo, s11
	s_and_saveexec_b32 s3, s8
	s_cbranch_execz .LBB128_64
.LBB128_72:
	ds_read_b128 v[19:22], v16
	v_lshl_add_u32 v23, v13, 4, v45
	s_waitcnt lgkmcnt(0)
	ds_write_b128 v23, v[19:22] offset:16
	s_or_b32 exec_lo, exec_lo, s3
	s_and_saveexec_b32 s3, s9
	s_cbranch_execz .LBB128_65
.LBB128_73:
	ds_read_b128 v[19:22], v10
	v_lshl_add_u32 v23, v13, 4, v45
	s_waitcnt lgkmcnt(0)
	ds_write_b128 v23, v[19:22] offset:32
	s_or_b32 exec_lo, exec_lo, s3
	s_and_saveexec_b32 s3, s10
	s_cbranch_execnz .LBB128_66
	s_branch .LBB128_67
.LBB128_74:
                                        ; implicit-def: $vgpr10
                                        ; implicit-def: $vgpr17
                                        ; implicit-def: $vgpr8
                                        ; implicit-def: $vgpr7
                                        ; implicit-def: $vgpr15
                                        ; implicit-def: $vgpr16
.LBB128_75:
	v_lshlrev_b32_e32 v17, 4, v6
	s_ashr_i32 s19, s18, 31
	v_or_b32_e32 v6, 32, v6
	s_lshl_b64 s[10:11], s[18:19], 4
	v_cmp_le_i32_e64 s8, s18, v11
	v_sub_co_u32 v7, vcc_lo, v42, v17
	v_subrev_co_ci_u32_e64 v8, null, 0, v43, vcc_lo
	v_add_co_u32 v7, vcc_lo, v7, s10
	v_add_co_ci_u32_e64 v8, null, s11, v8, vcc_lo
	v_add_co_u32 v10, vcc_lo, 0xfffffdf0, v7
	v_add_co_ci_u32_e64 v7, null, -1, v8, vcc_lo
	v_cmp_gt_i32_e32 vcc_lo, s18, v6
	v_cndmask_b32_e32 v7, v7, v43, vcc_lo
	v_cndmask_b32_e32 v6, v10, v42, vcc_lo
	s_and_saveexec_b32 s9, s8
	s_xor_b32 s8, exec_lo, s9
	s_cbranch_execz .LBB128_77
; %bb.76:
	v_mov_b32_e32 v18, 0
	v_mov_b32_e32 v19, v18
	;; [unrolled: 1-line block ×4, first 2 shown]
	ds_write_b128 v14, v[18:21]
.LBB128_77:
	s_andn2_saveexec_b32 s8, s8
	s_cbranch_execz .LBB128_79
; %bb.78:
	global_load_dwordx4 v[18:21], v[6:7], off
	s_waitcnt vmcnt(0)
	ds_write2_b64 v14, v[18:19], v[20:21] offset1:1
.LBB128_79:
	s_or_b32 exec_lo, exec_lo, s8
	v_add_nc_u32_e32 v10, 8, v11
	v_cmp_le_i32_e64 s8, s18, v10
	s_and_saveexec_b32 s9, s8
	s_xor_b32 s8, exec_lo, s9
	s_cbranch_execz .LBB128_81
; %bb.80:
	v_mov_b32_e32 v18, 0
	v_mad_u32_u24 v8, 0x210, v10, v12
	v_mov_b32_e32 v19, v18
	v_mov_b32_e32 v20, v18
	;; [unrolled: 1-line block ×3, first 2 shown]
	ds_write_b128 v8, v[18:21]
.LBB128_81:
	s_andn2_saveexec_b32 s9, s8
	s_cbranch_execz .LBB128_83
; %bb.82:
	s_lshl_b64 s[22:23], s[12:13], 7
	v_mad_u32_u24 v8, 0x210, v10, v12
	v_add_co_u32 v15, s8, v6, s22
	v_add_co_ci_u32_e64 v16, null, s23, v7, s8
	global_load_dwordx4 v[18:21], v[15:16], off
	s_waitcnt vmcnt(0)
	ds_write2_b64 v8, v[18:19], v[20:21] offset1:1
.LBB128_83:
	s_or_b32 exec_lo, exec_lo, s9
	v_add_nc_u32_e32 v8, 16, v11
	v_cmp_le_i32_e64 s8, s18, v8
	s_and_saveexec_b32 s9, s8
	s_xor_b32 s8, exec_lo, s9
	s_cbranch_execz .LBB128_85
; %bb.84:
	v_mov_b32_e32 v18, 0
	v_mad_u32_u24 v15, 0x210, v8, v12
	v_mov_b32_e32 v19, v18
	v_mov_b32_e32 v20, v18
	;; [unrolled: 1-line block ×3, first 2 shown]
	ds_write_b128 v15, v[18:21]
.LBB128_85:
	s_andn2_saveexec_b32 s9, s8
	s_cbranch_execz .LBB128_87
; %bb.86:
	s_lshl_b64 s[22:23], s[12:13], 8
	v_add_co_u32 v15, s8, v6, s22
	v_add_co_ci_u32_e64 v16, null, s23, v7, s8
	global_load_dwordx4 v[18:21], v[15:16], off
	v_mad_u32_u24 v15, 0x210, v8, v12
	s_waitcnt vmcnt(0)
	ds_write2_b64 v15, v[18:19], v[20:21] offset1:1
.LBB128_87:
	s_or_b32 exec_lo, exec_lo, s9
	v_add_nc_u32_e32 v15, 24, v11
                                        ; implicit-def: $vgpr16
	v_cmp_le_i32_e64 s8, s18, v15
	s_and_saveexec_b32 s9, s8
	s_xor_b32 s8, exec_lo, s9
	s_cbranch_execz .LBB128_89
; %bb.88:
	v_mov_b32_e32 v18, 0
	v_mad_u32_u24 v22, 0x210, v15, v12
	v_mul_u32_u24_e32 v16, 0x210, v15
	v_mov_b32_e32 v19, v18
	v_mov_b32_e32 v20, v18
	;; [unrolled: 1-line block ×3, first 2 shown]
	ds_write_b128 v22, v[18:21]
.LBB128_89:
	s_andn2_saveexec_b32 s8, s8
	s_cbranch_execz .LBB128_91
; %bb.90:
	v_mad_u64_u32 v[18:19], null, 0x180, s12, v[6:7]
	v_mad_u32_u24 v22, 0x210, v15, v12
	v_mov_b32_e32 v16, v19
	v_mad_u64_u32 v[19:20], null, 0x180, s13, v[16:17]
	v_mul_u32_u24_e32 v16, 0x210, v15
	global_load_dwordx4 v[18:21], v[18:19], off
	s_waitcnt vmcnt(0)
	ds_write2_b64 v22, v[18:19], v[20:21] offset1:1
.LBB128_91:
	s_or_b32 exec_lo, exec_lo, s8
	v_add_co_u32 v6, s8, v6, v17
	v_add_co_ci_u32_e64 v7, null, 0, v7, s8
	v_mul_u32_u24_e32 v17, 0x210, v10
	v_sub_co_u32 v6, s8, v6, s10
	v_subrev_co_ci_u32_e64 v7, null, s11, v7, s8
	v_add_co_u32 v6, s8, 0x210, v6
	v_add_co_ci_u32_e64 v7, null, 0, v7, s8
	s_movk_i32 s8, 0x1080
	v_cndmask_b32_e32 v42, v6, v42, vcc_lo
	v_cndmask_b32_e32 v43, v7, v43, vcc_lo
	v_mad_u32_u24 v7, 0x210, v10, s8
.LBB128_92:
	v_lshlrev_b32_e32 v6, 4, v11
	s_waitcnt lgkmcnt(0)
	s_barrier
	buffer_gl0_inv
	v_add_nc_u32_e32 v7, v12, v7
	ds_read_b128 v[18:21], v6 offset:18176
	ds_read_b128 v[22:25], v14
	v_lshlrev_b32_e32 v6, 4, v10
	v_add_nc_u32_e32 v10, v12, v17
	v_add_nc_u32_e32 v12, v12, v16
	v_lshl_add_u32 v51, v13, 4, v45
	ds_read_b128 v[26:29], v6 offset:18176
	ds_read_b128 v[30:33], v10
	v_lshlrev_b32_e32 v6, 4, v8
	v_lshlrev_b32_e32 v8, 4, v15
	ds_read_b128 v[34:37], v6 offset:18176
	ds_read_b128 v[47:50], v7
	s_waitcnt lgkmcnt(4)
	v_mul_f64 v[10:11], v[20:21], v[24:25]
	v_mul_f64 v[24:25], v[18:19], v[24:25]
	s_waitcnt lgkmcnt(2)
	v_mul_f64 v[6:7], v[28:29], v[32:33]
	v_mul_f64 v[32:33], v[26:27], v[32:33]
	v_fma_f64 v[10:11], v[18:19], v[22:23], -v[10:11]
	v_fma_f64 v[22:23], v[20:21], v[22:23], v[24:25]
	s_waitcnt lgkmcnt(0)
	v_mul_f64 v[24:25], v[36:37], v[49:50]
	v_mul_f64 v[49:50], v[34:35], v[49:50]
	ds_read_b128 v[14:17], v8 offset:18176
	ds_read2_b64 v[18:21], v12 offset1:1
	v_fma_f64 v[6:7], v[26:27], v[30:31], -v[6:7]
	v_fma_f64 v[26:27], v[28:29], v[30:31], v[32:33]
	v_add_f64 v[10:11], v[10:11], 0
	v_add_f64 v[22:23], v[22:23], 0
	s_waitcnt lgkmcnt(0)
	v_mul_f64 v[28:29], v[16:17], v[20:21]
	v_mul_f64 v[20:21], v[14:15], v[20:21]
	v_fma_f64 v[24:25], v[34:35], v[47:48], -v[24:25]
	v_fma_f64 v[30:31], v[36:37], v[47:48], v[49:50]
	v_add_f64 v[6:7], v[10:11], v[6:7]
	v_add_f64 v[10:11], v[22:23], v[26:27]
	v_fma_f64 v[14:15], v[14:15], v[18:19], -v[28:29]
	v_fma_f64 v[16:17], v[16:17], v[18:19], v[20:21]
	v_add_f64 v[6:7], v[6:7], v[24:25]
	v_add_f64 v[10:11], v[10:11], v[30:31]
	ds_read_b128 v[30:33], v9 offset:512
	ds_read_b128 v[22:25], v9 offset:528
	v_add_f64 v[47:48], v[6:7], v[14:15]
	v_add_f64 v[49:50], v[10:11], v[16:17]
	ds_read_b128 v[10:13], v9 offset:544
	ds_read_b128 v[6:9], v9 offset:560
	ds_read_b128 v[34:37], v51
	ds_read_b128 v[26:29], v51 offset:16
	ds_read_b128 v[18:21], v51 offset:32
	;; [unrolled: 1-line block ×3, first 2 shown]
	s_waitcnt lgkmcnt(0)
	s_barrier
	buffer_gl0_inv
	ds_write_b128 v46, v[47:50]
	s_waitcnt lgkmcnt(0)
	s_barrier
	buffer_gl0_inv
	s_and_saveexec_b32 s8, s3
	s_cbranch_execz .LBB128_94
; %bb.93:
	ds_read_b128 v[47:50], v45
	ds_read_b128 v[51:54], v45 offset:16
	s_waitcnt lgkmcnt(1)
	v_add_f64 v[2:3], v[2:3], v[47:48]
	v_add_f64 v[4:5], v[4:5], v[49:50]
	s_waitcnt lgkmcnt(0)
	v_add_f64 v[51:52], v[2:3], v[51:52]
	v_add_f64 v[53:54], v[4:5], v[53:54]
	ds_read_b128 v[2:5], v45 offset:32
	ds_read_b128 v[47:50], v45 offset:48
	s_waitcnt lgkmcnt(1)
	v_add_f64 v[2:3], v[51:52], v[2:3]
	v_add_f64 v[4:5], v[53:54], v[4:5]
	s_waitcnt lgkmcnt(0)
	v_add_f64 v[51:52], v[2:3], v[47:48]
	v_add_f64 v[53:54], v[4:5], v[49:50]
	ds_read_b128 v[2:5], v45 offset:64
	;; [unrolled: 8-line block ×3, first 2 shown]
	ds_read_b128 v[47:50], v45 offset:112
	s_waitcnt lgkmcnt(1)
	v_add_f64 v[2:3], v[51:52], v[2:3]
	v_add_f64 v[4:5], v[53:54], v[4:5]
	s_waitcnt lgkmcnt(0)
	v_add_f64 v[2:3], v[2:3], v[47:48]
	v_add_f64 v[4:5], v[4:5], v[49:50]
.LBB128_94:
	s_or_b32 exec_lo, exec_lo, s8
	v_mul_f64 v[47:48], v[36:37], v[32:33]
	v_mul_f64 v[32:33], v[34:35], v[32:33]
	;; [unrolled: 1-line block ×4, first 2 shown]
	s_barrier
	buffer_gl0_inv
	v_fma_f64 v[34:35], v[34:35], v[30:31], -v[47:48]
	v_fma_f64 v[30:31], v[36:37], v[30:31], v[32:33]
	v_mul_f64 v[32:33], v[20:21], v[12:13]
	v_mul_f64 v[12:13], v[18:19], v[12:13]
	v_fma_f64 v[26:27], v[26:27], v[22:23], -v[49:50]
	v_fma_f64 v[22:23], v[28:29], v[22:23], v[24:25]
	v_add_f64 v[24:25], v[34:35], 0
	v_add_f64 v[28:29], v[30:31], 0
	v_mul_f64 v[30:31], v[16:17], v[8:9]
	v_mul_f64 v[8:9], v[14:15], v[8:9]
	v_fma_f64 v[18:19], v[18:19], v[10:11], -v[32:33]
	v_fma_f64 v[10:11], v[20:21], v[10:11], v[12:13]
	v_add_f64 v[12:13], v[24:25], v[26:27]
	v_add_f64 v[20:21], v[28:29], v[22:23]
	v_fma_f64 v[14:15], v[14:15], v[6:7], -v[30:31]
	v_fma_f64 v[8:9], v[16:17], v[6:7], v[8:9]
	v_add_f64 v[6:7], v[12:13], v[18:19]
	v_add_f64 v[10:11], v[20:21], v[10:11]
	;; [unrolled: 1-line block ×4, first 2 shown]
	ds_write_b128 v46, v[6:9]
	s_waitcnt lgkmcnt(0)
	s_barrier
	buffer_gl0_inv
	s_and_saveexec_b32 s3, s2
	s_cbranch_execz .LBB128_96
; %bb.95:
	ds_read_b128 v[6:9], v45
	ds_read_b128 v[10:13], v45 offset:16
	s_waitcnt lgkmcnt(1)
	v_add_f64 v[2:3], v[2:3], v[6:7]
	v_add_f64 v[4:5], v[4:5], v[8:9]
	s_waitcnt lgkmcnt(0)
	v_add_f64 v[10:11], v[2:3], v[10:11]
	v_add_f64 v[12:13], v[4:5], v[12:13]
	ds_read_b128 v[2:5], v45 offset:32
	ds_read_b128 v[6:9], v45 offset:48
	s_waitcnt lgkmcnt(1)
	v_add_f64 v[2:3], v[10:11], v[2:3]
	v_add_f64 v[4:5], v[12:13], v[4:5]
	s_waitcnt lgkmcnt(0)
	v_add_f64 v[10:11], v[2:3], v[6:7]
	v_add_f64 v[12:13], v[4:5], v[8:9]
	ds_read_b128 v[2:5], v45 offset:64
	;; [unrolled: 8-line block ×3, first 2 shown]
	ds_read_b128 v[6:9], v45 offset:112
	s_waitcnt lgkmcnt(1)
	v_add_f64 v[2:3], v[10:11], v[2:3]
	v_add_f64 v[4:5], v[12:13], v[4:5]
	s_waitcnt lgkmcnt(0)
	v_add_f64 v[2:3], v[2:3], v[6:7]
	v_add_f64 v[4:5], v[4:5], v[8:9]
.LBB128_96:
	s_or_b32 exec_lo, exec_lo, s3
	s_load_dwordx2 s[2:3], s[4:5], 0x78
	s_mul_hi_u32 s4, s24, s7
	s_mul_i32 s26, s26, s7
	s_mul_i32 s5, s24, s7
	s_add_i32 s4, s4, s26
	s_mul_hi_u32 s7, s5, s25
	s_mul_i32 s8, s4, s25
	s_mul_i32 s4, s5, s25
	s_add_i32 s5, s7, s8
	s_mul_i32 s8, s24, s6
	s_lshl_b64 s[4:5], s[4:5], 4
	v_cmp_le_i32_e32 vcc_lo, s18, v0
	v_lshlrev_b32_e32 v140, 4, v0
	s_waitcnt lgkmcnt(0)
	s_barrier
	buffer_gl0_inv
	s_add_u32 s4, s2, s4
	s_addc_u32 s5, s3, s5
	s_ashr_i32 s9, s8, 31
	s_lshl_b64 s[2:3], s[8:9], 4
	s_add_u32 s7, s4, s2
	s_addc_u32 s8, s5, s3
	s_and_b32 vcc_lo, s27, vcc_lo
	s_cmp_lt_i32 s6, 1
	s_cbranch_scc1 .LBB128_103
; %bb.97:
	v_lshlrev_b32_e32 v8, 2, v1
	v_sub_co_u32 v10, s2, v42, s14
	v_subrev_co_ci_u32_e64 v11, null, s15, v43, s2
	v_mad_u64_u32 v[6:7], null, s12, v8, 0
	v_sub_co_u32 v10, s2, v10, v40
	v_sub_co_ci_u32_e64 v11, null, v11, v41, s2
	s_ashr_i32 s19, s18, 31
	s_mul_i32 s3, s20, s17
	v_mad_u64_u32 v[7:8], null, s13, v8, v[7:8]
	s_lshl_b64 s[10:11], s[18:19], 4
	v_lshrrev_b32_e32 v8, 4, v44
	s_mul_hi_u32 s5, s20, s16
	v_and_b32_e32 v9, 15, v0
	s_mul_i32 s9, s21, s16
	s_add_i32 s3, s5, s3
	v_lshlrev_b64 v[6:7], 4, v[6:7]
	s_mul_i32 s4, s20, s16
	s_add_i32 s5, s3, s9
	v_or_b32_e32 v12, 0xf0, v140
	s_lshl_b64 s[4:5], s[4:5], 4
	v_mov_b32_e32 v137, 0
	v_add_co_u32 v6, s2, v10, v6
	v_add_co_ci_u32_e64 v7, null, v11, v7, s2
	v_add_nc_u32_e32 v143, 0x4300, v140
	v_add_co_u32 v10, s2, v6, s10
	v_add_co_ci_u32_e64 v11, null, s11, v7, s2
	v_add_co_u32 v6, s2, v6, v140
	v_add_co_ci_u32_e64 v7, null, 0, v7, s2
	v_add_co_u32 v10, s2, 0xfffffdf0, v10
	v_add_co_ci_u32_e64 v11, null, -1, v11, s2
	v_add_co_u32 v6, s2, 0xfffffe00, v6
	v_add_co_ci_u32_e64 v7, null, -1, v7, s2
	v_sub_co_u32 v141, s2, v38, s4
	v_cndmask_b32_e32 v6, v6, v10, vcc_lo
	v_cndmask_b32_e32 v7, v7, v11, vcc_lo
	v_and_b32_e32 v10, 48, v0
	v_lshlrev_b32_e32 v11, 6, v8
	v_mul_i32_i24_e32 v8, 0xffffffd0, v8
	v_subrev_co_ci_u32_e64 v142, null, s5, v39, s2
	v_lshlrev_b32_e32 v10, 4, v10
	v_mad_u32_u24 v147, 0x430, v9, v11
	v_lshl_add_u32 v144, v1, 6, 0x4300
	v_add_nc_u32_e32 v145, 0x4700, v140
	v_mad_u32_u24 v146, 0x10c0, v1, v140
	v_cmp_gt_u32_e64 s2, 64, v44
	v_mad_u32_u24 v148, 0x430, v9, v10
	v_mad_u32_u24 v149, 0x430, v9, v12
	v_add_nc_u32_e32 v150, v147, v8
	s_mul_i32 s3, s13, 0xd0
	s_mul_hi_u32 s9, s12, 0xd0
	s_lshl_b64 s[4:5], s[12:13], 4
	s_add_i32 s9, s9, s3
	s_mul_i32 s10, s12, 0xd0
	s_mov_b32 s11, 0
	s_branch .LBB128_99
.LBB128_98:                             ;   in Loop: Header=BB128_99 Depth=1
	s_or_b32 exec_lo, exec_lo, s12
	v_mul_f64 v[151:152], v[16:17], v[24:25]
	v_mul_f64 v[24:25], v[14:15], v[24:25]
	;; [unrolled: 1-line block ×4, first 2 shown]
	s_add_i32 s6, s6, -1
	s_add_i32 s11, s11, 64
	s_cmp_eq_u32 s6, 0
	s_waitcnt_vscnt null, 0x0
	s_barrier
	buffer_gl0_inv
	v_fma_f64 v[14:15], v[14:15], v[22:23], -v[151:152]
	v_fma_f64 v[16:17], v[16:17], v[22:23], v[24:25]
	v_mul_f64 v[22:23], v[12:13], v[32:33]
	v_mul_f64 v[24:25], v[10:11], v[32:33]
	v_fma_f64 v[18:19], v[18:19], v[26:27], -v[153:154]
	v_fma_f64 v[20:21], v[20:21], v[26:27], v[28:29]
	v_add_f64 v[2:3], v[2:3], v[14:15]
	v_add_f64 v[4:5], v[4:5], v[16:17]
	v_mul_f64 v[14:15], v[8:9], v[48:49]
	v_mul_f64 v[16:17], v[6:7], v[48:49]
	v_fma_f64 v[10:11], v[10:11], v[30:31], -v[22:23]
	v_fma_f64 v[12:13], v[12:13], v[30:31], v[24:25]
	v_add_f64 v[2:3], v[2:3], v[18:19]
	v_add_f64 v[4:5], v[4:5], v[20:21]
	;; [unrolled: 6-line block ×14, first 2 shown]
	v_fma_f64 v[6:7], v[114:115], v[118:119], -v[6:7]
	v_fma_f64 v[8:9], v[116:117], v[118:119], v[8:9]
	v_add_f64 v[2:3], v[2:3], v[10:11]
	v_add_f64 v[4:5], v[4:5], v[12:13]
	;; [unrolled: 1-line block ×4, first 2 shown]
	v_add_co_u32 v6, s3, v138, s10
	v_add_co_ci_u32_e64 v7, null, s9, v139, s3
	s_cbranch_scc1 .LBB128_103
.LBB128_99:                             ; =>This Inner Loop Header: Depth=1
	s_and_saveexec_b32 s12, s1
	s_cbranch_execz .LBB128_101
; %bb.100:                              ;   in Loop: Header=BB128_99 Depth=1
	s_mul_i32 s3, s21, s11
	s_mul_hi_u32 s13, s20, s11
	s_mul_i32 s14, s20, s11
	s_add_i32 s15, s13, s3
	s_lshl_b64 s[14:15], s[14:15], 4
	v_add_co_u32 v8, s3, v141, s14
	v_add_co_ci_u32_e64 v9, null, s15, v142, s3
	global_load_dwordx4 v[8:11], v[8:9], off
	s_waitcnt vmcnt(0)
	ds_write2_b64 v143, v[8:9], v[10:11] offset1:1
.LBB128_101:                            ;   in Loop: Header=BB128_99 Depth=1
	s_or_b32 exec_lo, exec_lo, s12
	v_add_co_u32 v8, s3, v6, s4
	v_add_co_ci_u32_e64 v9, null, s5, v7, s3
	s_waitcnt lgkmcnt(0)
	v_add_co_u32 v10, s3, v8, s4
	v_add_co_ci_u32_e64 v11, null, s5, v9, s3
	s_barrier
	v_add_co_u32 v29, s3, v10, s4
	buffer_gl0_inv
	global_load_dwordx4 v[14:17], v[6:7], off
	v_add_co_ci_u32_e64 v30, null, s5, v11, s3
	s_clause 0x2
	global_load_dwordx4 v[18:21], v[8:9], off
	global_load_dwordx4 v[10:13], v[10:11], off
	;; [unrolled: 1-line block ×3, first 2 shown]
	ds_read_b128 v[22:25], v145
	v_add_co_u32 v54, s3, v29, s10
	v_add_co_ci_u32_e64 v55, null, s9, v30, s3
	v_add_co_u32 v56, s3, v54, s4
	v_add_co_ci_u32_e64 v57, null, s5, v55, s3
	;; [unrolled: 2-line block ×5, first 2 shown]
	s_waitcnt vmcnt(3) lgkmcnt(0)
	v_mul_f64 v[26:27], v[16:17], v[24:25]
	v_mul_f64 v[31:32], v[14:15], v[24:25]
	s_waitcnt vmcnt(2)
	v_mul_f64 v[38:39], v[20:21], v[24:25]
	v_mul_f64 v[40:41], v[18:19], v[24:25]
	s_waitcnt vmcnt(1)
	;; [unrolled: 3-line block ×3, first 2 shown]
	v_mul_f64 v[46:47], v[8:9], v[24:25]
	v_mul_f64 v[24:25], v[6:7], v[24:25]
	v_fma_f64 v[34:35], v[14:15], v[22:23], -v[26:27]
	v_fma_f64 v[36:37], v[16:17], v[22:23], v[31:32]
	v_fma_f64 v[38:39], v[18:19], v[22:23], -v[38:39]
	v_fma_f64 v[40:41], v[20:21], v[22:23], v[40:41]
	;; [unrolled: 2-line block ×4, first 2 shown]
	ds_read_b128 v[22:25], v144
	ds_read_b128 v[26:29], v144 offset:16
	ds_read_b128 v[30:33], v144 offset:32
	;; [unrolled: 1-line block ×3, first 2 shown]
	ds_write_b128 v146, v[34:37]
	ds_write_b128 v146, v[38:41] offset:1072
	ds_write_b128 v146, v[42:45] offset:2144
	;; [unrolled: 1-line block ×3, first 2 shown]
	s_waitcnt lgkmcnt(0)
	s_barrier
	buffer_gl0_inv
	ds_read_b128 v[86:89], v147
	ds_read_b128 v[90:93], v147 offset:16
	ds_read_b128 v[94:97], v147 offset:32
	;; [unrolled: 1-line block ×3, first 2 shown]
	s_waitcnt lgkmcnt(0)
	s_barrier
	buffer_gl0_inv
	s_clause 0x3
	global_load_dwordx4 v[50:53], v[54:55], off
	global_load_dwordx4 v[42:45], v[56:57], off
	;; [unrolled: 1-line block ×4, first 2 shown]
	ds_read_b128 v[54:57], v145
	v_add_f64 v[86:87], v[86:87], 0
	v_add_f64 v[88:89], v[88:89], 0
	;; [unrolled: 1-line block ×7, first 2 shown]
	s_waitcnt vmcnt(2) lgkmcnt(0)
	v_mul_f64 v[62:63], v[44:45], v[56:57]
	v_mul_f64 v[58:59], v[52:53], v[56:57]
	;; [unrolled: 1-line block ×4, first 2 shown]
	s_waitcnt vmcnt(1)
	v_mul_f64 v[69:70], v[40:41], v[56:57]
	v_mul_f64 v[71:72], v[38:39], v[56:57]
	s_waitcnt vmcnt(0)
	v_mul_f64 v[73:74], v[36:37], v[56:57]
	v_mul_f64 v[75:76], v[34:35], v[56:57]
	v_fma_f64 v[56:57], v[50:51], v[54:55], -v[58:59]
	v_fma_f64 v[58:59], v[52:53], v[54:55], v[60:61]
	v_fma_f64 v[60:61], v[42:43], v[54:55], -v[62:63]
	v_fma_f64 v[62:63], v[44:45], v[54:55], v[64:65]
	;; [unrolled: 2-line block ×4, first 2 shown]
	v_add_co_u32 v54, s3, v102, s4
	v_add_co_ci_u32_e64 v55, null, s5, v103, s3
	ds_read_b128 v[82:85], v144 offset:256
	ds_read_b128 v[78:81], v144 offset:272
	;; [unrolled: 1-line block ×4, first 2 shown]
	v_add_co_u32 v104, s3, v54, s4
	v_add_co_ci_u32_e64 v105, null, s5, v55, s3
	ds_write_b128 v146, v[56:59]
	ds_write_b128 v146, v[60:63] offset:1072
	ds_write_b128 v146, v[64:67] offset:2144
	;; [unrolled: 1-line block ×3, first 2 shown]
	v_add_co_u32 v106, s3, v104, s4
	s_waitcnt lgkmcnt(0)
	s_barrier
	buffer_gl0_inv
	ds_read_b128 v[98:101], v147
	ds_read_b128 v[114:117], v147 offset:16
	ds_read_b128 v[118:121], v147 offset:32
	;; [unrolled: 1-line block ×3, first 2 shown]
	s_waitcnt lgkmcnt(0)
	s_barrier
	buffer_gl0_inv
	global_load_dwordx4 v[66:69], v[102:103], off
	v_add_co_ci_u32_e64 v107, null, s5, v105, s3
	s_clause 0x1
	global_load_dwordx4 v[62:65], v[54:55], off
	global_load_dwordx4 v[58:61], v[104:105], off
	;; [unrolled: 1-line block ×3, first 2 shown]
	ds_read_b128 v[102:105], v145
	v_add_f64 v[157:158], v[98:99], 0
	v_add_f64 v[161:162], v[100:101], 0
	;; [unrolled: 1-line block ×9, first 2 shown]
	s_waitcnt vmcnt(3) lgkmcnt(0)
	v_mul_f64 v[108:109], v[68:69], v[104:105]
	v_mul_f64 v[126:127], v[66:67], v[104:105]
	s_waitcnt vmcnt(2)
	v_mul_f64 v[128:129], v[64:65], v[104:105]
	v_mul_f64 v[130:131], v[62:63], v[104:105]
	s_waitcnt vmcnt(1)
	;; [unrolled: 3-line block ×3, first 2 shown]
	v_mul_f64 v[151:152], v[56:57], v[104:105]
	v_mul_f64 v[104:105], v[54:55], v[104:105]
	v_fma_f64 v[86:87], v[66:67], v[102:103], -v[108:109]
	v_fma_f64 v[88:89], v[68:69], v[102:103], v[126:127]
	v_fma_f64 v[90:91], v[62:63], v[102:103], -v[128:129]
	v_fma_f64 v[92:93], v[64:65], v[102:103], v[130:131]
	;; [unrolled: 2-line block ×4, first 2 shown]
	v_add_co_u32 v138, s3, v106, s10
	v_add_co_ci_u32_e64 v139, null, s9, v107, s3
	ds_read_b128 v[106:109], v144 offset:512
	ds_read_b128 v[102:105], v144 offset:528
	ds_read_b128 v[98:101], v144 offset:544
	ds_read_b128 v[94:97], v144 offset:560
	ds_write_b128 v146, v[86:89]
	ds_write_b128 v146, v[90:93] offset:1072
	ds_write_b128 v146, v[126:129] offset:2144
	;; [unrolled: 1-line block ×3, first 2 shown]
	s_waitcnt lgkmcnt(0)
	s_barrier
	buffer_gl0_inv
	ds_read_b128 v[126:129], v147
	ds_read_b128 v[130:133], v147 offset:16
	ds_read_b128 v[151:154], v147 offset:32
	;; [unrolled: 1-line block ×3, first 2 shown]
	s_waitcnt lgkmcnt(0)
	s_barrier
	buffer_gl0_inv
	global_load_dwordx4 v[90:93], v[138:139], off
	ds_read_b128 v[118:121], v145
	v_add_co_u32 v167, s3, v138, s4
	v_add_co_ci_u32_e64 v168, null, s5, v139, s3
	v_add_co_u32 v171, s3, v167, s4
	global_load_dwordx4 v[86:89], v[167:168], off
	v_add_co_ci_u32_e64 v172, null, s5, v168, s3
	v_add_co_u32 v138, s3, v171, s4
	v_add_co_ci_u32_e64 v139, null, s5, v172, s3
	s_waitcnt vmcnt(1) lgkmcnt(0)
	v_mul_f64 v[110:111], v[92:93], v[120:121]
	v_mul_f64 v[112:113], v[90:91], v[120:121]
	s_waitcnt vmcnt(0)
	v_mul_f64 v[114:115], v[88:89], v[120:121]
	v_mul_f64 v[116:117], v[86:87], v[120:121]
	v_fma_f64 v[122:123], v[90:91], v[118:119], -v[110:111]
	v_fma_f64 v[124:125], v[92:93], v[118:119], v[112:113]
	global_load_dwordx4 v[110:113], v[171:172], off
	v_fma_f64 v[167:168], v[86:87], v[118:119], -v[114:115]
	v_fma_f64 v[169:170], v[88:89], v[118:119], v[116:117]
	ds_write_b128 v146, v[122:125]
	ds_read_b128 v[122:125], v144 offset:800
	ds_write_b128 v146, v[167:170] offset:1072
	s_waitcnt vmcnt(0)
	v_mul_f64 v[114:115], v[112:113], v[120:121]
	v_mul_f64 v[116:117], v[110:111], v[120:121]
	v_fma_f64 v[171:172], v[110:111], v[118:119], -v[114:115]
	v_fma_f64 v[173:174], v[112:113], v[118:119], v[116:117]
	global_load_dwordx4 v[114:117], v[138:139], off
	ds_write_b128 v146, v[171:174] offset:2144
	s_waitcnt vmcnt(0)
	v_mul_f64 v[175:176], v[116:117], v[120:121]
	v_mul_f64 v[120:121], v[114:115], v[120:121]
	v_fma_f64 v[175:176], v[114:115], v[118:119], -v[175:176]
	v_fma_f64 v[177:178], v[116:117], v[118:119], v[120:121]
	v_add_f64 v[118:119], v[126:127], 0
	v_add_f64 v[120:121], v[128:129], 0
	ds_read_b128 v[126:129], v144 offset:784
	ds_write_b128 v146, v[175:178] offset:3216
	v_add_f64 v[118:119], v[118:119], v[130:131]
	v_add_f64 v[120:121], v[120:121], v[132:133]
	ds_read_b128 v[130:133], v144 offset:768
	v_add_f64 v[118:119], v[118:119], v[151:152]
	v_add_f64 v[120:121], v[120:121], v[153:154]
	;; [unrolled: 1-line block ×4, first 2 shown]
	ds_read_b128 v[118:121], v144 offset:816
	s_waitcnt lgkmcnt(0)
	s_barrier
	buffer_gl0_inv
	ds_read_b128 v[155:158], v147
	s_waitcnt lgkmcnt(0)
	v_add_f64 v[167:168], v[155:156], 0
	v_add_f64 v[169:170], v[157:158], 0
	ds_read_b128 v[155:158], v147 offset:16
	s_waitcnt lgkmcnt(0)
	v_add_f64 v[167:168], v[167:168], v[155:156]
	v_add_f64 v[169:170], v[169:170], v[157:158]
	ds_read_b128 v[155:158], v147 offset:32
	;; [unrolled: 4-line block ×3, first 2 shown]
	s_waitcnt lgkmcnt(0)
	s_barrier
	buffer_gl0_inv
	v_add_f64 v[155:156], v[167:168], v[155:156]
	v_add_f64 v[157:158], v[169:170], v[157:158]
	ds_write_b128 v150, v[159:162]
	ds_write_b128 v150, v[163:166] offset:256
	ds_write_b128 v150, v[151:154] offset:512
	;; [unrolled: 1-line block ×3, first 2 shown]
	s_waitcnt lgkmcnt(0)
	s_barrier
	buffer_gl0_inv
	s_and_saveexec_b32 s12, s2
	s_cbranch_execz .LBB128_98
; %bb.102:                              ;   in Loop: Header=BB128_99 Depth=1
	ds_read_b128 v[151:154], v148
	ds_read_b128 v[155:158], v148 offset:16
	v_add_nc_u32_e32 v136, s11, v0
	s_waitcnt lgkmcnt(0)
	v_add_f64 v[159:160], v[155:156], v[151:152]
	v_add_f64 v[161:162], v[157:158], v[153:154]
	ds_read_b128 v[151:154], v148 offset:32
	ds_read_b128 v[155:158], v148 offset:48
	s_waitcnt lgkmcnt(1)
	v_add_f64 v[151:152], v[159:160], v[151:152]
	v_add_f64 v[153:154], v[161:162], v[153:154]
	s_waitcnt lgkmcnt(0)
	v_add_f64 v[159:160], v[151:152], v[155:156]
	v_add_f64 v[161:162], v[153:154], v[157:158]
	ds_read_b128 v[151:154], v148 offset:64
	ds_read_b128 v[155:158], v148 offset:80
	s_waitcnt lgkmcnt(1)
	v_add_f64 v[151:152], v[159:160], v[151:152]
	v_add_f64 v[153:154], v[161:162], v[153:154]
	;; [unrolled: 8-line block ×6, first 2 shown]
	s_waitcnt lgkmcnt(0)
	v_add_f64 v[159:160], v[151:152], v[155:156]
	v_add_f64 v[161:162], v[153:154], v[157:158]
	ds_read_b128 v[151:154], v148 offset:224
	ds_read_b128 v[155:158], v149
	s_waitcnt lgkmcnt(1)
	v_add_f64 v[151:152], v[159:160], v[151:152]
	v_add_f64 v[153:154], v[161:162], v[153:154]
	s_waitcnt lgkmcnt(0)
	v_add_f64 v[151:152], v[151:152], v[155:156]
	v_add_f64 v[153:154], v[153:154], v[157:158]
	v_lshlrev_b64 v[155:156], 4, v[136:137]
	v_add_co_u32 v155, s3, s7, v155
	v_add_co_ci_u32_e64 v156, null, s8, v156, s3
	global_store_dwordx4 v[155:156], v[151:154], off
	s_branch .LBB128_98
.LBB128_103:
	v_mad_u32_u24 v0, 0x430, v1, v140
	s_nor_b32 s0, s0, vcc_lo
	ds_write_b128 v0, v[2:5]
	s_waitcnt lgkmcnt(0)
	s_barrier
	buffer_gl0_inv
	s_and_saveexec_b32 s1, s0
	s_cbranch_execz .LBB128_105
; %bb.104:
	ds_read_b128 v[0:3], v140 offset:1072
	ds_read_b128 v[4:7], v140
	s_waitcnt lgkmcnt(0)
	v_add_f64 v[8:9], v[0:1], v[4:5]
	v_add_f64 v[10:11], v[2:3], v[6:7]
	ds_read_b128 v[0:3], v140 offset:2144
	ds_read_b128 v[4:7], v140 offset:3216
	s_waitcnt lgkmcnt(1)
	v_add_f64 v[0:1], v[8:9], v[0:1]
	v_add_f64 v[2:3], v[10:11], v[2:3]
	s_waitcnt lgkmcnt(0)
	v_add_f64 v[0:1], v[0:1], v[4:5]
	v_add_f64 v[2:3], v[2:3], v[6:7]
	v_lshlrev_b64 v[4:5], 4, v[134:135]
	v_add_co_u32 v4, vcc_lo, s7, v4
	v_add_co_ci_u32_e64 v5, null, s8, v5, vcc_lo
	global_store_dwordx4 v[4:5], v[0:3], off
.LBB128_105:
	s_endpgm
	.section	.rodata,"a",@progbits
	.p2align	6, 0x0
	.amdhsa_kernel _ZL26rocblas_hemvn_kernel_lowerILb0ELi64ELi4ELi33ELi32ELi16El19rocblas_complex_numIdEPKS1_PS1_EviT6_lT7_lT5_lS6_lS7_lS5_lT8_i
		.amdhsa_group_segment_fixed_size 19200
		.amdhsa_private_segment_fixed_size 0
		.amdhsa_kernarg_size 392
		.amdhsa_user_sgpr_count 6
		.amdhsa_user_sgpr_private_segment_buffer 1
		.amdhsa_user_sgpr_dispatch_ptr 0
		.amdhsa_user_sgpr_queue_ptr 0
		.amdhsa_user_sgpr_kernarg_segment_ptr 1
		.amdhsa_user_sgpr_dispatch_id 0
		.amdhsa_user_sgpr_flat_scratch_init 0
		.amdhsa_user_sgpr_private_segment_size 0
		.amdhsa_wavefront_size32 1
		.amdhsa_uses_dynamic_stack 0
		.amdhsa_system_sgpr_private_segment_wavefront_offset 0
		.amdhsa_system_sgpr_workgroup_id_x 1
		.amdhsa_system_sgpr_workgroup_id_y 0
		.amdhsa_system_sgpr_workgroup_id_z 1
		.amdhsa_system_sgpr_workgroup_info 0
		.amdhsa_system_vgpr_workitem_id 1
		.amdhsa_next_free_vgpr 179
		.amdhsa_next_free_sgpr 32
		.amdhsa_reserve_vcc 1
		.amdhsa_reserve_flat_scratch 0
		.amdhsa_float_round_mode_32 0
		.amdhsa_float_round_mode_16_64 0
		.amdhsa_float_denorm_mode_32 3
		.amdhsa_float_denorm_mode_16_64 3
		.amdhsa_dx10_clamp 1
		.amdhsa_ieee_mode 1
		.amdhsa_fp16_overflow 0
		.amdhsa_workgroup_processor_mode 1
		.amdhsa_memory_ordered 1
		.amdhsa_forward_progress 1
		.amdhsa_shared_vgpr_count 0
		.amdhsa_exception_fp_ieee_invalid_op 0
		.amdhsa_exception_fp_denorm_src 0
		.amdhsa_exception_fp_ieee_div_zero 0
		.amdhsa_exception_fp_ieee_overflow 0
		.amdhsa_exception_fp_ieee_underflow 0
		.amdhsa_exception_fp_ieee_inexact 0
		.amdhsa_exception_int_div_zero 0
	.end_amdhsa_kernel
	.section	.text._ZL26rocblas_hemvn_kernel_lowerILb0ELi64ELi4ELi33ELi32ELi16El19rocblas_complex_numIdEPKS1_PS1_EviT6_lT7_lT5_lS6_lS7_lS5_lT8_i,"axG",@progbits,_ZL26rocblas_hemvn_kernel_lowerILb0ELi64ELi4ELi33ELi32ELi16El19rocblas_complex_numIdEPKS1_PS1_EviT6_lT7_lT5_lS6_lS7_lS5_lT8_i,comdat
.Lfunc_end128:
	.size	_ZL26rocblas_hemvn_kernel_lowerILb0ELi64ELi4ELi33ELi32ELi16El19rocblas_complex_numIdEPKS1_PS1_EviT6_lT7_lT5_lS6_lS7_lS5_lT8_i, .Lfunc_end128-_ZL26rocblas_hemvn_kernel_lowerILb0ELi64ELi4ELi33ELi32ELi16El19rocblas_complex_numIdEPKS1_PS1_EviT6_lT7_lT5_lS6_lS7_lS5_lT8_i
                                        ; -- End function
	.set _ZL26rocblas_hemvn_kernel_lowerILb0ELi64ELi4ELi33ELi32ELi16El19rocblas_complex_numIdEPKS1_PS1_EviT6_lT7_lT5_lS6_lS7_lS5_lT8_i.num_vgpr, 179
	.set _ZL26rocblas_hemvn_kernel_lowerILb0ELi64ELi4ELi33ELi32ELi16El19rocblas_complex_numIdEPKS1_PS1_EviT6_lT7_lT5_lS6_lS7_lS5_lT8_i.num_agpr, 0
	.set _ZL26rocblas_hemvn_kernel_lowerILb0ELi64ELi4ELi33ELi32ELi16El19rocblas_complex_numIdEPKS1_PS1_EviT6_lT7_lT5_lS6_lS7_lS5_lT8_i.numbered_sgpr, 32
	.set _ZL26rocblas_hemvn_kernel_lowerILb0ELi64ELi4ELi33ELi32ELi16El19rocblas_complex_numIdEPKS1_PS1_EviT6_lT7_lT5_lS6_lS7_lS5_lT8_i.num_named_barrier, 0
	.set _ZL26rocblas_hemvn_kernel_lowerILb0ELi64ELi4ELi33ELi32ELi16El19rocblas_complex_numIdEPKS1_PS1_EviT6_lT7_lT5_lS6_lS7_lS5_lT8_i.private_seg_size, 0
	.set _ZL26rocblas_hemvn_kernel_lowerILb0ELi64ELi4ELi33ELi32ELi16El19rocblas_complex_numIdEPKS1_PS1_EviT6_lT7_lT5_lS6_lS7_lS5_lT8_i.uses_vcc, 1
	.set _ZL26rocblas_hemvn_kernel_lowerILb0ELi64ELi4ELi33ELi32ELi16El19rocblas_complex_numIdEPKS1_PS1_EviT6_lT7_lT5_lS6_lS7_lS5_lT8_i.uses_flat_scratch, 0
	.set _ZL26rocblas_hemvn_kernel_lowerILb0ELi64ELi4ELi33ELi32ELi16El19rocblas_complex_numIdEPKS1_PS1_EviT6_lT7_lT5_lS6_lS7_lS5_lT8_i.has_dyn_sized_stack, 0
	.set _ZL26rocblas_hemvn_kernel_lowerILb0ELi64ELi4ELi33ELi32ELi16El19rocblas_complex_numIdEPKS1_PS1_EviT6_lT7_lT5_lS6_lS7_lS5_lT8_i.has_recursion, 0
	.set _ZL26rocblas_hemvn_kernel_lowerILb0ELi64ELi4ELi33ELi32ELi16El19rocblas_complex_numIdEPKS1_PS1_EviT6_lT7_lT5_lS6_lS7_lS5_lT8_i.has_indirect_call, 0
	.section	.AMDGPU.csdata,"",@progbits
; Kernel info:
; codeLenInByte = 9792
; TotalNumSgprs: 34
; NumVgprs: 179
; ScratchSize: 0
; MemoryBound: 0
; FloatMode: 240
; IeeeMode: 1
; LDSByteSize: 19200 bytes/workgroup (compile time only)
; SGPRBlocks: 0
; VGPRBlocks: 22
; NumSGPRsForWavesPerEU: 34
; NumVGPRsForWavesPerEU: 179
; Occupancy: 5
; WaveLimiterHint : 0
; COMPUTE_PGM_RSRC2:SCRATCH_EN: 0
; COMPUTE_PGM_RSRC2:USER_SGPR: 6
; COMPUTE_PGM_RSRC2:TRAP_HANDLER: 0
; COMPUTE_PGM_RSRC2:TGID_X_EN: 1
; COMPUTE_PGM_RSRC2:TGID_Y_EN: 0
; COMPUTE_PGM_RSRC2:TGID_Z_EN: 1
; COMPUTE_PGM_RSRC2:TIDIG_COMP_CNT: 1
	.section	.text._ZL26rocblas_hemvn_kernel_lowerILb0ELi64ELi4ELi33ELi32ELi16Ei19rocblas_complex_numIdEPKS1_PS1_EviT6_lT7_lT5_lS6_lS7_lS5_lT8_i,"axG",@progbits,_ZL26rocblas_hemvn_kernel_lowerILb0ELi64ELi4ELi33ELi32ELi16Ei19rocblas_complex_numIdEPKS1_PS1_EviT6_lT7_lT5_lS6_lS7_lS5_lT8_i,comdat
	.globl	_ZL26rocblas_hemvn_kernel_lowerILb0ELi64ELi4ELi33ELi32ELi16Ei19rocblas_complex_numIdEPKS1_PS1_EviT6_lT7_lT5_lS6_lS7_lS5_lT8_i ; -- Begin function _ZL26rocblas_hemvn_kernel_lowerILb0ELi64ELi4ELi33ELi32ELi16Ei19rocblas_complex_numIdEPKS1_PS1_EviT6_lT7_lT5_lS6_lS7_lS5_lT8_i
	.p2align	8
	.type	_ZL26rocblas_hemvn_kernel_lowerILb0ELi64ELi4ELi33ELi32ELi16Ei19rocblas_complex_numIdEPKS1_PS1_EviT6_lT7_lT5_lS6_lS7_lS5_lT8_i,@function
_ZL26rocblas_hemvn_kernel_lowerILb0ELi64ELi4ELi33ELi32ELi16Ei19rocblas_complex_numIdEPKS1_PS1_EviT6_lT7_lT5_lS6_lS7_lS5_lT8_i: ; @_ZL26rocblas_hemvn_kernel_lowerILb0ELi64ELi4ELi33ELi32ELi16Ei19rocblas_complex_numIdEPKS1_PS1_EviT6_lT7_lT5_lS6_lS7_lS5_lT8_i
; %bb.0:
	s_load_dwordx2 s[0:1], s[4:5], 0x94
	s_add_u32 s14, s4, 0x88
	s_addc_u32 s15, s5, 0
	s_waitcnt lgkmcnt(0)
	s_lshr_b32 s2, s0, 16
	s_and_b32 s0, s0, 0xffff
	s_and_b32 s1, s1, 0xffff
	s_mul_i32 s0, s2, s0
	s_mul_i32 s0, s0, s1
	s_cmpk_lg_i32 s0, 0x100
	s_cbranch_scc1 .LBB129_105
; %bb.1:
	s_load_dwordx4 s[0:3], s[4:5], 0x8
	v_mov_b32_e32 v2, v1
	s_waitcnt lgkmcnt(0)
	v_cmp_neq_f64_e64 s10, s[0:1], 0
	v_cmp_neq_f64_e64 s11, s[2:3], 0
	s_clause 0x1
	s_load_dwordx4 s[0:3], s[4:5], 0x58
	s_load_dwordx2 s[8:9], s[4:5], 0x68
	s_or_b32 s10, s10, s11
	s_mov_b32 s11, -1
	s_and_b32 vcc_lo, exec_lo, s10
	s_cbranch_vccnz .LBB129_3
; %bb.2:
	s_waitcnt lgkmcnt(0)
	v_cmp_neq_f64_e64 s2, s[2:3], 1.0
	v_cmp_neq_f64_e64 s3, s[8:9], 0
	s_or_b32 s11, s2, s3
.LBB129_3:
	s_andn2_b32 vcc_lo, exec_lo, s11
	s_cbranch_vccnz .LBB129_105
; %bb.4:
	s_andn2_b32 vcc_lo, exec_lo, s10
	s_cbranch_vccnz .LBB129_105
; %bb.5:
	s_waitcnt lgkmcnt(0)
	s_clause 0x2
	s_load_dwordx4 s[8:11], s[4:5], 0x38
	s_load_dwordx2 s[2:3], s[4:5], 0x48
	s_load_dword s24, s[4:5], 0x50
	s_mul_i32 s1, s1, s7
	s_mul_hi_u32 s12, s0, s7
	s_mul_i32 s0, s0, s7
	s_add_i32 s1, s12, s1
	s_load_dword s25, s[4:5], 0x0
	s_lshl_b64 s[0:1], s[0:1], 4
	s_load_dword s26, s[14:15], 0x0
	s_waitcnt lgkmcnt(0)
	s_add_u32 s10, s10, s0
	s_addc_u32 s11, s11, s1
	s_lshl_b64 s[0:1], s[2:3], 4
	s_add_u32 s2, s10, s0
	s_addc_u32 s1, s11, s1
	s_lshl_b32 s12, s6, 6
	s_ashr_i32 s27, s25, 31
	v_add_nc_u32_e32 v139, s12, v0
	s_lshr_b32 s0, s27, 26
	s_add_i32 s10, s26, -1
	s_add_i32 s3, s25, s0
	v_cmp_ne_u32_e64 s0, 0, v2
	v_mul_lo_u32 v3, s24, v139
	s_andn2_b32 s3, s3, 63
	s_sub_i32 s3, s25, s3
	s_cmp_eq_u32 s6, s10
	s_cselect_b32 s14, s3, 0
	v_ashrrev_i32_e32 v4, 31, v3
	v_lshlrev_b64 v[3:4], 4, v[3:4]
	v_add_co_u32 v39, vcc_lo, s2, v3
	v_add_co_ci_u32_e64 v40, null, s1, v4, vcc_lo
	v_cmp_eq_u32_e64 s1, 0, v2
	s_mov_b32 s2, -1
	s_and_saveexec_b32 s3, s1
	s_cbranch_execz .LBB129_10
; %bb.6:
	v_cmp_le_i32_e32 vcc_lo, s14, v0
	s_cmp_lg_u32 s14, 0
	v_lshl_add_u32 v1, v0, 4, 0x4700
	s_cselect_b32 s10, -1, 0
	s_and_b32 s10, s10, vcc_lo
	s_and_saveexec_b32 s11, s10
	s_xor_b32 s10, exec_lo, s11
	s_cbranch_execz .LBB129_8
; %bb.7:
	v_mov_b32_e32 v3, 0
	v_mov_b32_e32 v4, v3
	v_mov_b32_e32 v5, v3
	v_mov_b32_e32 v6, v3
	ds_write_b128 v1, v[3:6]
                                        ; implicit-def: $vgpr1
.LBB129_8:
	s_andn2_saveexec_b32 s10, s10
	s_cbranch_execz .LBB129_10
; %bb.9:
	global_load_dwordx4 v[3:6], v[39:40], off
	s_waitcnt vmcnt(0)
	ds_write2_b64 v1, v[3:4], v[5:6] offset1:1
.LBB129_10:
	s_or_b32 exec_lo, exec_lo, s3
	s_clause 0x1
	s_load_dwordx4 s[20:23], s[4:5], 0x20
	s_load_dword s16, s[4:5], 0x30
	v_lshl_add_u32 v45, v2, 6, v0
	v_and_b32_e32 v1, 31, v0
	s_mul_i32 s3, s9, s7
	s_mul_hi_u32 s9, s8, s7
	s_mul_i32 s8, s8, s7
	v_lshrrev_b32_e32 v11, 5, v45
	s_add_i32 s9, s9, s3
	s_lshl_b64 s[8:9], s[8:9], 4
	s_waitcnt lgkmcnt(0)
	s_add_u32 s3, s20, s8
	v_mad_u64_u32 v[3:4], null, s16, v11, v[1:2]
	s_addc_u32 s10, s21, s9
	s_lshl_b64 s[8:9], s[22:23], 4
	s_add_u32 s3, s3, s8
	s_addc_u32 s11, s10, s9
	s_ashr_i32 s13, s12, 31
	v_ashrrev_i32_e32 v4, 31, v3
	s_lshl_b64 s[8:9], s[12:13], 4
	s_mul_i32 s10, s16, s12
	s_add_u32 s3, s3, s8
	s_addc_u32 s8, s11, s9
	v_lshlrev_b64 v[41:42], 4, v[3:4]
	s_ashr_i32 s11, s10, 31
	s_lshl_b64 s[18:19], s[10:11], 4
	s_cmp_lg_u32 s14, 0
	s_cselect_b32 s13, -1, 0
	v_add_co_u32 v3, vcc_lo, s3, v41
	v_add_co_ci_u32_e64 v4, null, s8, v42, vcc_lo
	s_cmp_eq_u32 s14, 0
	v_add_co_u32 v7, vcc_lo, v3, s18
	v_add_co_ci_u32_e64 v8, null, s19, v4, vcc_lo
	s_cselect_b32 s11, -1, 0
	s_and_b32 vcc_lo, exec_lo, s13
	s_cbranch_vccnz .LBB129_12
; %bb.11:
	s_lshl_b32 s2, s16, 3
	s_ashr_i32 s17, s16, 31
	s_ashr_i32 s3, s2, 31
	s_lshl_b64 s[2:3], s[2:3], 4
	v_add_co_u32 v9, vcc_lo, v7, s2
	v_add_co_ci_u32_e64 v10, null, s3, v8, vcc_lo
	s_lshl_b64 s[2:3], s[16:17], 7
	v_add_co_u32 v16, vcc_lo, v9, s2
	v_add_co_ci_u32_e64 v17, null, s3, v10, vcc_lo
	v_add_co_u32 v20, vcc_lo, v16, s2
	v_add_co_ci_u32_e64 v21, null, s3, v17, vcc_lo
	s_clause 0x3
	global_load_dwordx4 v[3:6], v[7:8], off
	global_load_dwordx4 v[12:15], v[9:10], off
	;; [unrolled: 1-line block ×4, first 2 shown]
	v_mul_u32_u24_e32 v9, 0x210, v11
	s_mov_b32 s2, 0
	v_lshl_add_u32 v9, v1, 4, v9
	v_add_nc_u32_e32 v25, 0x3180, v9
	v_add_nc_u32_e32 v10, 0x1080, v9
	;; [unrolled: 1-line block ×3, first 2 shown]
	s_waitcnt vmcnt(3)
	ds_write2_b64 v9, v[3:4], v[5:6] offset1:1
	s_waitcnt vmcnt(2)
	ds_write2_b64 v10, v[12:13], v[14:15] offset1:1
	;; [unrolled: 2-line block ×4, first 2 shown]
.LBB129_12:
	v_lshlrev_b32_e32 v12, 4, v1
	s_andn2_b32 vcc_lo, exec_lo, s2
	s_cbranch_vccnz .LBB129_30
; %bb.13:
	v_sub_co_u32 v3, vcc_lo, v7, v12
	s_ashr_i32 s15, s14, 31
	v_subrev_co_ci_u32_e64 v4, null, 0, v8, vcc_lo
	s_lshl_b64 s[8:9], s[14:15], 4
	v_cmp_le_i32_e64 s2, s14, v11
	v_add_co_u32 v3, vcc_lo, v3, s8
	v_add_co_ci_u32_e64 v4, null, s9, v4, vcc_lo
	v_mad_u32_u24 v5, 0x210, v11, v12
	v_add_co_u32 v3, vcc_lo, v3, -16
	v_add_co_ci_u32_e64 v4, null, -1, v4, vcc_lo
	v_cmp_gt_i32_e32 vcc_lo, s14, v1
	v_cndmask_b32_e32 v4, v4, v8, vcc_lo
	v_cndmask_b32_e32 v3, v3, v7, vcc_lo
	s_and_saveexec_b32 s3, s2
	s_xor_b32 s2, exec_lo, s3
	s_cbranch_execz .LBB129_15
; %bb.14:
	v_mov_b32_e32 v13, 0
	v_mov_b32_e32 v14, v13
	;; [unrolled: 1-line block ×4, first 2 shown]
	ds_write_b128 v5, v[13:16]
                                        ; implicit-def: $vgpr5
.LBB129_15:
	s_andn2_saveexec_b32 s2, s2
	s_cbranch_execz .LBB129_17
; %bb.16:
	global_load_dwordx4 v[13:16], v[3:4], off
	s_waitcnt vmcnt(0)
	ds_write2_b64 v5, v[13:14], v[15:16] offset1:1
.LBB129_17:
	s_or_b32 exec_lo, exec_lo, s2
	v_add_nc_u32_e32 v6, 8, v11
	v_mul_u32_u24_e32 v5, 0x210, v11
	v_cmp_le_i32_e64 s2, s14, v6
	s_and_saveexec_b32 s3, s2
	s_xor_b32 s2, exec_lo, s3
	s_cbranch_execz .LBB129_19
; %bb.18:
	v_mov_b32_e32 v13, 0
	v_add_nc_u32_e32 v6, v5, v12
	v_mov_b32_e32 v14, v13
	v_mov_b32_e32 v15, v13
	;; [unrolled: 1-line block ×3, first 2 shown]
	ds_write_b128 v6, v[13:16] offset:4224
.LBB129_19:
	s_andn2_saveexec_b32 s3, s2
	s_cbranch_execz .LBB129_21
; %bb.20:
	s_lshl_b32 s20, s16, 3
	v_add3_u32 v6, v5, v12, 0x1080
	s_ashr_i32 s21, s20, 31
	s_lshl_b64 s[20:21], s[20:21], 4
	v_add_co_u32 v9, s2, v3, s20
	v_add_co_ci_u32_e64 v10, null, s21, v4, s2
	global_load_dwordx4 v[13:16], v[9:10], off
	s_waitcnt vmcnt(0)
	ds_write2_b64 v6, v[13:14], v[15:16] offset1:1
.LBB129_21:
	s_or_b32 exec_lo, exec_lo, s3
	v_add_nc_u32_e32 v6, 16, v11
	v_cmp_le_i32_e64 s2, s14, v6
	s_and_saveexec_b32 s3, s2
	s_xor_b32 s2, exec_lo, s3
	s_cbranch_execz .LBB129_23
; %bb.22:
	v_mov_b32_e32 v13, 0
	v_add_nc_u32_e32 v6, v5, v12
	v_mov_b32_e32 v14, v13
	v_mov_b32_e32 v15, v13
	;; [unrolled: 1-line block ×3, first 2 shown]
	ds_write_b128 v6, v[13:16] offset:8448
.LBB129_23:
	s_andn2_saveexec_b32 s3, s2
	s_cbranch_execz .LBB129_25
; %bb.24:
	s_lshl_b32 s20, s16, 4
	v_add3_u32 v6, v5, v12, 0x2100
	s_ashr_i32 s21, s20, 31
	s_lshl_b64 s[20:21], s[20:21], 4
	v_add_co_u32 v9, s2, v3, s20
	v_add_co_ci_u32_e64 v10, null, s21, v4, s2
	global_load_dwordx4 v[13:16], v[9:10], off
	s_waitcnt vmcnt(0)
	ds_write2_b64 v6, v[13:14], v[15:16] offset1:1
.LBB129_25:
	s_or_b32 exec_lo, exec_lo, s3
	v_add_nc_u32_e32 v6, 24, v11
	v_cmp_le_i32_e64 s2, s14, v6
	s_and_saveexec_b32 s3, s2
	s_xor_b32 s2, exec_lo, s3
	s_cbranch_execz .LBB129_27
; %bb.26:
	v_mov_b32_e32 v13, 0
	v_add_nc_u32_e32 v5, v5, v12
	v_mov_b32_e32 v14, v13
	v_mov_b32_e32 v15, v13
	;; [unrolled: 1-line block ×3, first 2 shown]
	ds_write_b128 v5, v[13:16] offset:12672
                                        ; implicit-def: $vgpr5
.LBB129_27:
	s_andn2_saveexec_b32 s3, s2
	s_cbranch_execz .LBB129_29
; %bb.28:
	s_mul_i32 s20, s16, 24
	v_add3_u32 v5, v5, v12, 0x3180
	s_ashr_i32 s21, s20, 31
	s_lshl_b64 s[20:21], s[20:21], 4
	v_add_co_u32 v9, s2, v3, s20
	v_add_co_ci_u32_e64 v10, null, s21, v4, s2
	global_load_dwordx4 v[13:16], v[9:10], off
	s_waitcnt vmcnt(0)
	ds_write2_b64 v5, v[13:14], v[15:16] offset1:1
.LBB129_29:
	s_or_b32 exec_lo, exec_lo, s3
	v_add_co_u32 v3, s2, v3, v12
	v_add_co_ci_u32_e64 v4, null, 0, v4, s2
	v_sub_co_u32 v3, s2, v3, s8
	v_subrev_co_ci_u32_e64 v4, null, s9, v4, s2
	v_add_co_u32 v3, s2, v3, 16
	v_add_co_ci_u32_e64 v4, null, 0, v4, s2
	v_cndmask_b32_e32 v7, v3, v7, vcc_lo
	v_cndmask_b32_e32 v8, v4, v8, vcc_lo
.LBB129_30:
	v_lshlrev_b32_e32 v13, 2, v11
	v_lshl_or_b32 v4, v1, 9, v12
	v_mad_u32_u24 v14, 0x840, v11, v12
	s_waitcnt lgkmcnt(0)
	s_barrier
	v_cmp_lt_u32_e64 s3, v13, v1
	buffer_gl0_inv
	s_and_saveexec_b32 s2, s3
	s_cbranch_execz .LBB129_32
; %bb.31:
	ds_read_b128 v[15:18], v14
	v_lshl_add_u32 v3, v13, 4, v4
	s_waitcnt lgkmcnt(0)
	ds_write_b128 v3, v[15:18]
.LBB129_32:
	s_or_b32 exec_lo, exec_lo, s2
	v_or_b32_e32 v3, 1, v13
	v_cmp_lt_u32_e64 s8, v3, v1
	v_mad_u32_u24 v15, 0x210, v3, v12
	s_and_saveexec_b32 s2, s8
	s_cbranch_execz .LBB129_34
; %bb.33:
	ds_read_b128 v[16:19], v15
	v_lshl_add_u32 v3, v13, 4, v4
	s_waitcnt lgkmcnt(0)
	ds_write_b128 v3, v[16:19] offset:16
.LBB129_34:
	s_or_b32 exec_lo, exec_lo, s2
	v_or_b32_e32 v3, 2, v13
	v_cmp_lt_u32_e64 s9, v3, v1
	s_and_saveexec_b32 s2, s9
	s_cbranch_execz .LBB129_36
; %bb.35:
	v_mad_u32_u24 v3, 0x210, v3, v12
	ds_read_b128 v[16:19], v3
	v_lshl_add_u32 v3, v13, 4, v4
	s_waitcnt lgkmcnt(0)
	ds_write_b128 v3, v[16:19] offset:32
.LBB129_36:
	s_or_b32 exec_lo, exec_lo, s2
	v_or_b32_e32 v5, 3, v13
	s_mov_b32 s2, exec_lo
                                        ; implicit-def: $vgpr3
	v_cmp_lt_u32_e64 s10, v5, v1
	v_cmpx_ge_u32_e64 v5, v1
	s_xor_b32 s2, exec_lo, s2
; %bb.37:
	v_mul_u32_u24_e32 v3, 0x210, v5
                                        ; implicit-def: $vgpr4
                                        ; implicit-def: $vgpr5
; %bb.38:
	s_andn2_saveexec_b32 s2, s2
	s_cbranch_execz .LBB129_40
; %bb.39:
	v_mad_u32_u24 v3, 0x210, v5, v12
	v_lshl_add_u32 v4, v13, 4, v4
	ds_read_b128 v[16:19], v3
	v_mul_u32_u24_e32 v3, 0x210, v5
	s_waitcnt lgkmcnt(0)
	ds_write_b128 v4, v[16:19] offset:48
.LBB129_40:
	s_or_b32 exec_lo, exec_lo, s2
	v_lshlrev_b32_e32 v18, 4, v13
	s_waitcnt lgkmcnt(0)
	s_barrier
	buffer_gl0_inv
	ds_read_b128 v[19:22], v14
	ds_read_b128 v[23:26], v18 offset:18176
	v_add_nc_u32_e32 v16, v12, v3
	ds_read_b128 v[3:6], v15 offset:528
	ds_read_b128 v[27:30], v18 offset:18192
	ds_read_b128 v[31:34], v15
	ds_read_b128 v[35:38], v16
	ds_read_b128 v[46:49], v18 offset:18208
	v_cmp_gt_u32_e64 s2, 32, v45
	s_waitcnt lgkmcnt(5)
	v_mul_f64 v[9:10], v[25:26], v[21:22]
	v_mul_f64 v[21:22], v[23:24], v[21:22]
	s_waitcnt lgkmcnt(2)
	v_mul_f64 v[43:44], v[29:30], v[33:34]
	v_mul_f64 v[33:34], v[27:28], v[33:34]
	v_fma_f64 v[9:10], v[23:24], v[19:20], -v[9:10]
	v_fma_f64 v[23:24], v[25:26], v[19:20], v[21:22]
	ds_read_b128 v[19:22], v18 offset:18224
	s_waitcnt lgkmcnt(1)
	v_mul_f64 v[25:26], v[48:49], v[5:6]
	v_mul_f64 v[5:6], v[46:47], v[5:6]
	v_fma_f64 v[27:28], v[27:28], v[31:32], -v[43:44]
	v_fma_f64 v[29:30], v[29:30], v[31:32], v[33:34]
	s_waitcnt lgkmcnt(0)
	s_barrier
	buffer_gl0_inv
	v_mul_f64 v[31:32], v[21:22], v[37:38]
	v_add_f64 v[9:10], v[9:10], 0
	v_add_f64 v[23:24], v[23:24], 0
	v_mul_f64 v[33:34], v[19:20], v[37:38]
	v_fma_f64 v[25:26], v[46:47], v[3:4], -v[25:26]
	v_fma_f64 v[3:4], v[48:49], v[3:4], v[5:6]
	v_fma_f64 v[19:20], v[19:20], v[35:36], -v[31:32]
	v_add_f64 v[5:6], v[9:10], v[27:28]
	v_add_f64 v[9:10], v[23:24], v[29:30]
	v_fma_f64 v[21:22], v[21:22], v[35:36], v[33:34]
	v_add_f64 v[5:6], v[5:6], v[25:26]
	v_add_f64 v[3:4], v[9:10], v[3:4]
	;; [unrolled: 1-line block ×4, first 2 shown]
	v_mul_u32_u24_e32 v3, 33, v1
	v_mov_b32_e32 v5, 0
	v_mov_b32_e32 v6, 0
	v_lshlrev_b32_e32 v46, 4, v3
	v_mov_b32_e32 v3, 0
	v_mov_b32_e32 v4, 0
	v_lshl_add_u32 v47, v11, 4, v46
	ds_write_b128 v47, v[19:22]
	s_waitcnt lgkmcnt(0)
	s_barrier
	buffer_gl0_inv
	s_and_saveexec_b32 s15, s2
	s_cbranch_execz .LBB129_42
; %bb.41:
	ds_read_b128 v[3:6], v46
	ds_read_b128 v[19:22], v46 offset:16
	s_waitcnt lgkmcnt(0)
	v_add_f64 v[9:10], v[19:20], v[3:4]
	v_add_f64 v[23:24], v[21:22], v[5:6]
	ds_read_b128 v[3:6], v46 offset:32
	ds_read_b128 v[19:22], v46 offset:48
	s_waitcnt lgkmcnt(1)
	v_add_f64 v[3:4], v[9:10], v[3:4]
	v_add_f64 v[5:6], v[23:24], v[5:6]
	s_waitcnt lgkmcnt(0)
	v_add_f64 v[9:10], v[3:4], v[19:20]
	v_add_f64 v[23:24], v[5:6], v[21:22]
	ds_read_b128 v[3:6], v46 offset:64
	ds_read_b128 v[19:22], v46 offset:80
	s_waitcnt lgkmcnt(1)
	v_add_f64 v[3:4], v[9:10], v[3:4]
	v_add_f64 v[5:6], v[23:24], v[5:6]
	;; [unrolled: 8-line block ×3, first 2 shown]
	s_waitcnt lgkmcnt(0)
	v_add_f64 v[3:4], v[3:4], v[19:20]
	v_add_f64 v[5:6], v[5:6], v[21:22]
.LBB129_42:
	s_or_b32 exec_lo, exec_lo, s15
	s_lshl_b32 s20, s16, 5
	v_cndmask_b32_e64 v17, 0, 1, s11
	s_ashr_i32 s21, s20, 31
	s_lshl_b64 s[20:21], s[20:21], 4
	s_barrier
	v_add_co_u32 v9, vcc_lo, v7, s20
	v_add_co_ci_u32_e64 v10, null, s21, v8, vcc_lo
	buffer_gl0_inv
	v_add_co_u32 v7, vcc_lo, 0x200, v9
	v_add_co_ci_u32_e64 v8, null, 0, v10, vcc_lo
	s_andn2_b32 vcc_lo, exec_lo, s11
	s_mov_b32 s11, -1
	s_cbranch_vccnz .LBB129_44
; %bb.43:
	s_lshl_b32 s22, s16, 3
	s_ashr_i32 s17, s16, 31
	s_ashr_i32 s23, s22, 31
	v_mad_u32_u24 v35, 0x210, v11, v12
	s_lshl_b64 s[22:23], s[22:23], 4
	s_mov_b32 s11, 0
	v_add_co_u32 v23, vcc_lo, v9, s22
	v_add_co_ci_u32_e64 v24, null, s23, v10, vcc_lo
	s_lshl_b64 s[22:23], s[16:17], 7
	v_add_nc_u32_e32 v38, 0x3180, v35
	v_add_co_u32 v27, vcc_lo, v23, s22
	v_add_co_ci_u32_e64 v28, null, s23, v24, vcc_lo
	v_add_nc_u32_e32 v36, 0x1080, v35
	v_add_co_u32 v31, vcc_lo, v27, s22
	v_add_co_ci_u32_e64 v32, null, s23, v28, vcc_lo
	s_clause 0x3
	global_load_dwordx4 v[19:22], v[7:8], off
	global_load_dwordx4 v[23:26], v[23:24], off offset:512
	global_load_dwordx4 v[27:30], v[27:28], off offset:512
	;; [unrolled: 1-line block ×3, first 2 shown]
	v_add_nc_u32_e32 v37, 0x2100, v35
	s_waitcnt vmcnt(3)
	ds_write2_b64 v35, v[19:20], v[21:22] offset1:1
	s_waitcnt vmcnt(2)
	ds_write2_b64 v36, v[23:24], v[25:26] offset1:1
	;; [unrolled: 2-line block ×4, first 2 shown]
.LBB129_44:
	s_andn2_b32 vcc_lo, exec_lo, s11
	s_cbranch_vccnz .LBB129_62
; %bb.45:
	v_sub_co_u32 v9, vcc_lo, v9, v12
	s_ashr_i32 s15, s14, 31
	v_subrev_co_ci_u32_e64 v10, null, 0, v10, vcc_lo
	s_lshl_b64 s[22:23], s[14:15], 4
	v_or_b32_e32 v19, 32, v1
	v_add_co_u32 v9, vcc_lo, v9, s22
	v_add_co_ci_u32_e64 v10, null, s23, v10, vcc_lo
	s_sub_i32 s15, s14, 32
	v_add_co_u32 v9, vcc_lo, v9, -16
	v_add_co_ci_u32_e64 v10, null, -1, v10, vcc_lo
	v_cmp_gt_i32_e32 vcc_lo, s14, v19
	v_cmp_le_i32_e64 s11, s15, v11
	v_mad_u32_u24 v19, 0x210, v11, v12
	v_cndmask_b32_e32 v10, v10, v8, vcc_lo
	v_cndmask_b32_e32 v9, v9, v7, vcc_lo
	s_and_saveexec_b32 s17, s11
	s_xor_b32 s11, exec_lo, s17
	s_cbranch_execz .LBB129_47
; %bb.46:
	v_mov_b32_e32 v20, 0
	v_mov_b32_e32 v21, v20
	;; [unrolled: 1-line block ×4, first 2 shown]
	ds_write_b128 v19, v[20:23]
                                        ; implicit-def: $vgpr19
.LBB129_47:
	s_andn2_saveexec_b32 s11, s11
	s_cbranch_execz .LBB129_49
; %bb.48:
	global_load_dwordx4 v[20:23], v[9:10], off
	s_waitcnt vmcnt(0)
	ds_write2_b64 v19, v[20:21], v[22:23] offset1:1
.LBB129_49:
	s_or_b32 exec_lo, exec_lo, s11
	v_add_nc_u32_e32 v20, 8, v11
	v_mul_u32_u24_e32 v19, 0x210, v11
	v_cmp_le_i32_e64 s11, s15, v20
	s_and_saveexec_b32 s17, s11
	s_xor_b32 s11, exec_lo, s17
	s_cbranch_execz .LBB129_51
; %bb.50:
	v_mov_b32_e32 v20, 0
	v_add_nc_u32_e32 v24, v19, v12
	v_mov_b32_e32 v21, v20
	v_mov_b32_e32 v22, v20
	v_mov_b32_e32 v23, v20
	ds_write_b128 v24, v[20:23] offset:4224
.LBB129_51:
	s_andn2_saveexec_b32 s17, s11
	s_cbranch_execz .LBB129_53
; %bb.52:
	s_lshl_b32 s28, s16, 3
	v_add3_u32 v24, v19, v12, 0x1080
	s_ashr_i32 s29, s28, 31
	s_lshl_b64 s[28:29], s[28:29], 4
	v_add_co_u32 v20, s11, v9, s28
	v_add_co_ci_u32_e64 v21, null, s29, v10, s11
	global_load_dwordx4 v[20:23], v[20:21], off
	s_waitcnt vmcnt(0)
	ds_write2_b64 v24, v[20:21], v[22:23] offset1:1
.LBB129_53:
	s_or_b32 exec_lo, exec_lo, s17
	v_add_nc_u32_e32 v20, 16, v11
	v_cmp_le_i32_e64 s11, s15, v20
	s_and_saveexec_b32 s17, s11
	s_xor_b32 s11, exec_lo, s17
	s_cbranch_execz .LBB129_55
; %bb.54:
	v_mov_b32_e32 v20, 0
	v_add_nc_u32_e32 v24, v19, v12
	v_mov_b32_e32 v21, v20
	v_mov_b32_e32 v22, v20
	;; [unrolled: 1-line block ×3, first 2 shown]
	ds_write_b128 v24, v[20:23] offset:8448
.LBB129_55:
	s_andn2_saveexec_b32 s17, s11
	s_cbranch_execz .LBB129_57
; %bb.56:
	s_lshl_b32 s28, s16, 4
	v_add3_u32 v24, v19, v12, 0x2100
	s_ashr_i32 s29, s28, 31
	s_lshl_b64 s[28:29], s[28:29], 4
	v_add_co_u32 v20, s11, v9, s28
	v_add_co_ci_u32_e64 v21, null, s29, v10, s11
	global_load_dwordx4 v[20:23], v[20:21], off
	s_waitcnt vmcnt(0)
	ds_write2_b64 v24, v[20:21], v[22:23] offset1:1
.LBB129_57:
	s_or_b32 exec_lo, exec_lo, s17
	v_add_nc_u32_e32 v20, 24, v11
	v_cmp_le_i32_e64 s11, s15, v20
	s_and_saveexec_b32 s15, s11
	s_xor_b32 s11, exec_lo, s15
	s_cbranch_execz .LBB129_59
; %bb.58:
	v_mov_b32_e32 v20, 0
	v_add_nc_u32_e32 v19, v19, v12
	v_mov_b32_e32 v21, v20
	v_mov_b32_e32 v22, v20
	;; [unrolled: 1-line block ×3, first 2 shown]
	ds_write_b128 v19, v[20:23] offset:12672
                                        ; implicit-def: $vgpr19
.LBB129_59:
	s_andn2_saveexec_b32 s15, s11
	s_cbranch_execz .LBB129_61
; %bb.60:
	s_mul_i32 s28, s16, 24
	v_add3_u32 v19, v19, v12, 0x3180
	s_ashr_i32 s29, s28, 31
	s_lshl_b64 s[28:29], s[28:29], 4
	v_add_co_u32 v20, s11, v9, s28
	v_add_co_ci_u32_e64 v21, null, s29, v10, s11
	global_load_dwordx4 v[20:23], v[20:21], off
	s_waitcnt vmcnt(0)
	ds_write2_b64 v19, v[20:21], v[22:23] offset1:1
.LBB129_61:
	s_or_b32 exec_lo, exec_lo, s15
	v_add_co_u32 v9, s11, v9, v12
	v_add_co_ci_u32_e64 v10, null, 0, v10, s11
	v_sub_co_u32 v9, s11, v9, s22
	v_subrev_co_ci_u32_e64 v10, null, s23, v10, s11
	v_add_co_u32 v9, s11, 0x210, v9
	v_add_co_ci_u32_e64 v10, null, 0, v10, s11
	v_cndmask_b32_e32 v7, v9, v7, vcc_lo
	v_cndmask_b32_e32 v8, v10, v8, vcc_lo
.LBB129_62:
	v_add_nc_u32_e32 v9, 0x4700, v18
	v_add_nc_u32_e32 v10, 0x210, v15
	s_waitcnt lgkmcnt(0)
	s_barrier
	buffer_gl0_inv
	s_and_saveexec_b32 s11, s3
	s_cbranch_execnz .LBB129_71
; %bb.63:
	s_or_b32 exec_lo, exec_lo, s11
	s_and_saveexec_b32 s3, s8
	s_cbranch_execnz .LBB129_72
.LBB129_64:
	s_or_b32 exec_lo, exec_lo, s3
	s_and_saveexec_b32 s3, s9
	s_cbranch_execnz .LBB129_73
.LBB129_65:
	s_or_b32 exec_lo, exec_lo, s3
	s_and_saveexec_b32 s3, s10
	s_cbranch_execz .LBB129_67
.LBB129_66:
	ds_read_b128 v[18:21], v16
	v_lshl_add_u32 v22, v13, 4, v46
	s_waitcnt lgkmcnt(0)
	ds_write_b128 v22, v[18:21] offset:48
.LBB129_67:
	s_or_b32 exec_lo, exec_lo, s3
	s_waitcnt lgkmcnt(0)
	s_barrier
	buffer_gl0_inv
	ds_read_b128 v[18:21], v14
	ds_read_b128 v[22:25], v9 offset:512
	ds_read_b128 v[26:29], v9 offset:528
	ds_read_b128 v[30:33], v15
	ds_read_b128 v[34:37], v9 offset:544
	ds_read_b128 v[48:51], v10
	v_cmp_eq_u32_e64 s3, 1, v11
	s_waitcnt lgkmcnt(4)
	v_mul_f64 v[14:15], v[24:25], v[20:21]
	v_mul_f64 v[20:21], v[22:23], v[20:21]
	s_waitcnt lgkmcnt(2)
	v_mul_f64 v[43:44], v[28:29], v[32:33]
	v_mul_f64 v[32:33], v[26:27], v[32:33]
	;; [unrolled: 3-line block ×3, first 2 shown]
	v_fma_f64 v[14:15], v[22:23], v[18:19], -v[14:15]
	v_fma_f64 v[52:53], v[24:25], v[18:19], v[20:21]
	v_fma_f64 v[26:27], v[26:27], v[30:31], -v[43:44]
	v_fma_f64 v[28:29], v[28:29], v[30:31], v[32:33]
	ds_read_b128 v[18:21], v9 offset:560
	ds_read_b128 v[22:25], v16
	v_fma_f64 v[34:35], v[34:35], v[48:49], -v[54:55]
	v_fma_f64 v[36:37], v[36:37], v[48:49], v[50:51]
	s_waitcnt lgkmcnt(0)
	s_barrier
	buffer_gl0_inv
	v_add_f64 v[14:15], v[14:15], 0
	v_add_f64 v[30:31], v[52:53], 0
	v_mul_f64 v[32:33], v[20:21], v[24:25]
	v_mul_f64 v[24:25], v[18:19], v[24:25]
	v_add_f64 v[14:15], v[14:15], v[26:27]
	v_add_f64 v[26:27], v[30:31], v[28:29]
	v_fma_f64 v[18:19], v[18:19], v[22:23], -v[32:33]
	v_fma_f64 v[20:21], v[20:21], v[22:23], v[24:25]
	v_add_f64 v[14:15], v[14:15], v[34:35]
	v_add_f64 v[22:23], v[26:27], v[36:37]
	;; [unrolled: 1-line block ×4, first 2 shown]
	ds_write_b128 v47, v[18:21]
	s_waitcnt lgkmcnt(0)
	s_barrier
	buffer_gl0_inv
	s_and_saveexec_b32 s8, s3
	s_cbranch_execz .LBB129_69
; %bb.68:
	ds_read_b128 v[3:6], v46
	ds_read_b128 v[18:21], v46 offset:16
	s_waitcnt lgkmcnt(0)
	v_add_f64 v[14:15], v[18:19], v[3:4]
	v_add_f64 v[22:23], v[20:21], v[5:6]
	ds_read_b128 v[3:6], v46 offset:32
	ds_read_b128 v[18:21], v46 offset:48
	s_waitcnt lgkmcnt(1)
	v_add_f64 v[3:4], v[14:15], v[3:4]
	v_add_f64 v[5:6], v[22:23], v[5:6]
	s_waitcnt lgkmcnt(0)
	v_add_f64 v[14:15], v[3:4], v[18:19]
	v_add_f64 v[22:23], v[5:6], v[20:21]
	ds_read_b128 v[3:6], v46 offset:64
	ds_read_b128 v[18:21], v46 offset:80
	s_waitcnt lgkmcnt(1)
	v_add_f64 v[3:4], v[14:15], v[3:4]
	v_add_f64 v[5:6], v[22:23], v[5:6]
	s_waitcnt lgkmcnt(0)
	v_add_f64 v[14:15], v[3:4], v[18:19]
	v_add_f64 v[22:23], v[5:6], v[20:21]
	ds_read_b128 v[3:6], v46 offset:96
	ds_read_b128 v[18:21], v46 offset:112
	s_waitcnt lgkmcnt(1)
	v_add_f64 v[3:4], v[14:15], v[3:4]
	v_add_f64 v[5:6], v[22:23], v[5:6]
	s_waitcnt lgkmcnt(0)
	v_add_f64 v[3:4], v[3:4], v[18:19]
	v_add_f64 v[5:6], v[5:6], v[20:21]
.LBB129_69:
	s_or_b32 exec_lo, exec_lo, s8
	v_cmp_ne_u32_e32 vcc_lo, 1, v17
	v_sub_co_u32 v43, s8, v7, s20
	v_subrev_co_ci_u32_e64 v44, null, s21, v8, s8
	s_barrier
	buffer_gl0_inv
	s_cbranch_vccnz .LBB129_74
; %bb.70:
	s_lshl_b32 s8, s16, 3
	s_ashr_i32 s17, s16, 31
	s_ashr_i32 s9, s8, 31
	global_load_dwordx4 v[16:19], v[43:44], off
	s_lshl_b64 s[8:9], s[8:9], 4
	v_mad_u32_u24 v10, 0x210, v11, v12
	v_add_co_u32 v7, vcc_lo, v43, s8
	v_add_co_ci_u32_e64 v8, null, s9, v44, vcc_lo
	s_lshl_b64 s[8:9], s[16:17], 7
	v_add_co_u32 v14, vcc_lo, v7, s8
	v_add_co_ci_u32_e64 v15, null, s9, v8, vcc_lo
	v_add_co_u32 v28, vcc_lo, v14, s8
	v_add_co_ci_u32_e64 v29, null, s9, v15, vcc_lo
	s_clause 0x2
	global_load_dwordx4 v[20:23], v[7:8], off
	global_load_dwordx4 v[24:27], v[14:15], off
	;; [unrolled: 1-line block ×3, first 2 shown]
	s_movk_i32 s8, 0x1080
	s_movk_i32 s9, 0x2100
	v_mad_u32_u24 v8, 0x210, v11, s8
	s_movk_i32 s8, 0x3180
	v_mad_u32_u24 v7, 0x210, v11, s9
	v_mul_u32_u24_e32 v15, 0x210, v11
	v_add_nc_u32_e32 v14, 8, v11
	s_waitcnt vmcnt(3)
	ds_write2_b64 v10, v[16:17], v[18:19] offset1:1
	v_mad_u32_u24 v17, 0x210, v11, s8
	v_add_nc_u32_e32 v18, v12, v8
	v_add_nc_u32_e32 v10, 16, v11
	;; [unrolled: 1-line block ×5, first 2 shown]
	s_waitcnt vmcnt(2)
	ds_write2_b64 v18, v[20:21], v[22:23] offset1:1
	s_waitcnt vmcnt(1)
	ds_write2_b64 v19, v[24:25], v[26:27] offset1:1
	;; [unrolled: 2-line block ×3, first 2 shown]
	s_cbranch_execz .LBB129_75
	s_branch .LBB129_92
.LBB129_71:
	ds_read_b128 v[18:21], v14
	v_lshl_add_u32 v22, v13, 4, v46
	s_waitcnt lgkmcnt(0)
	ds_write_b128 v22, v[18:21]
	s_or_b32 exec_lo, exec_lo, s11
	s_and_saveexec_b32 s3, s8
	s_cbranch_execz .LBB129_64
.LBB129_72:
	ds_read_b128 v[18:21], v15
	v_lshl_add_u32 v22, v13, 4, v46
	s_waitcnt lgkmcnt(0)
	ds_write_b128 v22, v[18:21] offset:16
	s_or_b32 exec_lo, exec_lo, s3
	s_and_saveexec_b32 s3, s9
	s_cbranch_execz .LBB129_65
.LBB129_73:
	ds_read_b128 v[18:21], v10
	v_lshl_add_u32 v22, v13, 4, v46
	s_waitcnt lgkmcnt(0)
	ds_write_b128 v22, v[18:21] offset:32
	s_or_b32 exec_lo, exec_lo, s3
	s_and_saveexec_b32 s3, s10
	s_cbranch_execnz .LBB129_66
	s_branch .LBB129_67
.LBB129_74:
                                        ; implicit-def: $vgpr15
                                        ; implicit-def: $vgpr14
                                        ; implicit-def: $vgpr8
                                        ; implicit-def: $vgpr10
                                        ; implicit-def: $vgpr7
                                        ; implicit-def: $vgpr16
                                        ; implicit-def: $vgpr17
.LBB129_75:
	v_sub_co_u32 v7, vcc_lo, v43, v12
	s_ashr_i32 s15, s14, 31
	v_subrev_co_ci_u32_e64 v8, null, 0, v44, vcc_lo
	s_lshl_b64 s[10:11], s[14:15], 4
	v_or_b32_e32 v1, 32, v1
	v_add_co_u32 v7, vcc_lo, v7, s10
	v_add_co_ci_u32_e64 v8, null, s11, v8, vcc_lo
	v_cmp_le_i32_e64 s8, s14, v11
	v_add_co_u32 v7, vcc_lo, 0xfffffdf0, v7
	v_add_co_ci_u32_e64 v8, null, -1, v8, vcc_lo
	v_cmp_gt_i32_e32 vcc_lo, s14, v1
	v_mad_u32_u24 v1, 0x210, v11, v12
	v_cndmask_b32_e32 v8, v8, v44, vcc_lo
	v_cndmask_b32_e32 v7, v7, v43, vcc_lo
	s_and_saveexec_b32 s9, s8
	s_xor_b32 s8, exec_lo, s9
	s_cbranch_execz .LBB129_77
; %bb.76:
	v_mov_b32_e32 v14, 0
	v_mov_b32_e32 v15, v14
	;; [unrolled: 1-line block ×4, first 2 shown]
	ds_write_b128 v1, v[14:17]
                                        ; implicit-def: $vgpr1
.LBB129_77:
	s_andn2_saveexec_b32 s8, s8
	s_cbranch_execz .LBB129_79
; %bb.78:
	global_load_dwordx4 v[14:17], v[7:8], off
	s_waitcnt vmcnt(0)
	ds_write2_b64 v1, v[14:15], v[16:17] offset1:1
.LBB129_79:
	s_or_b32 exec_lo, exec_lo, s8
	v_add_nc_u32_e32 v14, 8, v11
	v_mul_u32_u24_e32 v15, 0x210, v11
	v_cmp_le_i32_e64 s8, s14, v14
	s_and_saveexec_b32 s9, s8
	s_xor_b32 s8, exec_lo, s9
	s_cbranch_execz .LBB129_81
; %bb.80:
	v_mov_b32_e32 v16, 0
	v_add_nc_u32_e32 v1, v15, v12
	v_mov_b32_e32 v17, v16
	v_mov_b32_e32 v18, v16
	;; [unrolled: 1-line block ×3, first 2 shown]
	ds_write_b128 v1, v[16:19] offset:4224
.LBB129_81:
	s_andn2_saveexec_b32 s9, s8
	s_cbranch_execz .LBB129_83
; %bb.82:
	s_lshl_b32 s20, s16, 3
	v_add3_u32 v1, v15, v12, 0x1080
	s_ashr_i32 s21, s20, 31
	s_lshl_b64 s[20:21], s[20:21], 4
	v_add_co_u32 v16, s8, v7, s20
	v_add_co_ci_u32_e64 v17, null, s21, v8, s8
	global_load_dwordx4 v[16:19], v[16:17], off
	s_waitcnt vmcnt(0)
	ds_write2_b64 v1, v[16:17], v[18:19] offset1:1
.LBB129_83:
	s_or_b32 exec_lo, exec_lo, s9
	v_add_nc_u32_e32 v10, 16, v11
	v_cmp_le_i32_e64 s8, s14, v10
	s_and_saveexec_b32 s9, s8
	s_xor_b32 s8, exec_lo, s9
	s_cbranch_execz .LBB129_85
; %bb.84:
	v_mov_b32_e32 v16, 0
	v_add_nc_u32_e32 v1, v15, v12
	v_mov_b32_e32 v17, v16
	v_mov_b32_e32 v18, v16
	;; [unrolled: 1-line block ×3, first 2 shown]
	ds_write_b128 v1, v[16:19] offset:8448
.LBB129_85:
	s_andn2_saveexec_b32 s9, s8
	s_cbranch_execz .LBB129_87
; %bb.86:
	s_lshl_b32 s20, s16, 4
	v_add3_u32 v1, v15, v12, 0x2100
	s_ashr_i32 s21, s20, 31
	s_lshl_b64 s[20:21], s[20:21], 4
	v_add_co_u32 v16, s8, v7, s20
	v_add_co_ci_u32_e64 v17, null, s21, v8, s8
	global_load_dwordx4 v[16:19], v[16:17], off
	s_waitcnt vmcnt(0)
	ds_write2_b64 v1, v[16:17], v[18:19] offset1:1
.LBB129_87:
	s_or_b32 exec_lo, exec_lo, s9
	v_add_nc_u32_e32 v16, 24, v11
                                        ; implicit-def: $vgpr17
	v_cmp_le_i32_e64 s8, s14, v16
	s_and_saveexec_b32 s9, s8
	s_xor_b32 s8, exec_lo, s9
	s_cbranch_execz .LBB129_89
; %bb.88:
	v_add_nc_u32_e32 v17, 0x3180, v15
	v_mov_b32_e32 v18, 0
	v_add_nc_u32_e32 v1, v12, v17
	v_mov_b32_e32 v19, v18
	v_mov_b32_e32 v20, v18
	;; [unrolled: 1-line block ×3, first 2 shown]
	ds_write_b128 v1, v[18:21]
.LBB129_89:
	s_andn2_saveexec_b32 s9, s8
	s_cbranch_execz .LBB129_91
; %bb.90:
	s_mul_i32 s20, s16, 24
	s_ashr_i32 s21, s20, 31
	s_lshl_b64 s[20:21], s[20:21], 4
	v_add_co_u32 v17, s8, v7, s20
	v_add_co_ci_u32_e64 v18, null, s21, v8, s8
	global_load_dwordx4 v[18:21], v[17:18], off
	v_add_nc_u32_e32 v17, 0x3180, v15
	v_add_nc_u32_e32 v1, v12, v17
	s_waitcnt vmcnt(0)
	ds_write2_b64 v1, v[18:19], v[20:21] offset1:1
.LBB129_91:
	s_or_b32 exec_lo, exec_lo, s9
	v_add_co_u32 v1, s8, v7, v12
	v_add_co_ci_u32_e64 v7, null, 0, v8, s8
	v_add_nc_u32_e32 v8, 0x1080, v15
	v_sub_co_u32 v1, s8, v1, s10
	v_subrev_co_ci_u32_e64 v7, null, s11, v7, s8
	v_add_co_u32 v1, s8, 0x210, v1
	v_add_co_ci_u32_e64 v7, null, 0, v7, s8
	v_cndmask_b32_e32 v43, v1, v43, vcc_lo
	v_cndmask_b32_e32 v44, v7, v44, vcc_lo
	v_add_nc_u32_e32 v7, 0x2100, v15
.LBB129_92:
	v_lshlrev_b32_e32 v1, 4, v11
	v_add_nc_u32_e32 v11, v12, v15
	s_waitcnt lgkmcnt(0)
	s_barrier
	buffer_gl0_inv
	ds_read_b128 v[18:21], v1 offset:18176
	ds_read_b128 v[22:25], v11
	v_lshlrev_b32_e32 v1, 4, v14
	v_add_nc_u32_e32 v8, v12, v8
	v_add_nc_u32_e32 v7, v12, v7
	;; [unrolled: 1-line block ×3, first 2 shown]
	ds_read_b128 v[26:29], v1 offset:18176
	ds_read_b128 v[30:33], v8
	v_lshlrev_b32_e32 v1, 4, v10
	ds_read_b128 v[34:37], v1 offset:18176
	ds_read_b128 v[48:51], v7
	v_lshlrev_b32_e32 v1, 4, v16
	s_waitcnt lgkmcnt(4)
	v_mul_f64 v[14:15], v[20:21], v[24:25]
	v_mul_f64 v[24:25], v[18:19], v[24:25]
	s_waitcnt lgkmcnt(2)
	v_mul_f64 v[7:8], v[28:29], v[32:33]
	v_mul_f64 v[10:11], v[26:27], v[32:33]
	v_fma_f64 v[32:33], v[18:19], v[22:23], -v[14:15]
	v_fma_f64 v[22:23], v[20:21], v[22:23], v[24:25]
	s_waitcnt lgkmcnt(0)
	v_mul_f64 v[24:25], v[36:37], v[50:51]
	v_mul_f64 v[50:51], v[34:35], v[50:51]
	ds_read_b128 v[14:17], v1 offset:18176
	ds_read2_b64 v[18:21], v12 offset1:1
	v_lshl_add_u32 v1, v13, 4, v46
	v_fma_f64 v[7:8], v[26:27], v[30:31], -v[7:8]
	v_fma_f64 v[10:11], v[28:29], v[30:31], v[10:11]
	v_add_f64 v[26:27], v[32:33], 0
	v_add_f64 v[22:23], v[22:23], 0
	s_waitcnt lgkmcnt(0)
	v_mul_f64 v[28:29], v[16:17], v[20:21]
	v_mul_f64 v[20:21], v[14:15], v[20:21]
	v_fma_f64 v[24:25], v[34:35], v[48:49], -v[24:25]
	v_fma_f64 v[30:31], v[36:37], v[48:49], v[50:51]
	v_add_f64 v[7:8], v[26:27], v[7:8]
	v_add_f64 v[10:11], v[22:23], v[10:11]
	v_fma_f64 v[14:15], v[14:15], v[18:19], -v[28:29]
	v_fma_f64 v[16:17], v[16:17], v[18:19], v[20:21]
	v_add_f64 v[7:8], v[7:8], v[24:25]
	v_add_f64 v[10:11], v[10:11], v[30:31]
	ds_read_b128 v[31:34], v9 offset:512
	ds_read_b128 v[23:26], v9 offset:528
	v_add_f64 v[48:49], v[7:8], v[14:15]
	v_add_f64 v[50:51], v[10:11], v[16:17]
	ds_read_b128 v[11:14], v9 offset:544
	ds_read_b128 v[7:10], v9 offset:560
	ds_read_b128 v[35:38], v1
	ds_read_b128 v[27:30], v1 offset:16
	ds_read_b128 v[19:22], v1 offset:32
	;; [unrolled: 1-line block ×3, first 2 shown]
	s_waitcnt lgkmcnt(0)
	s_barrier
	buffer_gl0_inv
	ds_write_b128 v47, v[48:51]
	s_waitcnt lgkmcnt(0)
	s_barrier
	buffer_gl0_inv
	s_and_saveexec_b32 s8, s3
	s_cbranch_execz .LBB129_94
; %bb.93:
	ds_read_b128 v[48:51], v46
	ds_read_b128 v[52:55], v46 offset:16
	s_waitcnt lgkmcnt(1)
	v_add_f64 v[3:4], v[3:4], v[48:49]
	v_add_f64 v[5:6], v[5:6], v[50:51]
	s_waitcnt lgkmcnt(0)
	v_add_f64 v[52:53], v[3:4], v[52:53]
	v_add_f64 v[54:55], v[5:6], v[54:55]
	ds_read_b128 v[3:6], v46 offset:32
	ds_read_b128 v[48:51], v46 offset:48
	s_waitcnt lgkmcnt(1)
	v_add_f64 v[3:4], v[52:53], v[3:4]
	v_add_f64 v[5:6], v[54:55], v[5:6]
	s_waitcnt lgkmcnt(0)
	v_add_f64 v[52:53], v[3:4], v[48:49]
	v_add_f64 v[54:55], v[5:6], v[50:51]
	ds_read_b128 v[3:6], v46 offset:64
	;; [unrolled: 8-line block ×3, first 2 shown]
	ds_read_b128 v[48:51], v46 offset:112
	s_waitcnt lgkmcnt(1)
	v_add_f64 v[3:4], v[52:53], v[3:4]
	v_add_f64 v[5:6], v[54:55], v[5:6]
	s_waitcnt lgkmcnt(0)
	v_add_f64 v[3:4], v[3:4], v[48:49]
	v_add_f64 v[5:6], v[5:6], v[50:51]
.LBB129_94:
	s_or_b32 exec_lo, exec_lo, s8
	v_mul_f64 v[48:49], v[37:38], v[33:34]
	v_mul_f64 v[33:34], v[35:36], v[33:34]
	;; [unrolled: 1-line block ×4, first 2 shown]
	s_barrier
	buffer_gl0_inv
	v_fma_f64 v[35:36], v[35:36], v[31:32], -v[48:49]
	v_fma_f64 v[31:32], v[37:38], v[31:32], v[33:34]
	v_mul_f64 v[33:34], v[21:22], v[13:14]
	v_mul_f64 v[13:14], v[19:20], v[13:14]
	v_fma_f64 v[27:28], v[27:28], v[23:24], -v[50:51]
	v_fma_f64 v[23:24], v[29:30], v[23:24], v[25:26]
	v_add_f64 v[25:26], v[35:36], 0
	v_add_f64 v[29:30], v[31:32], 0
	v_mul_f64 v[31:32], v[17:18], v[9:10]
	v_mul_f64 v[9:10], v[15:16], v[9:10]
	v_fma_f64 v[19:20], v[19:20], v[11:12], -v[33:34]
	v_fma_f64 v[11:12], v[21:22], v[11:12], v[13:14]
	v_add_f64 v[13:14], v[25:26], v[27:28]
	v_add_f64 v[21:22], v[29:30], v[23:24]
	v_fma_f64 v[15:16], v[15:16], v[7:8], -v[31:32]
	v_fma_f64 v[9:10], v[17:18], v[7:8], v[9:10]
	v_add_f64 v[7:8], v[13:14], v[19:20]
	v_add_f64 v[11:12], v[21:22], v[11:12]
	;; [unrolled: 1-line block ×4, first 2 shown]
	ds_write_b128 v47, v[7:10]
	s_waitcnt lgkmcnt(0)
	s_barrier
	buffer_gl0_inv
	s_and_saveexec_b32 s3, s2
	s_cbranch_execz .LBB129_96
; %bb.95:
	ds_read_b128 v[7:10], v46
	ds_read_b128 v[11:14], v46 offset:16
	s_waitcnt lgkmcnt(1)
	v_add_f64 v[3:4], v[3:4], v[7:8]
	v_add_f64 v[5:6], v[5:6], v[9:10]
	s_waitcnt lgkmcnt(0)
	v_add_f64 v[11:12], v[3:4], v[11:12]
	v_add_f64 v[13:14], v[5:6], v[13:14]
	ds_read_b128 v[3:6], v46 offset:32
	ds_read_b128 v[7:10], v46 offset:48
	s_waitcnt lgkmcnt(1)
	v_add_f64 v[3:4], v[11:12], v[3:4]
	v_add_f64 v[5:6], v[13:14], v[5:6]
	s_waitcnt lgkmcnt(0)
	v_add_f64 v[11:12], v[3:4], v[7:8]
	v_add_f64 v[13:14], v[5:6], v[9:10]
	ds_read_b128 v[3:6], v46 offset:64
	;; [unrolled: 8-line block ×3, first 2 shown]
	ds_read_b128 v[7:10], v46 offset:112
	s_waitcnt lgkmcnt(1)
	v_add_f64 v[3:4], v[11:12], v[3:4]
	v_add_f64 v[5:6], v[13:14], v[5:6]
	s_waitcnt lgkmcnt(0)
	v_add_f64 v[3:4], v[3:4], v[7:8]
	v_add_f64 v[5:6], v[5:6], v[9:10]
.LBB129_96:
	s_or_b32 exec_lo, exec_lo, s3
	s_load_dwordx2 s[2:3], s[4:5], 0x78
	s_mul_hi_u32 s4, s25, s7
	s_mul_i32 s27, s27, s7
	s_mul_i32 s5, s25, s7
	s_add_i32 s4, s4, s27
	s_mul_hi_u32 s7, s5, s26
	s_mul_i32 s8, s4, s26
	s_mul_i32 s4, s5, s26
	s_add_i32 s5, s7, s8
	s_mul_i32 s8, s25, s6
	s_lshl_b64 s[4:5], s[4:5], 4
	v_cmp_le_i32_e32 vcc_lo, s14, v0
	v_lshlrev_b32_e32 v142, 4, v0
	s_waitcnt lgkmcnt(0)
	s_barrier
	buffer_gl0_inv
	s_add_u32 s4, s2, s4
	s_addc_u32 s5, s3, s5
	s_ashr_i32 s9, s8, 31
	s_lshl_b64 s[2:3], s[8:9], 4
	s_add_u32 s7, s4, s2
	s_addc_u32 s10, s5, s3
	s_and_b32 vcc_lo, s13, vcc_lo
	s_cmp_lt_i32 s6, 1
	s_cbranch_scc1 .LBB129_103
; %bb.97:
	v_mul_lo_u32 v1, v2, s16
	v_sub_co_u32 v11, s2, v43, s18
	v_subrev_co_ci_u32_e64 v12, null, s19, v44, s2
	s_ashr_i32 s15, s14, 31
	v_sub_co_u32 v11, s2, v11, v41
	v_lshl_add_u32 v7, v1, 2, v0
	v_sub_co_ci_u32_e64 v12, null, v12, v42, s2
	s_lshl_b64 s[8:9], s[14:15], 4
	v_lshrrev_b32_e32 v9, 4, v45
	v_ashrrev_i32_e32 v8, 31, v7
	v_and_b32_e32 v10, 15, v0
	s_mul_i32 s4, s24, s12
	v_mov_b32_e32 v1, 0
	s_ashr_i32 s5, s4, 31
	v_lshlrev_b64 v[7:8], 4, v[7:8]
	s_lshl_b64 s[4:5], s[4:5], 4
	v_add_nc_u32_e32 v145, 0x4300, v142
	v_lshl_add_u32 v146, v2, 6, 0x4300
	v_add_nc_u32_e32 v147, 0x4700, v142
	v_mad_u32_u24 v148, 0x10c0, v2, v142
	v_add_co_u32 v7, s2, v11, v7
	v_add_co_ci_u32_e64 v8, null, v12, v8, s2
	s_ashr_i32 s17, s16, 31
	v_sub_co_u32 v11, s2, v7, v142
	v_subrev_co_ci_u32_e64 v12, null, 0, v8, s2
	s_lshl_b32 s11, s24, 6
	v_add_co_u32 v11, s2, v11, s8
	v_add_co_ci_u32_e64 v12, null, s9, v12, s2
	v_add_co_u32 v7, s2, 0xfffffe00, v7
	v_add_co_ci_u32_e64 v8, null, -1, v8, s2
	v_add_co_u32 v11, s2, 0xfffffdf0, v11
	v_add_co_ci_u32_e64 v12, null, -1, v12, s2
	v_sub_co_u32 v143, s2, v39, s4
	v_cndmask_b32_e32 v7, v7, v11, vcc_lo
	v_cndmask_b32_e32 v8, v8, v12, vcc_lo
	v_and_b32_e32 v11, 48, v0
	v_lshlrev_b32_e32 v12, 6, v9
	v_mul_i32_i24_e32 v9, 0xffffffd0, v9
	v_subrev_co_ci_u32_e64 v144, null, s5, v40, s2
	v_lshlrev_b32_e32 v11, 4, v11
	v_mad_u32_u24 v149, 0x430, v10, v12
	v_or_b32_e32 v12, 0xf0, v142
	v_cmp_gt_u32_e64 s2, 64, v45
	s_lshl_b64 s[4:5], s[16:17], 4
	v_mad_u32_u24 v150, 0x430, v10, v11
	v_add_nc_u32_e32 v152, v149, v9
	v_mad_u32_u24 v151, 0x430, v10, v12
	s_mul_hi_i32 s12, s16, 0xd0
	s_mul_i32 s13, s16, 0xd0
	s_mov_b32 s8, 0
	s_branch .LBB129_99
.LBB129_98:                             ;   in Loop: Header=BB129_99 Depth=1
	s_or_b32 exec_lo, exec_lo, s9
	v_mul_f64 v[87:88], v[17:18], v[29:30]
	v_mul_f64 v[29:30], v[15:16], v[29:30]
	;; [unrolled: 1-line block ×4, first 2 shown]
	v_add_nc_u32_e32 v0, 64, v0
	s_add_i32 s6, s6, -1
	s_add_i32 s8, s8, s11
	s_cmp_eq_u32 s6, 0
	s_waitcnt_vscnt null, 0x0
	s_barrier
	buffer_gl0_inv
	v_fma_f64 v[15:16], v[15:16], v[27:28], -v[87:88]
	v_fma_f64 v[17:18], v[17:18], v[27:28], v[29:30]
	v_mul_f64 v[27:28], v[13:14], v[33:34]
	v_mul_f64 v[29:30], v[11:12], v[33:34]
	v_fma_f64 v[19:20], v[19:20], v[23:24], -v[89:90]
	v_fma_f64 v[21:22], v[21:22], v[23:24], v[25:26]
	v_add_f64 v[3:4], v[3:4], v[15:16]
	v_add_f64 v[5:6], v[5:6], v[17:18]
	v_mul_f64 v[15:16], v[9:10], v[49:50]
	v_mul_f64 v[17:18], v[7:8], v[49:50]
	v_fma_f64 v[11:12], v[11:12], v[31:32], -v[27:28]
	v_fma_f64 v[13:14], v[13:14], v[31:32], v[29:30]
	v_add_f64 v[3:4], v[3:4], v[19:20]
	v_add_f64 v[5:6], v[5:6], v[21:22]
	;; [unrolled: 6-line block ×14, first 2 shown]
	v_fma_f64 v[7:8], v[103:104], v[123:124], -v[7:8]
	v_fma_f64 v[9:10], v[105:106], v[123:124], v[9:10]
	v_add_f64 v[3:4], v[3:4], v[11:12]
	v_add_f64 v[5:6], v[5:6], v[13:14]
	;; [unrolled: 1-line block ×4, first 2 shown]
	v_add_co_u32 v7, s3, v140, s13
	v_add_co_ci_u32_e64 v8, null, s12, v141, s3
	s_cbranch_scc1 .LBB129_103
.LBB129_99:                             ; =>This Inner Loop Header: Depth=1
	s_and_saveexec_b32 s14, s1
	s_cbranch_execz .LBB129_101
; %bb.100:                              ;   in Loop: Header=BB129_99 Depth=1
	s_ashr_i32 s9, s8, 31
	s_lshl_b64 s[16:17], s[8:9], 4
	v_add_co_u32 v9, s3, v143, s16
	v_add_co_ci_u32_e64 v10, null, s17, v144, s3
	global_load_dwordx4 v[9:12], v[9:10], off
	s_waitcnt vmcnt(0)
	ds_write2_b64 v145, v[9:10], v[11:12] offset1:1
.LBB129_101:                            ;   in Loop: Header=BB129_99 Depth=1
	s_or_b32 exec_lo, exec_lo, s14
	v_add_co_u32 v9, s3, v7, s4
	v_add_co_ci_u32_e64 v10, null, s5, v8, s3
	s_waitcnt lgkmcnt(0)
	v_add_co_u32 v11, s3, v9, s4
	v_add_co_ci_u32_e64 v12, null, s5, v10, s3
	s_barrier
	v_add_co_u32 v27, s3, v11, s4
	buffer_gl0_inv
	global_load_dwordx4 v[15:18], v[7:8], off
	v_add_co_ci_u32_e64 v28, null, s5, v12, s3
	s_clause 0x2
	global_load_dwordx4 v[19:22], v[9:10], off
	global_load_dwordx4 v[11:14], v[11:12], off
	;; [unrolled: 1-line block ×3, first 2 shown]
	ds_read_b128 v[23:26], v147
	v_add_co_u32 v55, s3, v27, s13
	v_add_co_ci_u32_e64 v56, null, s12, v28, s3
	v_add_co_u32 v57, s3, v55, s4
	v_add_co_ci_u32_e64 v58, null, s5, v56, s3
	;; [unrolled: 2-line block ×4, first 2 shown]
	s_waitcnt vmcnt(3) lgkmcnt(0)
	v_mul_f64 v[29:30], v[17:18], v[25:26]
	v_mul_f64 v[31:32], v[15:16], v[25:26]
	s_waitcnt vmcnt(2)
	v_mul_f64 v[33:34], v[21:22], v[25:26]
	v_mul_f64 v[41:42], v[19:20], v[25:26]
	s_waitcnt vmcnt(1)
	v_mul_f64 v[43:44], v[13:14], v[25:26]
	v_mul_f64 v[45:46], v[11:12], v[25:26]
	s_waitcnt vmcnt(0)
	v_mul_f64 v[47:48], v[9:10], v[25:26]
	v_mul_f64 v[25:26], v[7:8], v[25:26]
	v_fma_f64 v[35:36], v[15:16], v[23:24], -v[29:30]
	v_fma_f64 v[37:38], v[17:18], v[23:24], v[31:32]
	v_fma_f64 v[39:40], v[19:20], v[23:24], -v[33:34]
	v_fma_f64 v[41:42], v[21:22], v[23:24], v[41:42]
	;; [unrolled: 2-line block ×4, first 2 shown]
	ds_read_b128 v[27:30], v146
	ds_read_b128 v[23:26], v146 offset:16
	ds_read_b128 v[31:34], v146 offset:32
	;; [unrolled: 1-line block ×3, first 2 shown]
	ds_write_b128 v148, v[35:38]
	ds_write_b128 v148, v[39:42] offset:1072
	ds_write_b128 v148, v[43:46] offset:2144
	;; [unrolled: 1-line block ×3, first 2 shown]
	s_waitcnt lgkmcnt(0)
	s_barrier
	buffer_gl0_inv
	ds_read_b128 v[123:126], v149
	ds_read_b128 v[153:156], v149 offset:16
	ds_read_b128 v[157:160], v149 offset:32
	ds_read_b128 v[87:90], v149 offset:48
	s_waitcnt lgkmcnt(0)
	s_barrier
	buffer_gl0_inv
	s_clause 0x3
	global_load_dwordx4 v[51:54], v[55:56], off
	global_load_dwordx4 v[43:46], v[57:58], off
	;; [unrolled: 1-line block ×4, first 2 shown]
	ds_read_b128 v[55:58], v147
	v_add_f64 v[205:206], v[123:124], 0
	v_add_f64 v[207:208], v[125:126], 0
	s_waitcnt vmcnt(2) lgkmcnt(0)
	v_mul_f64 v[63:64], v[45:46], v[57:58]
	v_mul_f64 v[59:60], v[53:54], v[57:58]
	;; [unrolled: 1-line block ×4, first 2 shown]
	s_waitcnt vmcnt(1)
	v_mul_f64 v[67:68], v[41:42], v[57:58]
	v_mul_f64 v[71:72], v[39:40], v[57:58]
	s_waitcnt vmcnt(0)
	v_mul_f64 v[73:74], v[37:38], v[57:58]
	v_mul_f64 v[75:76], v[35:36], v[57:58]
	v_fma_f64 v[57:58], v[51:52], v[55:56], -v[59:60]
	v_fma_f64 v[59:60], v[53:54], v[55:56], v[61:62]
	v_fma_f64 v[61:62], v[43:44], v[55:56], -v[63:64]
	v_fma_f64 v[63:64], v[45:46], v[55:56], v[65:66]
	;; [unrolled: 2-line block ×4, first 2 shown]
	v_add_co_u32 v55, s3, v69, s13
	v_add_co_ci_u32_e64 v56, null, s12, v70, s3
	ds_read_b128 v[83:86], v146 offset:256
	ds_read_b128 v[79:82], v146 offset:272
	;; [unrolled: 1-line block ×4, first 2 shown]
	v_add_co_u32 v95, s3, v55, s4
	v_add_co_ci_u32_e64 v96, null, s5, v56, s3
	ds_write_b128 v148, v[57:60]
	ds_write_b128 v148, v[61:64] offset:1072
	ds_write_b128 v148, v[65:68] offset:2144
	;; [unrolled: 1-line block ×3, first 2 shown]
	v_add_co_u32 v97, s3, v95, s4
	v_add_co_ci_u32_e64 v98, null, s5, v96, s3
	s_waitcnt lgkmcnt(0)
	v_add_co_u32 v105, s3, v97, s4
	v_add_co_ci_u32_e64 v106, null, s5, v98, s3
	s_barrier
	buffer_gl0_inv
	ds_read_b128 v[161:164], v149
	ds_read_b128 v[165:168], v149 offset:16
	ds_read_b128 v[169:172], v149 offset:32
	;; [unrolled: 1-line block ×3, first 2 shown]
	s_waitcnt lgkmcnt(0)
	s_barrier
	buffer_gl0_inv
	s_clause 0x2
	global_load_dwordx4 v[67:70], v[55:56], off
	global_load_dwordx4 v[63:66], v[95:96], off
	;; [unrolled: 1-line block ×4, first 2 shown]
	ds_read_b128 v[91:94], v147
	v_add_f64 v[161:162], v[161:162], 0
	v_add_f64 v[163:164], v[163:164], 0
	;; [unrolled: 1-line block ×6, first 2 shown]
	s_waitcnt vmcnt(2) lgkmcnt(0)
	v_mul_f64 v[99:100], v[65:66], v[93:94]
	v_mul_f64 v[95:96], v[69:70], v[93:94]
	;; [unrolled: 1-line block ×4, first 2 shown]
	s_waitcnt vmcnt(1)
	v_mul_f64 v[103:104], v[61:62], v[93:94]
	v_mul_f64 v[107:108], v[59:60], v[93:94]
	s_waitcnt vmcnt(0)
	v_mul_f64 v[109:110], v[57:58], v[93:94]
	v_mul_f64 v[111:112], v[55:56], v[93:94]
	v_fma_f64 v[93:94], v[67:68], v[91:92], -v[95:96]
	v_fma_f64 v[95:96], v[69:70], v[91:92], v[97:98]
	v_fma_f64 v[97:98], v[63:64], v[91:92], -v[99:100]
	v_fma_f64 v[99:100], v[65:66], v[91:92], v[101:102]
	;; [unrolled: 2-line block ×4, first 2 shown]
	v_add_co_u32 v91, s3, v105, s13
	v_add_co_ci_u32_e64 v92, null, s12, v106, s3
	ds_read_b128 v[119:122], v146 offset:512
	ds_read_b128 v[115:118], v146 offset:528
	;; [unrolled: 1-line block ×4, first 2 shown]
	v_add_co_u32 v105, s3, v91, s4
	v_add_co_ci_u32_e64 v106, null, s5, v92, s3
	ds_write_b128 v148, v[93:96]
	ds_write_b128 v148, v[97:100] offset:1072
	ds_write_b128 v148, v[101:104] offset:2144
	;; [unrolled: 1-line block ×3, first 2 shown]
	v_add_co_u32 v131, s3, v105, s4
	v_add_co_ci_u32_e64 v132, null, s5, v106, s3
	s_waitcnt lgkmcnt(0)
	v_add_co_u32 v140, s3, v131, s4
	v_add_co_ci_u32_e64 v141, null, s5, v132, s3
	s_barrier
	buffer_gl0_inv
	ds_read_b128 v[177:180], v149
	ds_read_b128 v[181:184], v149 offset:16
	ds_read_b128 v[185:188], v149 offset:32
	ds_read_b128 v[189:192], v149 offset:48
	s_waitcnt lgkmcnt(0)
	s_barrier
	buffer_gl0_inv
	global_load_dwordx4 v[99:102], v[91:92], off
	global_load_dwordx4 v[95:98], v[105:106], off
	;; [unrolled: 1-line block ×4, first 2 shown]
	ds_read_b128 v[127:130], v147
	v_add_f64 v[177:178], v[177:178], 0
	v_add_f64 v[179:180], v[179:180], 0
	;; [unrolled: 1-line block ×6, first 2 shown]
	s_waitcnt vmcnt(3) lgkmcnt(0)
	v_mul_f64 v[131:132], v[101:102], v[129:130]
	v_mul_f64 v[133:134], v[99:100], v[129:130]
	s_waitcnt vmcnt(2)
	v_mul_f64 v[135:136], v[97:98], v[129:130]
	v_mul_f64 v[137:138], v[95:96], v[129:130]
	s_waitcnt vmcnt(1)
	;; [unrolled: 3-line block ×3, first 2 shown]
	v_mul_f64 v[201:202], v[105:106], v[129:130]
	v_mul_f64 v[129:130], v[103:104], v[129:130]
	v_fma_f64 v[131:132], v[99:100], v[127:128], -v[131:132]
	v_fma_f64 v[133:134], v[101:102], v[127:128], v[133:134]
	v_fma_f64 v[193:194], v[95:96], v[127:128], -v[135:136]
	v_fma_f64 v[195:196], v[97:98], v[127:128], v[137:138]
	;; [unrolled: 2-line block ×4, first 2 shown]
	ds_write_b128 v148, v[131:134]
	ds_read_b128 v[135:138], v146 offset:768
	ds_read_b128 v[131:134], v146 offset:784
	ds_write_b128 v148, v[193:196] offset:1072
	ds_write_b128 v148, v[197:200] offset:2144
	ds_read_b128 v[127:130], v146 offset:800
	ds_read_b128 v[123:126], v146 offset:816
	v_add_f64 v[197:198], v[205:206], v[153:154]
	ds_write_b128 v148, v[201:204] offset:3216
	s_waitcnt lgkmcnt(0)
	s_barrier
	buffer_gl0_inv
	ds_read_b128 v[193:196], v149
	v_add_f64 v[199:200], v[207:208], v[155:156]
	ds_read_b128 v[153:156], v149 offset:16
	v_add_f64 v[181:182], v[197:198], v[157:158]
	s_waitcnt lgkmcnt(1)
	v_add_f64 v[193:194], v[193:194], 0
	v_add_f64 v[195:196], v[195:196], 0
	;; [unrolled: 1-line block ×3, first 2 shown]
	ds_read_b128 v[157:160], v149 offset:48
	v_add_f64 v[87:88], v[181:182], v[87:88]
	s_waitcnt lgkmcnt(1)
	v_add_f64 v[177:178], v[193:194], v[153:154]
	v_add_f64 v[179:180], v[195:196], v[155:156]
	ds_read_b128 v[153:156], v149 offset:32
	v_add_f64 v[89:90], v[183:184], v[89:90]
	s_waitcnt lgkmcnt(0)
	s_barrier
	buffer_gl0_inv
	v_add_f64 v[169:170], v[177:178], v[153:154]
	v_add_f64 v[171:172], v[179:180], v[155:156]
	v_add_f64 v[153:154], v[161:162], v[173:174]
	v_add_f64 v[155:156], v[163:164], v[175:176]
	v_add_f64 v[161:162], v[165:166], v[189:190]
	v_add_f64 v[163:164], v[167:168], v[191:192]
	v_add_f64 v[157:158], v[169:170], v[157:158]
	v_add_f64 v[159:160], v[171:172], v[159:160]
	ds_write_b128 v152, v[87:90]
	ds_write_b128 v152, v[153:156] offset:256
	ds_write_b128 v152, v[161:164] offset:512
	;; [unrolled: 1-line block ×3, first 2 shown]
	s_waitcnt lgkmcnt(0)
	s_barrier
	buffer_gl0_inv
	s_and_saveexec_b32 s9, s2
	s_cbranch_execz .LBB129_98
; %bb.102:                              ;   in Loop: Header=BB129_99 Depth=1
	ds_read_b128 v[87:90], v150
	ds_read_b128 v[153:156], v150 offset:16
	s_waitcnt lgkmcnt(0)
	v_add_f64 v[157:158], v[153:154], v[87:88]
	v_add_f64 v[159:160], v[155:156], v[89:90]
	ds_read_b128 v[87:90], v150 offset:32
	ds_read_b128 v[153:156], v150 offset:48
	s_waitcnt lgkmcnt(1)
	v_add_f64 v[87:88], v[157:158], v[87:88]
	v_add_f64 v[89:90], v[159:160], v[89:90]
	s_waitcnt lgkmcnt(0)
	v_add_f64 v[157:158], v[87:88], v[153:154]
	v_add_f64 v[159:160], v[89:90], v[155:156]
	ds_read_b128 v[87:90], v150 offset:64
	ds_read_b128 v[153:156], v150 offset:80
	s_waitcnt lgkmcnt(1)
	v_add_f64 v[87:88], v[157:158], v[87:88]
	v_add_f64 v[89:90], v[159:160], v[89:90]
	;; [unrolled: 8-line block ×6, first 2 shown]
	s_waitcnt lgkmcnt(0)
	v_add_f64 v[157:158], v[87:88], v[153:154]
	v_add_f64 v[159:160], v[89:90], v[155:156]
	ds_read_b128 v[87:90], v150 offset:224
	ds_read_b128 v[153:156], v151
	s_waitcnt lgkmcnt(1)
	v_add_f64 v[87:88], v[157:158], v[87:88]
	v_add_f64 v[89:90], v[159:160], v[89:90]
	s_waitcnt lgkmcnt(0)
	v_add_f64 v[87:88], v[87:88], v[153:154]
	v_add_f64 v[89:90], v[89:90], v[155:156]
	v_lshlrev_b64 v[153:154], 4, v[0:1]
	v_add_co_u32 v153, s3, s7, v153
	v_add_co_ci_u32_e64 v154, null, s10, v154, s3
	global_store_dwordx4 v[153:154], v[87:90], off
	s_branch .LBB129_98
.LBB129_103:
	v_mad_u32_u24 v0, 0x430, v2, v142
	s_nor_b32 s0, s0, vcc_lo
	ds_write_b128 v0, v[3:6]
	s_waitcnt lgkmcnt(0)
	s_barrier
	buffer_gl0_inv
	s_and_saveexec_b32 s1, s0
	s_cbranch_execz .LBB129_105
; %bb.104:
	ds_read_b128 v[0:3], v142 offset:1072
	ds_read_b128 v[4:7], v142
	v_ashrrev_i32_e32 v140, 31, v139
	s_waitcnt lgkmcnt(0)
	v_add_f64 v[8:9], v[0:1], v[4:5]
	v_add_f64 v[10:11], v[2:3], v[6:7]
	ds_read_b128 v[0:3], v142 offset:2144
	ds_read_b128 v[4:7], v142 offset:3216
	s_waitcnt lgkmcnt(1)
	v_add_f64 v[0:1], v[8:9], v[0:1]
	v_add_f64 v[2:3], v[10:11], v[2:3]
	s_waitcnt lgkmcnt(0)
	v_add_f64 v[0:1], v[0:1], v[4:5]
	v_add_f64 v[2:3], v[2:3], v[6:7]
	v_lshlrev_b64 v[4:5], 4, v[139:140]
	v_add_co_u32 v4, vcc_lo, s7, v4
	v_add_co_ci_u32_e64 v5, null, s10, v5, vcc_lo
	global_store_dwordx4 v[4:5], v[0:3], off
.LBB129_105:
	s_endpgm
	.section	.rodata,"a",@progbits
	.p2align	6, 0x0
	.amdhsa_kernel _ZL26rocblas_hemvn_kernel_lowerILb0ELi64ELi4ELi33ELi32ELi16Ei19rocblas_complex_numIdEPKS1_PS1_EviT6_lT7_lT5_lS6_lS7_lS5_lT8_i
		.amdhsa_group_segment_fixed_size 19200
		.amdhsa_private_segment_fixed_size 0
		.amdhsa_kernarg_size 392
		.amdhsa_user_sgpr_count 6
		.amdhsa_user_sgpr_private_segment_buffer 1
		.amdhsa_user_sgpr_dispatch_ptr 0
		.amdhsa_user_sgpr_queue_ptr 0
		.amdhsa_user_sgpr_kernarg_segment_ptr 1
		.amdhsa_user_sgpr_dispatch_id 0
		.amdhsa_user_sgpr_flat_scratch_init 0
		.amdhsa_user_sgpr_private_segment_size 0
		.amdhsa_wavefront_size32 1
		.amdhsa_uses_dynamic_stack 0
		.amdhsa_system_sgpr_private_segment_wavefront_offset 0
		.amdhsa_system_sgpr_workgroup_id_x 1
		.amdhsa_system_sgpr_workgroup_id_y 0
		.amdhsa_system_sgpr_workgroup_id_z 1
		.amdhsa_system_sgpr_workgroup_info 0
		.amdhsa_system_vgpr_workitem_id 1
		.amdhsa_next_free_vgpr 209
		.amdhsa_next_free_sgpr 30
		.amdhsa_reserve_vcc 1
		.amdhsa_reserve_flat_scratch 0
		.amdhsa_float_round_mode_32 0
		.amdhsa_float_round_mode_16_64 0
		.amdhsa_float_denorm_mode_32 3
		.amdhsa_float_denorm_mode_16_64 3
		.amdhsa_dx10_clamp 1
		.amdhsa_ieee_mode 1
		.amdhsa_fp16_overflow 0
		.amdhsa_workgroup_processor_mode 1
		.amdhsa_memory_ordered 1
		.amdhsa_forward_progress 1
		.amdhsa_shared_vgpr_count 0
		.amdhsa_exception_fp_ieee_invalid_op 0
		.amdhsa_exception_fp_denorm_src 0
		.amdhsa_exception_fp_ieee_div_zero 0
		.amdhsa_exception_fp_ieee_overflow 0
		.amdhsa_exception_fp_ieee_underflow 0
		.amdhsa_exception_fp_ieee_inexact 0
		.amdhsa_exception_int_div_zero 0
	.end_amdhsa_kernel
	.section	.text._ZL26rocblas_hemvn_kernel_lowerILb0ELi64ELi4ELi33ELi32ELi16Ei19rocblas_complex_numIdEPKS1_PS1_EviT6_lT7_lT5_lS6_lS7_lS5_lT8_i,"axG",@progbits,_ZL26rocblas_hemvn_kernel_lowerILb0ELi64ELi4ELi33ELi32ELi16Ei19rocblas_complex_numIdEPKS1_PS1_EviT6_lT7_lT5_lS6_lS7_lS5_lT8_i,comdat
.Lfunc_end129:
	.size	_ZL26rocblas_hemvn_kernel_lowerILb0ELi64ELi4ELi33ELi32ELi16Ei19rocblas_complex_numIdEPKS1_PS1_EviT6_lT7_lT5_lS6_lS7_lS5_lT8_i, .Lfunc_end129-_ZL26rocblas_hemvn_kernel_lowerILb0ELi64ELi4ELi33ELi32ELi16Ei19rocblas_complex_numIdEPKS1_PS1_EviT6_lT7_lT5_lS6_lS7_lS5_lT8_i
                                        ; -- End function
	.set _ZL26rocblas_hemvn_kernel_lowerILb0ELi64ELi4ELi33ELi32ELi16Ei19rocblas_complex_numIdEPKS1_PS1_EviT6_lT7_lT5_lS6_lS7_lS5_lT8_i.num_vgpr, 209
	.set _ZL26rocblas_hemvn_kernel_lowerILb0ELi64ELi4ELi33ELi32ELi16Ei19rocblas_complex_numIdEPKS1_PS1_EviT6_lT7_lT5_lS6_lS7_lS5_lT8_i.num_agpr, 0
	.set _ZL26rocblas_hemvn_kernel_lowerILb0ELi64ELi4ELi33ELi32ELi16Ei19rocblas_complex_numIdEPKS1_PS1_EviT6_lT7_lT5_lS6_lS7_lS5_lT8_i.numbered_sgpr, 30
	.set _ZL26rocblas_hemvn_kernel_lowerILb0ELi64ELi4ELi33ELi32ELi16Ei19rocblas_complex_numIdEPKS1_PS1_EviT6_lT7_lT5_lS6_lS7_lS5_lT8_i.num_named_barrier, 0
	.set _ZL26rocblas_hemvn_kernel_lowerILb0ELi64ELi4ELi33ELi32ELi16Ei19rocblas_complex_numIdEPKS1_PS1_EviT6_lT7_lT5_lS6_lS7_lS5_lT8_i.private_seg_size, 0
	.set _ZL26rocblas_hemvn_kernel_lowerILb0ELi64ELi4ELi33ELi32ELi16Ei19rocblas_complex_numIdEPKS1_PS1_EviT6_lT7_lT5_lS6_lS7_lS5_lT8_i.uses_vcc, 1
	.set _ZL26rocblas_hemvn_kernel_lowerILb0ELi64ELi4ELi33ELi32ELi16Ei19rocblas_complex_numIdEPKS1_PS1_EviT6_lT7_lT5_lS6_lS7_lS5_lT8_i.uses_flat_scratch, 0
	.set _ZL26rocblas_hemvn_kernel_lowerILb0ELi64ELi4ELi33ELi32ELi16Ei19rocblas_complex_numIdEPKS1_PS1_EviT6_lT7_lT5_lS6_lS7_lS5_lT8_i.has_dyn_sized_stack, 0
	.set _ZL26rocblas_hemvn_kernel_lowerILb0ELi64ELi4ELi33ELi32ELi16Ei19rocblas_complex_numIdEPKS1_PS1_EviT6_lT7_lT5_lS6_lS7_lS5_lT8_i.has_recursion, 0
	.set _ZL26rocblas_hemvn_kernel_lowerILb0ELi64ELi4ELi33ELi32ELi16Ei19rocblas_complex_numIdEPKS1_PS1_EviT6_lT7_lT5_lS6_lS7_lS5_lT8_i.has_indirect_call, 0
	.section	.AMDGPU.csdata,"",@progbits
; Kernel info:
; codeLenInByte = 9872
; TotalNumSgprs: 32
; NumVgprs: 209
; ScratchSize: 0
; MemoryBound: 0
; FloatMode: 240
; IeeeMode: 1
; LDSByteSize: 19200 bytes/workgroup (compile time only)
; SGPRBlocks: 0
; VGPRBlocks: 26
; NumSGPRsForWavesPerEU: 32
; NumVGPRsForWavesPerEU: 209
; Occupancy: 4
; WaveLimiterHint : 1
; COMPUTE_PGM_RSRC2:SCRATCH_EN: 0
; COMPUTE_PGM_RSRC2:USER_SGPR: 6
; COMPUTE_PGM_RSRC2:TRAP_HANDLER: 0
; COMPUTE_PGM_RSRC2:TGID_X_EN: 1
; COMPUTE_PGM_RSRC2:TGID_Y_EN: 0
; COMPUTE_PGM_RSRC2:TGID_Z_EN: 1
; COMPUTE_PGM_RSRC2:TIDIG_COMP_CNT: 1
	.section	.text._ZL50rocblas_symv_kernel_upper_double_buffered_diagonalILi32ELi4E24rocblas_internal_val_ptrIfEPKPKfPKPfEvbiT1_lT2_lllSA_lllS9_lT3_llli,"axG",@progbits,_ZL50rocblas_symv_kernel_upper_double_buffered_diagonalILi32ELi4E24rocblas_internal_val_ptrIfEPKPKfPKPfEvbiT1_lT2_lllSA_lllS9_lT3_llli,comdat
	.globl	_ZL50rocblas_symv_kernel_upper_double_buffered_diagonalILi32ELi4E24rocblas_internal_val_ptrIfEPKPKfPKPfEvbiT1_lT2_lllSA_lllS9_lT3_llli ; -- Begin function _ZL50rocblas_symv_kernel_upper_double_buffered_diagonalILi32ELi4E24rocblas_internal_val_ptrIfEPKPKfPKPfEvbiT1_lT2_lllSA_lllS9_lT3_llli
	.p2align	8
	.type	_ZL50rocblas_symv_kernel_upper_double_buffered_diagonalILi32ELi4E24rocblas_internal_val_ptrIfEPKPKfPKPfEvbiT1_lT2_lllSA_lllS9_lT3_llli,@function
_ZL50rocblas_symv_kernel_upper_double_buffered_diagonalILi32ELi4E24rocblas_internal_val_ptrIfEPKPKfPKPfEvbiT1_lT2_lllSA_lllS9_lT3_llli: ; @_ZL50rocblas_symv_kernel_upper_double_buffered_diagonalILi32ELi4E24rocblas_internal_val_ptrIfEPKPKfPKPfEvbiT1_lT2_lllSA_lllS9_lT3_llli
; %bb.0:
	s_clause 0x2
	s_load_dword s1, s[4:5], 0x0
	s_load_dwordx8 s[8:15], s[4:5], 0x8
	s_load_dwordx2 s[20:21], s[4:5], 0x28
	s_mov_b32 s0, s7
	s_mov_b32 s2, -1
                                        ; implicit-def: $sgpr24
	s_waitcnt lgkmcnt(0)
	s_bitcmp1_b32 s1, 0
	s_cselect_b32 s1, -1, 0
	s_xor_b32 s1, s1, -1
	s_and_b32 vcc_lo, exec_lo, s1
	s_cbranch_vccnz .LBB130_7
; %bb.1:
	s_load_dwordx4 s[16:19], s[4:5], 0x58
	s_andn2_b32 vcc_lo, exec_lo, s2
	s_cbranch_vccz .LBB130_8
.LBB130_2:
	s_andn2_b32 vcc_lo, exec_lo, s1
	s_cbranch_vccnz .LBB130_4
.LBB130_3:
	s_waitcnt lgkmcnt(0)
	s_mul_i32 s1, s19, s0
	s_mul_hi_u32 s2, s18, s0
	s_add_i32 s3, s2, s1
	s_mul_i32 s2, s18, s0
	s_lshl_b64 s[2:3], s[2:3], 2
	s_add_u32 s2, s16, s2
	s_addc_u32 s3, s17, s3
	s_load_dword s16, s[2:3], 0x0
.LBB130_4:
	s_waitcnt lgkmcnt(0)
	v_cmp_eq_f32_e64 s7, s24, 0
	v_cmp_eq_f32_e64 s1, s16, 1.0
	s_and_b32 s1, s7, s1
	s_and_b32 vcc_lo, exec_lo, s1
	s_mov_b32 s1, 0
	s_cbranch_vccnz .LBB130_45
; %bb.5:
	v_cmp_neq_f32_e64 s17, s24, 0
	s_and_b32 vcc_lo, exec_lo, s17
	s_cbranch_vccnz .LBB130_9
; %bb.6:
	s_mov_b32 s19, 0
	s_mov_b32 s18, s0
	s_mov_b32 s2, s19
	s_branch .LBB130_10
.LBB130_7:
	s_mul_i32 s2, s11, s0
	s_mul_hi_u32 s3, s10, s0
	s_add_i32 s3, s3, s2
	s_mul_i32 s2, s10, s0
	s_lshl_b64 s[2:3], s[2:3], 2
	s_add_u32 s2, s8, s2
	s_addc_u32 s3, s9, s3
	s_load_dword s24, s[2:3], 0x0
	s_load_dwordx4 s[16:19], s[4:5], 0x58
	s_cbranch_execnz .LBB130_2
.LBB130_8:
	s_waitcnt lgkmcnt(0)
	s_mov_b32 s24, s8
	s_andn2_b32 vcc_lo, exec_lo, s1
	s_cbranch_vccz .LBB130_3
	s_branch .LBB130_4
.LBB130_9:
	s_mov_b32 s2, -1
	s_mov_b64 s[18:19], s[0:1]
.LBB130_10:
	s_load_dwordx2 s[22:23], s[4:5], 0x68
	s_mov_b64 s[10:11], 0
	s_andn2_b32 vcc_lo, exec_lo, s2
	s_mov_b64 s[8:9], 0
	s_cbranch_vccnz .LBB130_12
; %bb.11:
	s_lshl_b64 s[0:1], s[0:1], 3
	s_add_u32 s0, s12, s0
	s_addc_u32 s1, s13, s1
	s_lshl_b64 s[2:3], s[14:15], 2
	s_load_dwordx2 s[0:1], s[0:1], 0x0
	s_waitcnt lgkmcnt(0)
	s_add_u32 s8, s0, s2
	s_addc_u32 s9, s1, s3
.LBB130_12:
	s_clause 0x1
	s_load_dwordx4 s[0:3], s[4:5], 0x38
	s_load_dwordx2 s[12:13], s[4:5], 0x48
	s_andn2_b32 vcc_lo, exec_lo, s17
	s_cbranch_vccnz .LBB130_14
; %bb.13:
	s_lshl_b64 s[10:11], s[18:19], 3
	s_waitcnt lgkmcnt(0)
	s_add_u32 s0, s0, s10
	s_addc_u32 s1, s1, s11
	s_lshl_b64 s[2:3], s[2:3], 2
	s_load_dwordx2 s[0:1], s[0:1], 0x0
	s_waitcnt lgkmcnt(0)
	s_add_u32 s10, s0, s2
	s_addc_u32 s11, s1, s3
.LBB130_14:
	s_lshl_b64 s[14:15], s[18:19], 3
	s_waitcnt lgkmcnt(0)
	s_load_dwordx4 s[0:3], s[4:5], 0x70
	s_add_u32 s4, s22, s14
	s_addc_u32 s5, s23, s15
	s_load_dwordx2 s[4:5], s[4:5], 0x0
	s_waitcnt lgkmcnt(0)
	s_lshl_b64 s[0:1], s[0:1], 2
	s_add_u32 s17, s4, s0
	s_addc_u32 s18, s5, s1
	s_lshl_b32 s4, s6, 5
	s_ashr_i32 s5, s4, 31
	s_mul_hi_u32 s0, s2, s4
	s_mul_i32 s1, s2, s5
	s_mul_i32 s6, s3, s4
	s_add_i32 s1, s0, s1
	s_mul_i32 s0, s2, s4
	s_add_i32 s1, s1, s6
	s_mov_b32 s6, -1
	s_lshl_b64 s[14:15], s[0:1], 2
	v_cmp_eq_u32_e64 s0, 0, v1
	s_add_u32 s1, s17, s14
	s_addc_u32 s14, s18, s15
	s_andn2_b32 vcc_lo, exec_lo, s7
	s_cbranch_vccnz .LBB130_18
; %bb.15:
	s_mov_b32 s6, 0
	s_and_saveexec_b32 s7, s0
	s_cbranch_execz .LBB130_17
; %bb.16:
	v_mad_u64_u32 v[2:3], null, s2, v0, 0
	v_mad_u64_u32 v[3:4], null, s3, v0, v[3:4]
	v_lshlrev_b64 v[2:3], 2, v[2:3]
	v_add_co_u32 v2, vcc_lo, s1, v2
	v_add_co_ci_u32_e64 v3, null, s14, v3, vcc_lo
	flat_load_dword v4, v[2:3]
	s_waitcnt vmcnt(0) lgkmcnt(0)
	v_mul_f32_e32 v4, s16, v4
	flat_store_dword v[2:3], v4
.LBB130_17:
	s_or_b32 exec_lo, exec_lo, s7
.LBB130_18:
	s_andn2_b32 vcc_lo, exec_lo, s6
	s_cbranch_vccnz .LBB130_45
; %bb.19:
	v_mov_b32_e32 v10, 0
	v_cmp_eq_u32_e64 s0, 0, v1
	s_and_saveexec_b32 s6, s0
	s_cbranch_execz .LBB130_23
; %bb.20:
	v_cmp_eq_f32_e64 s7, s16, 0
	v_mov_b32_e32 v10, 0
	s_and_b32 vcc_lo, exec_lo, s7
	s_cbranch_vccnz .LBB130_22
; %bb.21:
	v_mad_u64_u32 v[2:3], null, s2, v0, 0
	v_mad_u64_u32 v[3:4], null, s3, v0, v[3:4]
	v_lshlrev_b64 v[2:3], 2, v[2:3]
	v_add_co_u32 v2, vcc_lo, s1, v2
	v_add_co_ci_u32_e64 v3, null, s14, v3, vcc_lo
	flat_load_dword v2, v[2:3]
	s_waitcnt vmcnt(0) lgkmcnt(0)
	v_mul_f32_e32 v10, s16, v2
.LBB130_22:
	v_mad_u64_u32 v[2:3], null, s12, v0, 0
	s_mul_i32 s7, s12, s5
	s_mul_hi_u32 s15, s12, s4
	s_mul_i32 s12, s12, s4
	s_add_i32 s7, s15, s7
	v_mad_u64_u32 v[3:4], null, s13, v0, v[3:4]
	s_mul_i32 s13, s13, s4
	s_add_i32 s13, s7, s13
	s_lshl_b64 s[12:13], s[12:13], 2
	s_add_u32 s7, s10, s12
	v_lshlrev_b64 v[2:3], 2, v[2:3]
	s_addc_u32 s10, s11, s13
	v_add_co_u32 v2, vcc_lo, s7, v2
	v_add_co_ci_u32_e64 v3, null, s10, v3, vcc_lo
	flat_load_dword v2, v[2:3]
	v_lshlrev_b32_e32 v3, 2, v0
	s_waitcnt vmcnt(0) lgkmcnt(0)
	ds_write_b32 v3, v2 offset:5120
.LBB130_23:
	s_or_b32 exec_lo, exec_lo, s6
	v_mad_u64_u32 v[2:3], null, s20, v1, 0
	s_add_u32 s6, s20, 1
	s_addc_u32 s7, s21, 0
	s_mul_i32 s5, s6, s5
	s_mul_hi_u32 s10, s6, s4
	s_mul_i32 s7, s7, s4
	s_add_i32 s5, s10, s5
	v_mad_u64_u32 v[3:4], null, s21, v1, v[3:4]
	s_mul_i32 s4, s6, s4
	s_add_i32 s5, s5, s7
	v_lshlrev_b32_e32 v11, 2, v0
	s_lshl_b64 s[4:5], s[4:5], 2
	s_mul_i32 s10, s21, 12
	s_add_u32 s4, s8, s4
	v_lshlrev_b64 v[2:3], 2, v[2:3]
	s_addc_u32 s5, s9, s5
	s_mul_hi_u32 s11, s20, 12
                                        ; implicit-def: $sgpr6_sgpr7
                                        ; implicit-def: $sgpr8_sgpr9
	v_add_co_u32 v2, vcc_lo, s4, v2
	v_add_co_ci_u32_e64 v3, null, s5, v3, vcc_lo
	s_mul_i32 s4, s20, 12
	v_add_co_u32 v2, vcc_lo, v2, v11
	v_add_co_ci_u32_e64 v3, null, 0, v3, vcc_lo
	s_mov_b32 s5, exec_lo
	v_cmpx_lt_u32_e32 15, v0
	s_xor_b32 s12, exec_lo, s5
; %bb.24:
	s_lshl_b64 s[6:7], s[20:21], 2
	s_lshl_b64 s[8:9], s[20:21], 3
	s_add_i32 s5, s11, s10
; %bb.25:
	s_or_saveexec_b32 s12, s12
	v_mov_b32_e32 v4, s4
	v_mov_b32_e32 v6, s8
	;; [unrolled: 1-line block ×6, first 2 shown]
	v_lshlrev_b32_e32 v12, 7, v1
	s_xor_b32 exec_lo, exec_lo, s12
	s_cbranch_execz .LBB130_27
; %bb.26:
	s_lshl_b64 s[6:7], s[20:21], 4
	s_lshl_b64 s[8:9], s[20:21], 3
	v_add_co_u32 v4, vcc_lo, v2, s6
	v_add_co_ci_u32_e64 v5, null, s7, v3, vcc_lo
	s_add_i32 s5, s11, s10
	v_add_co_u32 v6, vcc_lo, v4, s6
	v_add_co_ci_u32_e64 v7, null, s7, v5, vcc_lo
	v_lshl_add_u32 v17, v0, 2, v12
	v_add_co_u32 v8, vcc_lo, v6, s6
	v_add_co_ci_u32_e64 v9, null, s7, v7, vcc_lo
	s_clause 0x3
	flat_load_dword v13, v[2:3]
	flat_load_dword v14, v[4:5]
	;; [unrolled: 1-line block ×4, first 2 shown]
	s_lshl_b64 s[6:7], s[20:21], 2
	v_mov_b32_e32 v4, s4
	v_mov_b32_e32 v6, s8
	;; [unrolled: 1-line block ×6, first 2 shown]
	s_waitcnt vmcnt(2) lgkmcnt(2)
	ds_write2st64_b32 v17, v13, v14 offset1:2
	s_waitcnt vmcnt(0) lgkmcnt(1)
	ds_write2st64_b32 v17, v15, v16 offset0:4 offset1:6
.LBB130_27:
	s_or_b32 exec_lo, exec_lo, s12
	s_lshl_b64 s[4:5], s[20:21], 6
	v_lshlrev_b64 v[8:9], 2, v[8:9]
	v_add_co_u32 v2, vcc_lo, v2, s4
	v_lshlrev_b64 v[6:7], 2, v[6:7]
	v_add_co_ci_u32_e64 v3, null, s5, v3, vcc_lo
	v_lshlrev_b64 v[4:5], 2, v[4:5]
	v_add_co_u32 v8, vcc_lo, v2, v8
	v_add_co_ci_u32_e64 v9, null, v3, v9, vcc_lo
	v_add_co_u32 v6, vcc_lo, v2, v6
	v_add_co_ci_u32_e64 v7, null, v3, v7, vcc_lo
	;; [unrolled: 2-line block ×3, first 2 shown]
	s_clause 0x3
	flat_load_dword v13, v[2:3]
	flat_load_dword v8, v[8:9]
	;; [unrolled: 1-line block ×4, first 2 shown]
	v_sub_nc_u32_e32 v2, v0, v1
	v_add_nc_u32_e32 v3, 0x800, v12
	v_add_nc_u32_e32 v4, 0xa00, v12
	;; [unrolled: 1-line block ×4, first 2 shown]
	v_sub_nc_u32_e32 v6, 0, v2
	v_mad_u32_u24 v16, 0x7c, v0, v11
	v_add_nc_u32_e32 v5, v11, v3
	v_add_nc_u32_e32 v4, v11, v4
	;; [unrolled: 1-line block ×3, first 2 shown]
	v_max_i32_e32 v7, v2, v6
	v_add_nc_u32_e32 v2, v11, v12
	v_lshl_add_u32 v6, v1, 2, v16
	s_mov_b32 s4, exec_lo
	s_waitcnt vmcnt(3) lgkmcnt(3)
	ds_write_b32 v5, v13
	s_waitcnt vmcnt(2) lgkmcnt(3)
	ds_write_b32 v4, v8
	;; [unrolled: 2-line block ×4, first 2 shown]
	s_waitcnt lgkmcnt(0)
	s_waitcnt_vscnt null, 0x0
	s_barrier
	buffer_gl0_inv
	v_cmpx_lt_u32_e32 16, v7
	s_cbranch_execz .LBB130_29
; %bb.28:
	ds_read_b32 v8, v6 offset:64
	s_waitcnt lgkmcnt(0)
	ds_write_b32 v5, v8
.LBB130_29:
	s_or_b32 exec_lo, exec_lo, s4
	s_mov_b32 s4, exec_lo
	v_cmpx_lt_u32_e32 20, v7
	s_cbranch_execz .LBB130_31
; %bb.30:
	ds_read_b32 v8, v6 offset:80
	s_waitcnt lgkmcnt(0)
	ds_write_b32 v4, v8
.LBB130_31:
	s_or_b32 exec_lo, exec_lo, s4
	s_mov_b32 s4, exec_lo
	;; [unrolled: 9-line block ×3, first 2 shown]
	v_cmpx_lt_u32_e32 28, v7
	s_cbranch_execz .LBB130_35
; %bb.34:
	ds_read_b32 v8, v6 offset:112
	s_waitcnt lgkmcnt(0)
	ds_write_b32 v2, v8
.LBB130_35:
	s_or_b32 exec_lo, exec_lo, s4
	v_lshlrev_b32_e32 v8, 5, v1
	s_mov_b32 s4, exec_lo
	v_cmpx_ge_u32_e64 v0, v1
	s_cbranch_execz .LBB130_37
; %bb.36:
	ds_read_b32 v9, v6
	v_lshl_add_u32 v12, v8, 2, v11
	s_waitcnt lgkmcnt(0)
	ds_write_b32 v12, v9
.LBB130_37:
	s_or_b32 exec_lo, exec_lo, s4
	v_lshl_add_u32 v9, v1, 7, v11
	s_mov_b32 s4, exec_lo
	v_cmpx_lt_u32_e32 4, v7
	s_cbranch_execz .LBB130_39
; %bb.38:
	ds_read_b32 v12, v6 offset:16
	s_waitcnt lgkmcnt(0)
	ds_write_b32 v9, v12 offset:512
.LBB130_39:
	s_or_b32 exec_lo, exec_lo, s4
	s_mov_b32 s4, exec_lo
	v_cmpx_lt_u32_e32 8, v7
	s_cbranch_execz .LBB130_41
; %bb.40:
	ds_read_b32 v12, v6 offset:32
	s_waitcnt lgkmcnt(0)
	ds_write_b32 v9, v12 offset:1024
.LBB130_41:
	s_or_b32 exec_lo, exec_lo, s4
	v_lshl_add_u32 v12, v1, 7, 0x600
	v_cmp_lt_u32_e32 vcc_lo, 12, v7
	v_add_nc_u32_e32 v7, v11, v12
	s_and_saveexec_b32 s4, vcc_lo
	s_cbranch_execz .LBB130_43
; %bb.42:
	ds_read_b32 v6, v6 offset:48
	s_waitcnt lgkmcnt(0)
	ds_write_b32 v7, v6
.LBB130_43:
	s_or_b32 exec_lo, exec_lo, s4
	v_lshlrev_b32_e32 v1, 2, v1
	s_waitcnt lgkmcnt(0)
	s_barrier
	buffer_gl0_inv
	v_add_nc_u32_e32 v1, 0x1400, v1
	ds_read2st64_b32 v[12:13], v9 offset1:2
	ds_read2_b32 v[14:15], v1 offset1:4
	ds_read2_b32 v[16:17], v1 offset0:8 offset1:12
	ds_read_b32 v9, v9 offset:1024
	ds_read_b32 v7, v7
	ds_read_b32 v18, v5
	ds_read2_b32 v[5:6], v1 offset0:16 offset1:20
	s_waitcnt lgkmcnt(5)
	v_fma_f32 v14, v12, v14, 0
	v_fmac_f32_e32 v14, v13, v15
	ds_read_b32 v4, v4
	ds_read2_b32 v[12:13], v1 offset0:24 offset1:28
	ds_read_b32 v1, v3
	ds_read_b32 v2, v2
	s_waitcnt lgkmcnt(7)
	v_fmac_f32_e32 v14, v9, v16
	s_waitcnt lgkmcnt(6)
	v_fmac_f32_e32 v14, v7, v17
	;; [unrolled: 2-line block ×5, first 2 shown]
	v_add_lshl_u32 v1, v8, v0, 2
	s_waitcnt lgkmcnt(0)
	v_fmac_f32_e32 v14, v2, v13
	ds_write_b32 v1, v14 offset:4096
	s_waitcnt lgkmcnt(0)
	s_barrier
	buffer_gl0_inv
	s_and_saveexec_b32 s4, s0
	s_cbranch_execz .LBB130_45
; %bb.44:
	v_add_nc_u32_e32 v3, 0x1000, v11
	v_mad_u64_u32 v[5:6], null, s2, v0, 0
	v_cmp_neq_f32_e64 vcc_lo, s16, 0
	ds_read2_b32 v[1:2], v3 offset1:32
	ds_read2_b32 v[3:4], v3 offset0:64 offset1:96
	s_waitcnt lgkmcnt(1)
	v_add_f32_e32 v7, 0, v1
	v_mov_b32_e32 v1, v6
	v_add_f32_e32 v2, v7, v2
	v_mad_u64_u32 v[0:1], null, s3, v0, v[1:2]
	s_waitcnt lgkmcnt(0)
	v_add_f32_e32 v1, v2, v3
	v_add_f32_e32 v1, v1, v4
	v_mov_b32_e32 v6, v0
	v_mul_f32_e32 v2, s24, v1
	v_fmac_f32_e32 v10, s24, v1
	v_lshlrev_b64 v[0:1], 2, v[5:6]
	v_cndmask_b32_e32 v2, v2, v10, vcc_lo
	v_add_co_u32 v0, vcc_lo, s1, v0
	v_add_co_ci_u32_e64 v1, null, s14, v1, vcc_lo
	flat_store_dword v[0:1], v2
.LBB130_45:
	s_endpgm
	.section	.rodata,"a",@progbits
	.p2align	6, 0x0
	.amdhsa_kernel _ZL50rocblas_symv_kernel_upper_double_buffered_diagonalILi32ELi4E24rocblas_internal_val_ptrIfEPKPKfPKPfEvbiT1_lT2_lllSA_lllS9_lT3_llli
		.amdhsa_group_segment_fixed_size 5248
		.amdhsa_private_segment_fixed_size 0
		.amdhsa_kernarg_size 140
		.amdhsa_user_sgpr_count 6
		.amdhsa_user_sgpr_private_segment_buffer 1
		.amdhsa_user_sgpr_dispatch_ptr 0
		.amdhsa_user_sgpr_queue_ptr 0
		.amdhsa_user_sgpr_kernarg_segment_ptr 1
		.amdhsa_user_sgpr_dispatch_id 0
		.amdhsa_user_sgpr_flat_scratch_init 0
		.amdhsa_user_sgpr_private_segment_size 0
		.amdhsa_wavefront_size32 1
		.amdhsa_uses_dynamic_stack 0
		.amdhsa_system_sgpr_private_segment_wavefront_offset 0
		.amdhsa_system_sgpr_workgroup_id_x 1
		.amdhsa_system_sgpr_workgroup_id_y 0
		.amdhsa_system_sgpr_workgroup_id_z 1
		.amdhsa_system_sgpr_workgroup_info 0
		.amdhsa_system_vgpr_workitem_id 1
		.amdhsa_next_free_vgpr 19
		.amdhsa_next_free_sgpr 25
		.amdhsa_reserve_vcc 1
		.amdhsa_reserve_flat_scratch 1
		.amdhsa_float_round_mode_32 0
		.amdhsa_float_round_mode_16_64 0
		.amdhsa_float_denorm_mode_32 3
		.amdhsa_float_denorm_mode_16_64 3
		.amdhsa_dx10_clamp 1
		.amdhsa_ieee_mode 1
		.amdhsa_fp16_overflow 0
		.amdhsa_workgroup_processor_mode 1
		.amdhsa_memory_ordered 1
		.amdhsa_forward_progress 1
		.amdhsa_shared_vgpr_count 0
		.amdhsa_exception_fp_ieee_invalid_op 0
		.amdhsa_exception_fp_denorm_src 0
		.amdhsa_exception_fp_ieee_div_zero 0
		.amdhsa_exception_fp_ieee_overflow 0
		.amdhsa_exception_fp_ieee_underflow 0
		.amdhsa_exception_fp_ieee_inexact 0
		.amdhsa_exception_int_div_zero 0
	.end_amdhsa_kernel
	.section	.text._ZL50rocblas_symv_kernel_upper_double_buffered_diagonalILi32ELi4E24rocblas_internal_val_ptrIfEPKPKfPKPfEvbiT1_lT2_lllSA_lllS9_lT3_llli,"axG",@progbits,_ZL50rocblas_symv_kernel_upper_double_buffered_diagonalILi32ELi4E24rocblas_internal_val_ptrIfEPKPKfPKPfEvbiT1_lT2_lllSA_lllS9_lT3_llli,comdat
.Lfunc_end130:
	.size	_ZL50rocblas_symv_kernel_upper_double_buffered_diagonalILi32ELi4E24rocblas_internal_val_ptrIfEPKPKfPKPfEvbiT1_lT2_lllSA_lllS9_lT3_llli, .Lfunc_end130-_ZL50rocblas_symv_kernel_upper_double_buffered_diagonalILi32ELi4E24rocblas_internal_val_ptrIfEPKPKfPKPfEvbiT1_lT2_lllSA_lllS9_lT3_llli
                                        ; -- End function
	.set _ZL50rocblas_symv_kernel_upper_double_buffered_diagonalILi32ELi4E24rocblas_internal_val_ptrIfEPKPKfPKPfEvbiT1_lT2_lllSA_lllS9_lT3_llli.num_vgpr, 19
	.set _ZL50rocblas_symv_kernel_upper_double_buffered_diagonalILi32ELi4E24rocblas_internal_val_ptrIfEPKPKfPKPfEvbiT1_lT2_lllSA_lllS9_lT3_llli.num_agpr, 0
	.set _ZL50rocblas_symv_kernel_upper_double_buffered_diagonalILi32ELi4E24rocblas_internal_val_ptrIfEPKPKfPKPfEvbiT1_lT2_lllSA_lllS9_lT3_llli.numbered_sgpr, 25
	.set _ZL50rocblas_symv_kernel_upper_double_buffered_diagonalILi32ELi4E24rocblas_internal_val_ptrIfEPKPKfPKPfEvbiT1_lT2_lllSA_lllS9_lT3_llli.num_named_barrier, 0
	.set _ZL50rocblas_symv_kernel_upper_double_buffered_diagonalILi32ELi4E24rocblas_internal_val_ptrIfEPKPKfPKPfEvbiT1_lT2_lllSA_lllS9_lT3_llli.private_seg_size, 0
	.set _ZL50rocblas_symv_kernel_upper_double_buffered_diagonalILi32ELi4E24rocblas_internal_val_ptrIfEPKPKfPKPfEvbiT1_lT2_lllSA_lllS9_lT3_llli.uses_vcc, 1
	.set _ZL50rocblas_symv_kernel_upper_double_buffered_diagonalILi32ELi4E24rocblas_internal_val_ptrIfEPKPKfPKPfEvbiT1_lT2_lllSA_lllS9_lT3_llli.uses_flat_scratch, 1
	.set _ZL50rocblas_symv_kernel_upper_double_buffered_diagonalILi32ELi4E24rocblas_internal_val_ptrIfEPKPKfPKPfEvbiT1_lT2_lllSA_lllS9_lT3_llli.has_dyn_sized_stack, 0
	.set _ZL50rocblas_symv_kernel_upper_double_buffered_diagonalILi32ELi4E24rocblas_internal_val_ptrIfEPKPKfPKPfEvbiT1_lT2_lllSA_lllS9_lT3_llli.has_recursion, 0
	.set _ZL50rocblas_symv_kernel_upper_double_buffered_diagonalILi32ELi4E24rocblas_internal_val_ptrIfEPKPKfPKPfEvbiT1_lT2_lllSA_lllS9_lT3_llli.has_indirect_call, 0
	.section	.AMDGPU.csdata,"",@progbits
; Kernel info:
; codeLenInByte = 2088
; TotalNumSgprs: 27
; NumVgprs: 19
; ScratchSize: 0
; MemoryBound: 0
; FloatMode: 240
; IeeeMode: 1
; LDSByteSize: 5248 bytes/workgroup (compile time only)
; SGPRBlocks: 0
; VGPRBlocks: 2
; NumSGPRsForWavesPerEU: 27
; NumVGPRsForWavesPerEU: 19
; Occupancy: 16
; WaveLimiterHint : 1
; COMPUTE_PGM_RSRC2:SCRATCH_EN: 0
; COMPUTE_PGM_RSRC2:USER_SGPR: 6
; COMPUTE_PGM_RSRC2:TRAP_HANDLER: 0
; COMPUTE_PGM_RSRC2:TGID_X_EN: 1
; COMPUTE_PGM_RSRC2:TGID_Y_EN: 0
; COMPUTE_PGM_RSRC2:TGID_Z_EN: 1
; COMPUTE_PGM_RSRC2:TIDIG_COMP_CNT: 1
	.section	.text._ZL54rocblas_symv_kernel_upper_double_buffered_non_diagonalILi32ELi4ELi4E24rocblas_internal_val_ptrIfEPKPKfPKPfEvbiT2_lT3_lllSA_lllT4_llli,"axG",@progbits,_ZL54rocblas_symv_kernel_upper_double_buffered_non_diagonalILi32ELi4ELi4E24rocblas_internal_val_ptrIfEPKPKfPKPfEvbiT2_lT3_lllSA_lllT4_llli,comdat
	.globl	_ZL54rocblas_symv_kernel_upper_double_buffered_non_diagonalILi32ELi4ELi4E24rocblas_internal_val_ptrIfEPKPKfPKPfEvbiT2_lT3_lllSA_lllT4_llli ; -- Begin function _ZL54rocblas_symv_kernel_upper_double_buffered_non_diagonalILi32ELi4ELi4E24rocblas_internal_val_ptrIfEPKPKfPKPfEvbiT2_lT3_lllSA_lllT4_llli
	.p2align	8
	.type	_ZL54rocblas_symv_kernel_upper_double_buffered_non_diagonalILi32ELi4ELi4E24rocblas_internal_val_ptrIfEPKPKfPKPfEvbiT2_lT3_lllSA_lllT4_llli,@function
_ZL54rocblas_symv_kernel_upper_double_buffered_non_diagonalILi32ELi4ELi4E24rocblas_internal_val_ptrIfEPKPKfPKPfEvbiT2_lT3_lllSA_lllT4_llli: ; @_ZL54rocblas_symv_kernel_upper_double_buffered_non_diagonalILi32ELi4ELi4E24rocblas_internal_val_ptrIfEPKPKfPKPfEvbiT2_lT3_lllSA_lllT4_llli
; %bb.0:
	s_clause 0x2
	s_load_dword s0, s[4:5], 0x0
	s_load_dwordx8 s[12:19], s[4:5], 0x8
	s_load_dwordx2 s[10:11], s[4:5], 0x28
	s_waitcnt lgkmcnt(0)
	s_bitcmp0_b32 s0, 0
	s_mov_b32 s0, 0
	s_cbranch_scc0 .LBB131_2
; %bb.1:
	s_mul_i32 s1, s15, s8
	s_mul_hi_u32 s2, s14, s8
	s_add_i32 s3, s2, s1
	s_mul_i32 s2, s14, s8
	s_lshl_b64 s[2:3], s[2:3], 2
	s_add_u32 s2, s12, s2
	s_addc_u32 s3, s13, s3
	s_load_dword s20, s[2:3], 0x0
	s_andn2_b32 vcc_lo, exec_lo, s0
	s_cbranch_vccz .LBB131_3
	s_branch .LBB131_4
.LBB131_2:
                                        ; implicit-def: $sgpr20
.LBB131_3:
	s_waitcnt lgkmcnt(0)
	s_mov_b32 s20, s12
.LBB131_4:
	s_waitcnt lgkmcnt(0)
	v_cmp_eq_f32_e64 s0, s20, 0
	s_and_b32 vcc_lo, exec_lo, s0
	s_cbranch_vccnz .LBB131_29
; %bb.5:
	s_load_dword s1, s[4:5], 0x84
	s_cmp_eq_u32 s6, 0
	s_waitcnt lgkmcnt(0)
	v_cvt_f32_u32_e32 v2, s1
	v_rcp_iflag_f32_e32 v2, v2
	v_mul_f32_e32 v2, 0x4f7ffffe, v2
	v_cvt_u32_f32_e32 v2, v2
	v_readfirstlane_b32 s0, v2
	s_cbranch_scc1 .LBB131_29
; %bb.6:
	s_clause 0x1
	s_load_dwordx4 s[24:27], s[4:5], 0x38
	s_load_dwordx2 s[12:13], s[4:5], 0x48
	s_sub_i32 s2, 0, s1
	s_mov_b32 s9, 0
	s_mul_i32 s2, s2, s0
	v_cmp_eq_u32_e32 vcc_lo, 0, v1
	s_mul_hi_u32 s14, s0, s2
	s_lshl_b64 s[2:3], s[8:9], 3
	s_add_i32 s0, s0, s14
	s_add_u32 s8, s16, s2
	s_addc_u32 s9, s17, s3
	s_waitcnt lgkmcnt(0)
	s_add_u32 s14, s24, s2
	s_addc_u32 s15, s25, s3
	s_lshl_b64 s[22:23], s[26:27], 2
	s_load_dwordx2 s[14:15], s[14:15], 0x0
	s_load_dwordx2 s[16:17], s[4:5], 0x58
	s_waitcnt lgkmcnt(0)
	s_add_u32 s22, s14, s22
	s_addc_u32 s23, s15, s23
	s_add_u32 s14, s16, s2
	s_addc_u32 s15, s17, s3
	s_lshl_b32 s16, s6, 5
	s_mul_hi_u32 s2, s6, s0
	s_ashr_i32 s17, s16, 31
	s_and_saveexec_b32 s3, vcc_lo
	s_cbranch_execz .LBB131_8
; %bb.7:
	v_mad_u64_u32 v[2:3], null, s12, v0, 0
	s_mul_i32 s0, s12, s17
	s_mul_hi_u32 s21, s12, s16
	s_mul_i32 s25, s13, s16
	s_add_i32 s0, s21, s0
	s_mul_i32 s24, s12, s16
	s_add_i32 s25, s0, s25
	v_mad_u64_u32 v[3:4], null, s13, v0, v[3:4]
	s_lshl_b64 s[24:25], s[24:25], 2
	s_add_u32 s0, s22, s24
	s_addc_u32 s21, s23, s25
	v_lshlrev_b64 v[2:3], 2, v[2:3]
	v_add_co_u32 v2, s0, s0, v2
	v_add_co_ci_u32_e64 v3, null, s21, v3, s0
	flat_load_dword v2, v[2:3]
	v_lshlrev_b32_e32 v3, 2, v0
	s_waitcnt vmcnt(0) lgkmcnt(0)
	ds_write_b32 v3, v2 offset:3072
.LBB131_8:
	s_or_b32 exec_lo, exec_lo, s3
	s_mul_i32 s0, s2, s1
	s_add_i32 s3, s2, 1
	s_sub_i32 s0, s6, s0
	s_sub_i32 s21, s0, s1
	s_cmp_ge_u32 s0, s1
	s_cselect_b32 s2, s3, s2
	s_cselect_b32 s0, s21, s0
	s_add_i32 s3, s2, 1
	s_cmp_ge_u32 s0, s1
	s_cselect_b32 s25, s3, s2
	s_add_i32 s0, s1, -1
	s_mov_b32 s24, s25
	s_cmp_lg_u32 s7, s0
	s_cbranch_scc1 .LBB131_10
; %bb.9:
	s_mul_i32 s0, s25, s1
	s_sub_i32 s0, s6, s0
	s_add_i32 s24, s0, s25
.LBB131_10:
	s_cmp_eq_u32 s24, 0
	s_cbranch_scc1 .LBB131_29
; %bb.11:
	s_load_dwordx4 s[0:3], s[4:5], 0x60
	s_load_dwordx2 s[4:5], s[14:15], 0x0
	v_lshl_add_u32 v2, v1, 5, v0
	v_and_b32_e32 v1, 15, v0
	s_waitcnt lgkmcnt(0)
	s_barrier
	buffer_gl0_inv
	v_lshrrev_b32_e32 v17, 4, v2
	s_lshl_b64 s[14:15], s[0:1], 2
	s_add_u32 s1, s4, s14
	s_addc_u32 s21, s5, s15
	s_cmp_lt_i32 s24, 1
	s_cbranch_scc1 .LBB131_20
; %bb.12:
	s_load_dwordx2 s[4:5], s[8:9], 0x0
	v_lshlrev_b32_e32 v5, 2, v17
	v_mov_b32_e32 v2, 0
	s_mul_i32 s0, s7, s25
	s_lshl_b64 s[6:7], s[18:19], 2
	s_lshl_b32 s8, s0, 5
	s_mul_i32 s15, s10, s17
	v_mad_u64_u32 v[3:4], null, s10, v5, v[1:2]
	s_mul_hi_u32 s18, s10, s16
	s_ashr_i32 s9, s8, 31
	v_mad_u64_u32 v[7:8], null, s12, v1, 0
	s_mul_i32 s19, s11, s16
	s_mul_i32 s14, s10, s16
	v_mad_u64_u32 v[4:5], null, s11, v5, v[4:5]
	v_lshl_add_u32 v23, v17, 4, 0xc00
	v_lshl_or_b32 v21, v0, 2, 0x800
	s_waitcnt lgkmcnt(0)
	s_add_u32 s0, s4, s6
	s_addc_u32 s6, s5, s7
	s_add_i32 s4, s18, s15
	v_lshlrev_b64 v[5:6], 2, v[3:4]
	s_add_i32 s15, s4, s19
	v_mov_b32_e32 v3, v8
	s_lshl_b64 s[4:5], s[14:15], 2
	s_mul_hi_u32 s7, s2, s8
	s_add_u32 s0, s0, s4
	s_addc_u32 s6, s6, s5
	s_lshl_b64 s[4:5], s[8:9], 2
	s_mul_i32 s14, s2, s9
	s_add_u32 s18, s0, s4
	s_addc_u32 s19, s6, s5
	v_add_co_u32 v9, s0, s18, v5
	v_mad_u64_u32 v[3:4], null, s13, v1, v[3:4]
	s_add_i32 s6, s7, s14
	v_add_co_ci_u32_e64 v10, null, s19, v6, s0
	s_mul_i32 s0, s3, s8
	s_lshl_b64 s[4:5], s[10:11], 2
	s_add_i32 s7, s6, s0
	s_mul_i32 s6, s2, s8
	v_add_co_u32 v13, s0, v9, s4
	s_lshl_b64 s[6:7], s[6:7], 2
	v_add_co_ci_u32_e64 v14, null, s5, v10, s0
	s_add_u32 s14, s1, s6
	s_mul_i32 s0, s12, s9
	s_mul_hi_u32 s6, s12, s8
	v_mov_b32_e32 v8, v3
	s_addc_u32 s15, s21, s7
	s_add_i32 s0, s6, s0
	s_mul_i32 s6, s13, s8
	s_add_i32 s7, s0, s6
	v_add_co_u32 v3, s0, v13, s4
	s_mul_i32 s6, s12, s8
	v_lshlrev_b64 v[11:12], 2, v[7:8]
	v_add_co_ci_u32_e64 v4, null, s5, v14, s0
	s_lshl_b64 s[6:7], s[6:7], 2
	v_add_co_u32 v7, s0, v3, s4
	s_add_u32 s22, s22, s6
	v_add_co_ci_u32_e64 v8, null, s5, v4, s0
	s_addc_u32 s23, s23, s7
	v_add_co_u32 v15, s0, s22, v11
	v_add_co_ci_u32_e64 v16, null, s23, v12, s0
	s_clause 0x3
	flat_load_dword v25, v[9:10]
	flat_load_dword v26, v[13:14]
	;; [unrolled: 1-line block ×5, first 2 shown]
	v_or_b32_e32 v8, 16, v1
	v_mad_u64_u32 v[3:4], null, s2, v0, 0
	v_lshlrev_b32_e32 v15, 7, v17
	s_cmp_eq_u32 s24, 1
	v_mad_u64_u32 v[9:10], null, s12, v8, 0
	v_mad_u64_u32 v[13:14], null, s3, v0, v[4:5]
	v_lshl_or_b32 v14, v1, 2, 0x800
	v_mov_b32_e32 v7, v10
	v_add_nc_u32_e32 v22, v14, v15
	v_mov_b32_e32 v4, v13
	v_mad_u64_u32 v[7:8], null, s13, v8, v[7:8]
	v_mov_b32_e32 v10, v7
	v_lshlrev_b64 v[9:10], 2, v[9:10]
	s_cbranch_scc1 .LBB131_21
; %bb.13:
	v_mov_b32_e32 v18, 0
	v_mov_b32_e32 v7, s14
	s_lshl_b64 s[10:11], s[10:11], 3
	v_mov_b32_e32 v8, s15
	v_mov_b32_e32 v20, 0
	;; [unrolled: 1-line block ×4, first 2 shown]
	s_lshl_b64 s[6:7], s[12:13], 7
	s_lshl_b64 s[8:9], s[2:3], 7
	s_add_i32 s12, s24, -2
	s_sub_u32 s10, 0, s10
	s_subb_u32 s11, 0, s11
	s_mov_b32 s13, 0
.LBB131_14:                             ; =>This Loop Header: Depth=1
                                        ;     Child Loop BB131_16 Depth 2
	v_add_co_u32 v13, s0, s18, v5
	v_add_co_ci_u32_e64 v14, null, s19, v6, s0
	v_add_co_u32 v15, s0, v13, s4
	v_add_co_ci_u32_e64 v16, null, s5, v14, s0
	;; [unrolled: 2-line block ×5, first 2 shown]
	flat_load_dword v34, v[31:32]
	s_clause 0x3
	flat_load_dword v38, v[13:14] offset:64
	flat_load_dword v36, v[15:16] offset:64
	;; [unrolled: 1-line block ×4, first 2 shown]
	v_add_co_u32 v15, s0, v39, s10
	v_add_co_ci_u32_e64 v16, null, s11, v40, s0
	s_add_u32 s22, s22, s6
	v_add_co_u32 v29, s0, v15, s4
	v_add_co_ci_u32_e64 v30, null, s5, v16, s0
	s_addc_u32 s23, s23, s7
	v_add_co_u32 v32, s0, v29, s4
	v_add_co_ci_u32_e64 v33, null, s5, v30, s0
	v_add_co_u32 v39, s0, s22, v11
	v_add_co_ci_u32_e64 v40, null, s23, v12, s0
	s_clause 0x3
	flat_load_dword v31, v[15:16] offset:128
	flat_load_dword v30, v[29:30] offset:128
	;; [unrolled: 1-line block ×4, first 2 shown]
	flat_load_dword v33, v[39:40]
	ds_read_b128 v[13:16], v23
	s_waitcnt vmcnt(0) lgkmcnt(0)
	s_barrier
	buffer_gl0_inv
	v_fma_f32 v39, v25, v13, 0
	v_fmac_f32_e32 v39, v26, v14
	v_fmac_f32_e32 v39, v27, v15
	;; [unrolled: 1-line block ×3, first 2 shown]
	v_fma_f32 v13, v38, v13, 0
	v_fmac_f32_e32 v13, v36, v14
	v_fmac_f32_e32 v13, v35, v15
	;; [unrolled: 1-line block ×3, first 2 shown]
	ds_write2_b32 v22, v39, v13 offset1:16
	s_waitcnt lgkmcnt(0)
	s_barrier
	buffer_gl0_inv
	s_and_saveexec_b32 s14, vcc_lo
	s_cbranch_execz .LBB131_18
; %bb.15:                               ;   in Loop: Header=BB131_14 Depth=1
	v_lshlrev_b64 v[13:14], 2, v[3:4]
	s_mov_b32 s15, 0
	v_add_co_u32 v13, s0, v7, v13
	v_add_co_ci_u32_e64 v14, null, v8, v14, s0
	flat_load_dword v16, v[13:14]
	ds_read2_b32 v[39:40], v21 offset1:32
	ds_read2_b32 v[41:42], v21 offset0:64 offset1:96
	ds_read2_b32 v[43:44], v21 offset0:128 offset1:160
	s_waitcnt lgkmcnt(2)
	v_add_f32_e32 v15, 0, v39
	v_add_f32_e32 v15, v15, v40
	ds_read2_b32 v[39:40], v21 offset0:192 offset1:224
	s_waitcnt lgkmcnt(2)
	v_add_f32_e32 v15, v15, v41
	v_add_f32_e32 v15, v15, v42
	s_waitcnt lgkmcnt(1)
	v_add_f32_e32 v15, v15, v43
	v_add_f32_e32 v15, v15, v44
	;; [unrolled: 3-line block ×3, first 2 shown]
	v_mul_f32_e32 v39, s20, v15
.LBB131_16:                             ;   Parent Loop BB131_14 Depth=1
                                        ; =>  This Inner Loop Header: Depth=2
	s_waitcnt vmcnt(0)
	v_add_f32_e32 v15, v16, v39
	flat_atomic_cmpswap v15, v[13:14], v[15:16] glc
	s_waitcnt vmcnt(0) lgkmcnt(0)
	v_cmp_eq_u32_e64 s0, v15, v16
	v_mov_b32_e32 v16, v15
	s_or_b32 s15, s0, s15
	s_andn2_b32 exec_lo, exec_lo, s15
	s_cbranch_execnz .LBB131_16
; %bb.17:                               ;   in Loop: Header=BB131_14 Depth=1
	s_or_b32 exec_lo, exec_lo, s15
	v_add_co_u32 v7, s0, v7, s8
	v_add_co_ci_u32_e64 v8, null, s9, v8, s0
.LBB131_18:                             ;   in Loop: Header=BB131_14 Depth=1
	s_or_b32 exec_lo, exec_lo, s14
	v_fmac_f32_e32 v18, v24, v25
	v_fmac_f32_e32 v20, v24, v26
	;; [unrolled: 1-line block ×4, first 2 shown]
	s_add_u32 s18, s18, 0x80
	v_fmac_f32_e32 v18, v34, v38
	v_fmac_f32_e32 v20, v34, v36
	v_fmac_f32_e32 v19, v34, v35
	v_fmac_f32_e32 v2, v34, v37
	s_addc_u32 s19, s19, 0
	s_add_i32 s0, s13, 1
	s_cmp_eq_u32 s13, s12
	s_cbranch_scc1 .LBB131_22
; %bb.19:                               ;   in Loop: Header=BB131_14 Depth=1
	v_mov_b32_e32 v24, v33
	v_mov_b32_e32 v25, v32
	;; [unrolled: 1-line block ×5, first 2 shown]
	s_mov_b32 s13, s0
	s_branch .LBB131_14
.LBB131_20:
	v_mov_b32_e32 v2, 0
	v_mov_b32_e32 v19, v2
	;; [unrolled: 1-line block ×4, first 2 shown]
	s_branch .LBB131_26
.LBB131_21:
	v_mov_b32_e32 v7, s14
	v_mov_b32_e32 v8, s15
	s_waitcnt vmcnt(1) lgkmcnt(1)
	v_mov_b32_e32 v29, v28
	v_mov_b32_e32 v30, v27
	;; [unrolled: 1-line block ×7, first 2 shown]
	s_waitcnt vmcnt(0) lgkmcnt(0)
	v_mov_b32_e32 v33, v24
.LBB131_22:
	v_add_co_u32 v5, s0, s18, v5
	v_add_co_ci_u32_e64 v6, null, s19, v6, s0
	v_fmac_f32_e32 v18, v33, v32
	v_add_co_u32 v12, s0, v5, s4
	v_add_co_ci_u32_e64 v13, null, s5, v6, s0
	flat_load_dword v11, v[5:6] offset:64
	v_add_co_u32 v5, s0, v12, s4
	v_add_co_ci_u32_e64 v6, null, s5, v13, s0
	flat_load_dword v12, v[12:13] offset:64
	v_add_co_u32 v14, s0, v5, s4
	v_add_co_ci_u32_e64 v15, null, s5, v6, s0
	v_fmac_f32_e32 v20, v33, v31
	v_fmac_f32_e32 v19, v33, v30
	s_clause 0x1
	flat_load_dword v13, v[5:6] offset:64
	flat_load_dword v14, v[14:15] offset:64
	v_add_co_u32 v5, s0, s22, v9
	v_add_co_ci_u32_e64 v6, null, s23, v10, s0
	ds_read_b128 v[23:26], v23
	v_fmac_f32_e32 v2, v33, v29
	flat_load_dword v9, v[5:6]
	s_waitcnt vmcnt(0) lgkmcnt(0)
	s_barrier
	buffer_gl0_inv
	v_fma_f32 v5, v32, v23, 0
	v_fmac_f32_e32 v5, v31, v24
	v_fmac_f32_e32 v5, v30, v25
	;; [unrolled: 1-line block ×3, first 2 shown]
	v_fma_f32 v6, v11, v23, 0
	v_fmac_f32_e32 v6, v12, v24
	v_fmac_f32_e32 v6, v13, v25
	;; [unrolled: 1-line block ×3, first 2 shown]
	ds_write2_b32 v22, v5, v6 offset1:16
	s_waitcnt lgkmcnt(0)
	s_barrier
	buffer_gl0_inv
	s_and_saveexec_b32 s4, vcc_lo
	s_cbranch_execz .LBB131_25
; %bb.23:
	v_lshlrev_b64 v[3:4], 2, v[3:4]
	s_mov_b32 s5, 0
	v_add_co_u32 v3, s0, v7, v3
	v_add_co_ci_u32_e64 v4, null, v8, v4, s0
	flat_load_dword v6, v[3:4]
	ds_read2_b32 v[7:8], v21 offset1:32
	ds_read2_b32 v[15:16], v21 offset0:64 offset1:96
	ds_read2_b32 v[22:23], v21 offset0:128 offset1:160
	s_waitcnt lgkmcnt(2)
	v_add_f32_e32 v5, 0, v7
	v_add_f32_e32 v5, v5, v8
	ds_read2_b32 v[7:8], v21 offset0:192 offset1:224
	s_waitcnt lgkmcnt(2)
	v_add_f32_e32 v5, v5, v15
	v_add_f32_e32 v5, v5, v16
	s_waitcnt lgkmcnt(1)
	v_add_f32_e32 v5, v5, v22
	v_add_f32_e32 v5, v5, v23
	s_waitcnt lgkmcnt(0)
	v_add_f32_e32 v5, v5, v7
	v_add_f32_e32 v5, v5, v8
	v_mul_f32_e32 v7, s20, v5
.LBB131_24:                             ; =>This Inner Loop Header: Depth=1
	s_waitcnt vmcnt(0)
	v_add_f32_e32 v5, v6, v7
	flat_atomic_cmpswap v5, v[3:4], v[5:6] glc
	s_waitcnt vmcnt(0) lgkmcnt(0)
	v_cmp_eq_u32_e64 s0, v5, v6
	v_mov_b32_e32 v6, v5
	s_or_b32 s5, s0, s5
	s_andn2_b32 exec_lo, exec_lo, s5
	s_cbranch_execnz .LBB131_24
.LBB131_25:
	s_or_b32 exec_lo, exec_lo, s4
	v_fmac_f32_e32 v18, v9, v11
	v_fmac_f32_e32 v20, v9, v12
	;; [unrolled: 1-line block ×4, first 2 shown]
.LBB131_26:
	v_lshlrev_b32_e32 v3, 8, v17
	v_lshl_or_b32 v3, v1, 2, v3
	ds_write2_b32 v3, v18, v20 offset1:16
	ds_write2_b32 v3, v19, v2 offset0:32 offset1:48
	s_waitcnt lgkmcnt(0)
	s_barrier
	buffer_gl0_inv
	s_and_saveexec_b32 s0, vcc_lo
	s_cbranch_execz .LBB131_29
; %bb.27:
	v_mad_u64_u32 v[2:3], null, s2, v0, 0
	s_mul_i32 s0, s2, s17
	s_mul_hi_u32 s4, s2, s16
	s_mul_i32 s2, s2, s16
	s_add_i32 s0, s4, s0
	v_add_nc_u32_e32 v6, 2, v0
	v_lshlrev_b32_e32 v7, 6, v0
	v_mad_u64_u32 v[3:4], null, s3, v0, v[3:4]
	s_mul_i32 s3, s3, s16
	v_add_nc_u32_e32 v4, 1, v0
	s_add_i32 s3, s0, s3
	v_and_b32_e32 v6, 15, v6
	s_lshl_b64 s[2:3], s[2:3], 2
	v_lshl_or_b32 v8, v1, 2, v7
	v_lshlrev_b64 v[2:3], 2, v[2:3]
	s_add_u32 s0, s1, s2
	s_addc_u32 s1, s21, s3
	v_and_b32_e32 v4, 15, v4
	v_lshl_or_b32 v6, v6, 2, v7
	v_add_nc_u32_e32 v9, 3, v0
	v_add_co_u32 v2, vcc_lo, s0, v2
	v_add_co_ci_u32_e64 v3, null, s1, v3, vcc_lo
	v_lshl_or_b32 v4, v4, 2, v7
	v_add_nc_u32_e32 v10, 4, v0
	v_add_nc_u32_e32 v11, 5, v0
	flat_load_dword v5, v[2:3]
	ds_read_b32 v8, v8
	ds_read_b32 v4, v4
	;; [unrolled: 1-line block ×3, first 2 shown]
	v_add_nc_u32_e32 v12, 6, v0
	v_add_nc_u32_e32 v13, 7, v0
	v_and_b32_e32 v9, 15, v9
	v_and_b32_e32 v10, 15, v10
	;; [unrolled: 1-line block ×5, first 2 shown]
	v_lshl_or_b32 v9, v9, 2, v7
	v_lshl_or_b32 v10, v10, 2, v7
	v_lshl_or_b32 v11, v11, 2, v7
	v_lshl_or_b32 v12, v12, 2, v7
	v_lshl_or_b32 v13, v13, 2, v7
	ds_read_b32 v9, v9
	ds_read_b32 v10, v10
	;; [unrolled: 1-line block ×5, first 2 shown]
	v_xor_b32_e32 v1, 8, v1
	s_mov_b32 s0, 0
	s_waitcnt lgkmcnt(7)
	v_add_f32_e32 v8, 0, v8
	v_lshl_or_b32 v1, v1, 2, v7
	s_waitcnt lgkmcnt(6)
	v_add_f32_e32 v4, v8, v4
	v_add_nc_u32_e32 v8, 10, v0
	s_waitcnt lgkmcnt(5)
	v_add_f32_e32 v4, v4, v6
	v_add_nc_u32_e32 v6, 9, v0
	v_and_b32_e32 v8, 15, v8
	s_waitcnt lgkmcnt(4)
	v_add_f32_e32 v4, v4, v9
	v_and_b32_e32 v6, 15, v6
	v_lshl_or_b32 v8, v8, 2, v7
	v_add_nc_u32_e32 v9, 11, v0
	s_waitcnt lgkmcnt(3)
	v_add_f32_e32 v4, v4, v10
	v_lshl_or_b32 v6, v6, 2, v7
	v_add_nc_u32_e32 v10, 12, v0
	ds_read_b32 v1, v1
	ds_read_b32 v6, v6
	;; [unrolled: 1-line block ×3, first 2 shown]
	s_waitcnt lgkmcnt(5)
	v_add_f32_e32 v4, v4, v11
	v_add_nc_u32_e32 v11, 13, v0
	v_and_b32_e32 v9, 15, v9
	v_and_b32_e32 v10, 15, v10
	s_waitcnt lgkmcnt(4)
	v_add_f32_e32 v4, v4, v12
	v_add_nc_u32_e32 v12, 14, v0
	v_add_nc_u32_e32 v0, -1, v0
	v_and_b32_e32 v11, 15, v11
	v_lshl_or_b32 v9, v9, 2, v7
	s_waitcnt lgkmcnt(3)
	v_add_f32_e32 v4, v4, v13
	v_and_b32_e32 v12, 15, v12
	v_and_b32_e32 v0, 15, v0
	v_lshl_or_b32 v10, v10, 2, v7
	v_lshl_or_b32 v11, v11, 2, v7
	;; [unrolled: 1-line block ×4, first 2 shown]
	ds_read_b32 v7, v9
	ds_read_b32 v9, v10
	;; [unrolled: 1-line block ×5, first 2 shown]
	s_waitcnt lgkmcnt(7)
	v_add_f32_e32 v1, v4, v1
	s_waitcnt lgkmcnt(6)
	v_add_f32_e32 v1, v1, v6
	;; [unrolled: 2-line block ×8, first 2 shown]
	v_mul_f32_e32 v0, s20, v0
.LBB131_28:                             ; =>This Inner Loop Header: Depth=1
	s_waitcnt vmcnt(0)
	v_add_f32_e32 v4, v5, v0
	flat_atomic_cmpswap v1, v[2:3], v[4:5] glc
	s_waitcnt vmcnt(0) lgkmcnt(0)
	v_cmp_eq_u32_e32 vcc_lo, v1, v5
	v_mov_b32_e32 v5, v1
	s_or_b32 s0, vcc_lo, s0
	s_andn2_b32 exec_lo, exec_lo, s0
	s_cbranch_execnz .LBB131_28
.LBB131_29:
	s_endpgm
	.section	.rodata,"a",@progbits
	.p2align	6, 0x0
	.amdhsa_kernel _ZL54rocblas_symv_kernel_upper_double_buffered_non_diagonalILi32ELi4ELi4E24rocblas_internal_val_ptrIfEPKPKfPKPfEvbiT2_lT3_lllSA_lllT4_llli
		.amdhsa_group_segment_fixed_size 3200
		.amdhsa_private_segment_fixed_size 0
		.amdhsa_kernarg_size 384
		.amdhsa_user_sgpr_count 6
		.amdhsa_user_sgpr_private_segment_buffer 1
		.amdhsa_user_sgpr_dispatch_ptr 0
		.amdhsa_user_sgpr_queue_ptr 0
		.amdhsa_user_sgpr_kernarg_segment_ptr 1
		.amdhsa_user_sgpr_dispatch_id 0
		.amdhsa_user_sgpr_flat_scratch_init 0
		.amdhsa_user_sgpr_private_segment_size 0
		.amdhsa_wavefront_size32 1
		.amdhsa_uses_dynamic_stack 0
		.amdhsa_system_sgpr_private_segment_wavefront_offset 0
		.amdhsa_system_sgpr_workgroup_id_x 1
		.amdhsa_system_sgpr_workgroup_id_y 1
		.amdhsa_system_sgpr_workgroup_id_z 1
		.amdhsa_system_sgpr_workgroup_info 0
		.amdhsa_system_vgpr_workitem_id 1
		.amdhsa_next_free_vgpr 45
		.amdhsa_next_free_sgpr 28
		.amdhsa_reserve_vcc 1
		.amdhsa_reserve_flat_scratch 1
		.amdhsa_float_round_mode_32 0
		.amdhsa_float_round_mode_16_64 0
		.amdhsa_float_denorm_mode_32 3
		.amdhsa_float_denorm_mode_16_64 3
		.amdhsa_dx10_clamp 1
		.amdhsa_ieee_mode 1
		.amdhsa_fp16_overflow 0
		.amdhsa_workgroup_processor_mode 1
		.amdhsa_memory_ordered 1
		.amdhsa_forward_progress 1
		.amdhsa_shared_vgpr_count 0
		.amdhsa_exception_fp_ieee_invalid_op 0
		.amdhsa_exception_fp_denorm_src 0
		.amdhsa_exception_fp_ieee_div_zero 0
		.amdhsa_exception_fp_ieee_overflow 0
		.amdhsa_exception_fp_ieee_underflow 0
		.amdhsa_exception_fp_ieee_inexact 0
		.amdhsa_exception_int_div_zero 0
	.end_amdhsa_kernel
	.section	.text._ZL54rocblas_symv_kernel_upper_double_buffered_non_diagonalILi32ELi4ELi4E24rocblas_internal_val_ptrIfEPKPKfPKPfEvbiT2_lT3_lllSA_lllT4_llli,"axG",@progbits,_ZL54rocblas_symv_kernel_upper_double_buffered_non_diagonalILi32ELi4ELi4E24rocblas_internal_val_ptrIfEPKPKfPKPfEvbiT2_lT3_lllSA_lllT4_llli,comdat
.Lfunc_end131:
	.size	_ZL54rocblas_symv_kernel_upper_double_buffered_non_diagonalILi32ELi4ELi4E24rocblas_internal_val_ptrIfEPKPKfPKPfEvbiT2_lT3_lllSA_lllT4_llli, .Lfunc_end131-_ZL54rocblas_symv_kernel_upper_double_buffered_non_diagonalILi32ELi4ELi4E24rocblas_internal_val_ptrIfEPKPKfPKPfEvbiT2_lT3_lllSA_lllT4_llli
                                        ; -- End function
	.set _ZL54rocblas_symv_kernel_upper_double_buffered_non_diagonalILi32ELi4ELi4E24rocblas_internal_val_ptrIfEPKPKfPKPfEvbiT2_lT3_lllSA_lllT4_llli.num_vgpr, 45
	.set _ZL54rocblas_symv_kernel_upper_double_buffered_non_diagonalILi32ELi4ELi4E24rocblas_internal_val_ptrIfEPKPKfPKPfEvbiT2_lT3_lllSA_lllT4_llli.num_agpr, 0
	.set _ZL54rocblas_symv_kernel_upper_double_buffered_non_diagonalILi32ELi4ELi4E24rocblas_internal_val_ptrIfEPKPKfPKPfEvbiT2_lT3_lllSA_lllT4_llli.numbered_sgpr, 28
	.set _ZL54rocblas_symv_kernel_upper_double_buffered_non_diagonalILi32ELi4ELi4E24rocblas_internal_val_ptrIfEPKPKfPKPfEvbiT2_lT3_lllSA_lllT4_llli.num_named_barrier, 0
	.set _ZL54rocblas_symv_kernel_upper_double_buffered_non_diagonalILi32ELi4ELi4E24rocblas_internal_val_ptrIfEPKPKfPKPfEvbiT2_lT3_lllSA_lllT4_llli.private_seg_size, 0
	.set _ZL54rocblas_symv_kernel_upper_double_buffered_non_diagonalILi32ELi4ELi4E24rocblas_internal_val_ptrIfEPKPKfPKPfEvbiT2_lT3_lllSA_lllT4_llli.uses_vcc, 1
	.set _ZL54rocblas_symv_kernel_upper_double_buffered_non_diagonalILi32ELi4ELi4E24rocblas_internal_val_ptrIfEPKPKfPKPfEvbiT2_lT3_lllSA_lllT4_llli.uses_flat_scratch, 1
	.set _ZL54rocblas_symv_kernel_upper_double_buffered_non_diagonalILi32ELi4ELi4E24rocblas_internal_val_ptrIfEPKPKfPKPfEvbiT2_lT3_lllSA_lllT4_llli.has_dyn_sized_stack, 0
	.set _ZL54rocblas_symv_kernel_upper_double_buffered_non_diagonalILi32ELi4ELi4E24rocblas_internal_val_ptrIfEPKPKfPKPfEvbiT2_lT3_lllSA_lllT4_llli.has_recursion, 0
	.set _ZL54rocblas_symv_kernel_upper_double_buffered_non_diagonalILi32ELi4ELi4E24rocblas_internal_val_ptrIfEPKPKfPKPfEvbiT2_lT3_lllSA_lllT4_llli.has_indirect_call, 0
	.section	.AMDGPU.csdata,"",@progbits
; Kernel info:
; codeLenInByte = 2836
; TotalNumSgprs: 30
; NumVgprs: 45
; ScratchSize: 0
; MemoryBound: 0
; FloatMode: 240
; IeeeMode: 1
; LDSByteSize: 3200 bytes/workgroup (compile time only)
; SGPRBlocks: 0
; VGPRBlocks: 5
; NumSGPRsForWavesPerEU: 30
; NumVGPRsForWavesPerEU: 45
; Occupancy: 16
; WaveLimiterHint : 1
; COMPUTE_PGM_RSRC2:SCRATCH_EN: 0
; COMPUTE_PGM_RSRC2:USER_SGPR: 6
; COMPUTE_PGM_RSRC2:TRAP_HANDLER: 0
; COMPUTE_PGM_RSRC2:TGID_X_EN: 1
; COMPUTE_PGM_RSRC2:TGID_Y_EN: 1
; COMPUTE_PGM_RSRC2:TGID_Z_EN: 1
; COMPUTE_PGM_RSRC2:TIDIG_COMP_CNT: 1
	.section	.text._ZL58rocblas_symv_kernel_upper_double_buffered_diagonal_genericILi32ELi8E24rocblas_internal_val_ptrIfEPKPKfPKPfEvbiT1_lT2_lllSA_lllS9_lT3_lllii,"axG",@progbits,_ZL58rocblas_symv_kernel_upper_double_buffered_diagonal_genericILi32ELi8E24rocblas_internal_val_ptrIfEPKPKfPKPfEvbiT1_lT2_lllSA_lllS9_lT3_lllii,comdat
	.globl	_ZL58rocblas_symv_kernel_upper_double_buffered_diagonal_genericILi32ELi8E24rocblas_internal_val_ptrIfEPKPKfPKPfEvbiT1_lT2_lllSA_lllS9_lT3_lllii ; -- Begin function _ZL58rocblas_symv_kernel_upper_double_buffered_diagonal_genericILi32ELi8E24rocblas_internal_val_ptrIfEPKPKfPKPfEvbiT1_lT2_lllSA_lllS9_lT3_lllii
	.p2align	8
	.type	_ZL58rocblas_symv_kernel_upper_double_buffered_diagonal_genericILi32ELi8E24rocblas_internal_val_ptrIfEPKPKfPKPfEvbiT1_lT2_lllSA_lllS9_lT3_lllii,@function
_ZL58rocblas_symv_kernel_upper_double_buffered_diagonal_genericILi32ELi8E24rocblas_internal_val_ptrIfEPKPKfPKPfEvbiT1_lT2_lllSA_lllS9_lT3_lllii: ; @_ZL58rocblas_symv_kernel_upper_double_buffered_diagonal_genericILi32ELi8E24rocblas_internal_val_ptrIfEPKPKfPKPfEvbiT1_lT2_lllSA_lllS9_lT3_lllii
; %bb.0:
	s_clause 0x2
	s_load_dword s1, s[4:5], 0x0
	s_load_dwordx8 s[8:15], s[4:5], 0x8
	s_load_dwordx2 s[20:21], s[4:5], 0x28
	s_mov_b32 s0, s7
	s_mov_b32 s2, -1
                                        ; implicit-def: $sgpr7
	s_waitcnt lgkmcnt(0)
	s_bitcmp1_b32 s1, 0
	s_cselect_b32 s1, -1, 0
	s_xor_b32 s1, s1, -1
	s_and_b32 vcc_lo, exec_lo, s1
	s_cbranch_vccnz .LBB132_7
; %bb.1:
	s_load_dwordx4 s[16:19], s[4:5], 0x58
	s_andn2_b32 vcc_lo, exec_lo, s2
	s_cbranch_vccz .LBB132_8
.LBB132_2:
	s_andn2_b32 vcc_lo, exec_lo, s1
	s_cbranch_vccnz .LBB132_4
.LBB132_3:
	s_waitcnt lgkmcnt(0)
	s_mul_i32 s1, s19, s0
	s_mul_hi_u32 s2, s18, s0
	s_add_i32 s3, s2, s1
	s_mul_i32 s2, s18, s0
	s_lshl_b64 s[2:3], s[2:3], 2
	s_add_u32 s2, s16, s2
	s_addc_u32 s3, s17, s3
	s_load_dword s16, s[2:3], 0x0
.LBB132_4:
	s_waitcnt lgkmcnt(0)
	v_cmp_eq_f32_e64 s24, s7, 0
	v_cmp_eq_f32_e64 s1, s16, 1.0
	s_and_b32 s1, s24, s1
	s_and_b32 vcc_lo, exec_lo, s1
	s_mov_b32 s1, 0
	s_cbranch_vccnz .LBB132_52
; %bb.5:
	v_cmp_neq_f32_e64 s17, s7, 0
	s_and_b32 vcc_lo, exec_lo, s17
	s_cbranch_vccnz .LBB132_9
; %bb.6:
	s_mov_b32 s19, 0
	s_mov_b32 s18, s0
	;; [unrolled: 1-line block ×3, first 2 shown]
	s_branch .LBB132_10
.LBB132_7:
	s_mul_i32 s2, s11, s0
	s_mul_hi_u32 s3, s10, s0
	s_add_i32 s3, s3, s2
	s_mul_i32 s2, s10, s0
	s_lshl_b64 s[2:3], s[2:3], 2
	s_add_u32 s2, s8, s2
	s_addc_u32 s3, s9, s3
	s_load_dword s7, s[2:3], 0x0
	s_load_dwordx4 s[16:19], s[4:5], 0x58
	s_cbranch_execnz .LBB132_2
.LBB132_8:
	s_waitcnt lgkmcnt(0)
	s_mov_b32 s7, s8
	s_andn2_b32 vcc_lo, exec_lo, s1
	s_cbranch_vccz .LBB132_3
	s_branch .LBB132_4
.LBB132_9:
	s_mov_b32 s2, -1
	s_mov_b64 s[18:19], s[0:1]
.LBB132_10:
	s_load_dwordx2 s[22:23], s[4:5], 0x68
	s_mov_b64 s[10:11], 0
	s_andn2_b32 vcc_lo, exec_lo, s2
	s_mov_b64 s[8:9], 0
	s_cbranch_vccnz .LBB132_12
; %bb.11:
	s_lshl_b64 s[0:1], s[0:1], 3
	s_add_u32 s0, s12, s0
	s_addc_u32 s1, s13, s1
	s_lshl_b64 s[2:3], s[14:15], 2
	s_load_dwordx2 s[0:1], s[0:1], 0x0
	s_waitcnt lgkmcnt(0)
	s_add_u32 s8, s0, s2
	s_addc_u32 s9, s1, s3
.LBB132_12:
	s_clause 0x1
	s_load_dwordx4 s[0:3], s[4:5], 0x38
	s_load_dwordx2 s[12:13], s[4:5], 0x48
	s_andn2_b32 vcc_lo, exec_lo, s17
	s_cbranch_vccnz .LBB132_14
; %bb.13:
	s_lshl_b64 s[10:11], s[18:19], 3
	s_waitcnt lgkmcnt(0)
	s_add_u32 s0, s0, s10
	s_addc_u32 s1, s1, s11
	s_lshl_b64 s[2:3], s[2:3], 2
	s_load_dwordx2 s[0:1], s[0:1], 0x0
	s_waitcnt lgkmcnt(0)
	s_add_u32 s10, s0, s2
	s_addc_u32 s11, s1, s3
.LBB132_14:
	s_lshl_b64 s[14:15], s[18:19], 3
	s_waitcnt lgkmcnt(0)
	s_load_dwordx4 s[0:3], s[4:5], 0x70
	s_add_u32 s14, s22, s14
	s_addc_u32 s15, s23, s15
	s_load_dwordx2 s[14:15], s[14:15], 0x0
	s_load_dword s17, s[4:5], 0x88
	s_waitcnt lgkmcnt(0)
	s_lshl_b64 s[0:1], s[0:1], 2
	s_add_u32 s22, s14, s0
	s_addc_u32 s23, s15, s1
	s_lshl_b32 s18, s6, 5
	s_ashr_i32 s19, s18, 31
	s_mul_hi_u32 s0, s2, s18
	s_mul_i32 s1, s2, s19
	s_mul_i32 s14, s3, s18
	s_add_i32 s1, s0, s1
	s_mul_i32 s0, s2, s18
	s_add_i32 s1, s1, s14
	s_lshl_b64 s[14:15], s[0:1], 2
	v_cmp_eq_u32_e64 s0, 0, v1
	s_add_u32 s14, s22, s14
	s_addc_u32 s15, s23, s15
	s_andn2_b32 vcc_lo, exec_lo, s24
	s_mov_b32 s1, -1
	s_cbranch_vccnz .LBB132_21
; %bb.15:
	s_mov_b32 s1, 0
	s_and_saveexec_b32 s22, s0
	s_cbranch_execz .LBB132_20
; %bb.16:
	v_cmp_gt_i32_e64 s0, s17, v0
	s_mov_b32 s23, exec_lo
	v_cmpx_le_i32_e64 s17, v0
	s_cbranch_execz .LBB132_18
; %bb.17:
	s_load_dword s24, s[4:5], 0x90
	s_waitcnt lgkmcnt(0)
	s_add_i32 s24, s24, -1
	s_cmp_lt_u32 s6, s24
	s_cselect_b32 s24, -1, 0
	s_andn2_b32 s0, s0, exec_lo
	s_and_b32 s24, s24, exec_lo
	s_or_b32 s0, s0, s24
.LBB132_18:
	s_or_b32 exec_lo, exec_lo, s23
	s_and_b32 exec_lo, exec_lo, s0
	s_cbranch_execz .LBB132_20
; %bb.19:
	v_mad_u64_u32 v[2:3], null, s2, v0, 0
	v_mad_u64_u32 v[3:4], null, s3, v0, v[3:4]
	v_lshlrev_b64 v[2:3], 2, v[2:3]
	v_add_co_u32 v2, vcc_lo, s14, v2
	v_add_co_ci_u32_e64 v3, null, s15, v3, vcc_lo
	flat_load_dword v4, v[2:3]
	s_waitcnt vmcnt(0) lgkmcnt(0)
	v_mul_f32_e32 v4, s16, v4
	flat_store_dword v[2:3], v4
.LBB132_20:
	s_or_b32 exec_lo, exec_lo, s22
.LBB132_21:
	s_andn2_b32 vcc_lo, exec_lo, s1
	s_cbranch_vccnz .LBB132_52
; %bb.22:
	v_mov_b32_e32 v6, 0
	v_cmp_ne_u32_e64 s1, 0, v1
	v_cmp_eq_u32_e64 s0, 0, v1
	s_and_saveexec_b32 s22, s0
	s_cbranch_execz .LBB132_29
; %bb.23:
	v_cmp_gt_i32_e64 s24, s17, v0
	s_mov_b32 s23, exec_lo
	v_cmpx_le_i32_e64 s17, v0
	s_cbranch_execz .LBB132_25
; %bb.24:
	s_load_dword s25, s[4:5], 0x90
	s_waitcnt lgkmcnt(0)
	s_add_i32 s25, s25, -1
	s_cmp_lt_u32 s6, s25
	s_cselect_b32 s25, -1, 0
	s_andn2_b32 s24, s24, exec_lo
	s_and_b32 s25, s25, exec_lo
	s_or_b32 s24, s24, s25
.LBB132_25:
	s_or_b32 exec_lo, exec_lo, s23
	v_mov_b32_e32 v6, 0
	s_and_saveexec_b32 s23, s24
	s_cbranch_execz .LBB132_28
; %bb.26:
	v_mad_u64_u32 v[2:3], null, s12, v0, 0
	s_mul_i32 s24, s12, s19
	s_mul_hi_u32 s25, s12, s18
	s_mul_i32 s12, s12, s18
	s_add_i32 s24, s25, s24
	v_mov_b32_e32 v6, 0
	v_mad_u64_u32 v[3:4], null, s13, v0, v[3:4]
	s_mul_i32 s13, s13, s18
	s_add_i32 s13, s24, s13
	s_lshl_b64 s[12:13], s[12:13], 2
	s_add_u32 s10, s10, s12
	v_lshlrev_b64 v[2:3], 2, v[2:3]
	s_addc_u32 s11, s11, s13
	v_add_co_u32 v2, vcc_lo, s10, v2
	v_add_co_ci_u32_e64 v3, null, s11, v3, vcc_lo
	v_cmp_eq_f32_e64 s10, s16, 0
	flat_load_dword v2, v[2:3]
	v_lshlrev_b32_e32 v3, 2, v0
	s_and_b32 vcc_lo, exec_lo, s10
	s_waitcnt vmcnt(0) lgkmcnt(0)
	ds_write_b32 v3, v2 offset:6144
	s_cbranch_vccnz .LBB132_28
; %bb.27:
	v_mad_u64_u32 v[2:3], null, s2, v0, 0
	v_mad_u64_u32 v[3:4], null, s3, v0, v[3:4]
	v_lshlrev_b64 v[2:3], 2, v[2:3]
	v_add_co_u32 v2, vcc_lo, s14, v2
	v_add_co_ci_u32_e64 v3, null, s15, v3, vcc_lo
	flat_load_dword v2, v[2:3]
	s_waitcnt vmcnt(0) lgkmcnt(0)
	v_mul_f32_e32 v6, s16, v2
.LBB132_28:
	s_or_b32 exec_lo, exec_lo, s23
.LBB132_29:
	s_or_b32 exec_lo, exec_lo, s22
	v_mad_u64_u32 v[2:3], null, s20, v1, 0
	s_add_u32 s10, s20, 1
	s_load_dword s11, s[4:5], 0x90
	s_addc_u32 s4, s21, 0
	s_mul_i32 s5, s10, s19
	s_mul_hi_u32 s12, s10, s18
	s_mul_i32 s13, s4, s18
	v_mad_u64_u32 v[3:4], null, s21, v1, v[3:4]
	s_add_i32 s5, s12, s5
	s_mul_i32 s4, s10, s18
	s_add_i32 s5, s5, s13
	v_lshlrev_b32_e32 v7, 2, v0
	s_lshl_b64 s[4:5], s[4:5], 2
	v_lshlrev_b32_e32 v8, 7, v1
	v_lshlrev_b64 v[4:5], 2, v[2:3]
	s_add_u32 s10, s8, s4
	s_addc_u32 s12, s9, s5
	v_lshlrev_b32_e32 v9, 5, v1
	v_add_nc_u32_e32 v8, v7, v8
	v_add_co_u32 v2, vcc_lo, s10, v4
	v_add_co_ci_u32_e64 v3, null, s12, v5, vcc_lo
	s_waitcnt lgkmcnt(0)
	s_add_i32 s10, s11, -1
	v_add_co_u32 v2, vcc_lo, v2, v7
	v_add_co_ci_u32_e64 v3, null, 0, v3, vcc_lo
	s_cmp_eq_u32 s6, s10
	s_mov_b32 s11, -1
	s_cbranch_scc1 .LBB132_31
; %bb.30:
	s_lshl_b64 s[12:13], s[20:21], 5
	s_mov_b32 s11, 0
	v_add_co_u32 v10, vcc_lo, v2, s12
	v_add_co_ci_u32_e64 v11, null, s13, v3, vcc_lo
	v_add_co_u32 v12, vcc_lo, v10, s12
	v_add_co_ci_u32_e64 v13, null, s13, v11, vcc_lo
	;; [unrolled: 2-line block ×3, first 2 shown]
	s_clause 0x3
	flat_load_dword v16, v[2:3]
	flat_load_dword v10, v[10:11]
	;; [unrolled: 1-line block ×4, first 2 shown]
	s_waitcnt vmcnt(2) lgkmcnt(2)
	ds_write2st64_b32 v8, v16, v10 offset1:4
	s_waitcnt vmcnt(0) lgkmcnt(1)
	ds_write2st64_b32 v8, v11, v12 offset0:8 offset1:12
.LBB132_31:
	v_add_nc_u32_e32 v10, v9, v0
	s_andn2_b32 vcc_lo, exec_lo, s11
	s_cbranch_vccnz .LBB132_41
; %bb.32:
	v_cmp_gt_i32_e32 vcc_lo, s17, v0
	v_mov_b32_e32 v11, 0
	s_nor_b32 s11, s1, vcc_lo
	ds_write2st64_b32 v8, v11, v11 offset1:4
	ds_write2st64_b32 v8, v11, v11 offset0:8 offset1:12
	s_and_saveexec_b32 s1, s11
; %bb.33:
	ds_write_b32 v7, v11 offset:6144
; %bb.34:
	s_or_b32 exec_lo, exec_lo, s1
	s_and_saveexec_b32 s1, vcc_lo
	s_cbranch_execz .LBB132_40
; %bb.35:
	s_cmp_lt_u32 s17, 8
	s_mov_b32 s11, 0
	s_cbranch_scc1 .LBB132_38
; %bb.36:
	v_add_co_u32 v4, vcc_lo, s4, v4
	v_add_co_ci_u32_e64 v5, null, s5, v5, vcc_lo
	v_lshl_add_u32 v11, v9, 2, v7
	v_add_co_u32 v4, vcc_lo, v4, v7
	v_add_co_ci_u32_e64 v5, null, 0, v5, vcc_lo
	s_lshr_b32 s11, s17, 3
	v_add_co_u32 v4, vcc_lo, s8, v4
	v_add_co_ci_u32_e64 v5, null, s9, v5, vcc_lo
	s_lshl_b64 s[4:5], s[20:21], 5
	s_mov_b32 s8, s11
.LBB132_37:                             ; =>This Inner Loop Header: Depth=1
	flat_load_dword v12, v[4:5]
	v_add_co_u32 v4, vcc_lo, v4, s4
	v_add_co_ci_u32_e64 v5, null, s5, v5, vcc_lo
	s_add_i32 s8, s8, -1
	s_cmp_lg_u32 s8, 0
	s_waitcnt vmcnt(0) lgkmcnt(0)
	ds_write_b32 v11, v12
	v_add_nc_u32_e32 v11, 0x400, v11
	s_cbranch_scc1 .LBB132_37
.LBB132_38:
	s_and_b32 s4, s17, 7
	v_cmp_gt_u32_e32 vcc_lo, s4, v1
	s_and_b32 exec_lo, exec_lo, vcc_lo
	s_cbranch_execz .LBB132_40
; %bb.39:
	s_lshl_b32 s4, s11, 3
	s_mul_i32 s5, s21, s4
	s_mul_hi_u32 s8, s20, s4
	s_mul_i32 s4, s20, s4
	s_add_i32 s5, s8, s5
	s_lshl_b64 s[4:5], s[4:5], 2
	v_add_co_u32 v2, vcc_lo, v2, s4
	v_add_co_ci_u32_e64 v3, null, s5, v3, vcc_lo
	flat_load_dword v2, v[2:3]
	v_lshlrev_b32_e32 v3, 2, v10
	v_lshl_add_u32 v3, s11, 10, v3
	s_waitcnt vmcnt(0) lgkmcnt(0)
	ds_write_b32 v3, v2
.LBB132_40:
	s_or_b32 exec_lo, exec_lo, s1
.LBB132_41:
	v_sub_nc_u32_e32 v2, v0, v1
	s_mov_b32 s1, exec_lo
	s_waitcnt lgkmcnt(0)
	s_waitcnt_vscnt null, 0x0
	s_barrier
	buffer_gl0_inv
	v_sub_nc_u32_e32 v3, 0, v2
	v_max_i32_e32 v3, v2, v3
	v_mad_u32_u24 v2, 0x7c, v0, v7
	v_lshl_add_u32 v2, v1, 2, v2
	v_cmpx_lt_u32_e32 16, v3
	s_cbranch_execz .LBB132_43
; %bb.42:
	ds_read_b32 v4, v2 offset:64
	s_waitcnt lgkmcnt(0)
	ds_write_b32 v8, v4 offset:2048
.LBB132_43:
	s_or_b32 exec_lo, exec_lo, s1
	s_mov_b32 s1, exec_lo
	v_cmpx_lt_u32_e32 24, v3
	s_cbranch_execz .LBB132_45
; %bb.44:
	ds_read_b32 v4, v2 offset:96
	s_waitcnt lgkmcnt(0)
	ds_write_b32 v8, v4 offset:3072
.LBB132_45:
	s_or_b32 exec_lo, exec_lo, s1
	s_mov_b32 s1, exec_lo
	v_cmpx_ge_u32_e64 v0, v1
	s_cbranch_execz .LBB132_47
; %bb.46:
	ds_read_b32 v4, v2
	v_lshl_add_u32 v5, v9, 2, v7
	s_waitcnt lgkmcnt(0)
	ds_write_b32 v5, v4
.LBB132_47:
	s_or_b32 exec_lo, exec_lo, s1
	v_lshl_add_u32 v4, v1, 7, 0x400
	v_cmp_lt_u32_e32 vcc_lo, 8, v3
	v_add_nc_u32_e32 v3, v7, v4
	s_and_saveexec_b32 s1, vcc_lo
	s_cbranch_execz .LBB132_49
; %bb.48:
	ds_read_b32 v2, v2 offset:32
	s_waitcnt lgkmcnt(0)
	ds_write_b32 v3, v2
.LBB132_49:
	s_or_b32 exec_lo, exec_lo, s1
	v_lshlrev_b32_e32 v2, 2, v1
	s_waitcnt lgkmcnt(0)
	s_barrier
	buffer_gl0_inv
	v_lshl_add_u32 v1, v1, 7, v7
	v_add_nc_u32_e32 v9, 0x1800, v2
	ds_read_b32 v11, v8
	ds_read2_b32 v[4:5], v9 offset1:8
	ds_read_b32 v3, v3
	ds_read2st64_b32 v[1:2], v1 offset0:8 offset1:12
	ds_read2_b32 v[8:9], v9 offset0:16 offset1:24
	s_waitcnt lgkmcnt(3)
	v_fma_f32 v4, v11, v4, 0
	s_waitcnt lgkmcnt(2)
	v_fmac_f32_e32 v4, v3, v5
	s_waitcnt lgkmcnt(0)
	v_fmac_f32_e32 v4, v1, v8
	v_lshlrev_b32_e32 v1, 2, v10
	v_fmac_f32_e32 v4, v2, v9
	ds_write_b32 v1, v4 offset:4096
	s_waitcnt lgkmcnt(0)
	s_barrier
	buffer_gl0_inv
	s_and_saveexec_b32 s1, s0
	s_cbranch_execz .LBB132_52
; %bb.50:
	v_cmp_gt_i32_e32 vcc_lo, s17, v0
	s_cmp_lt_u32 s6, s10
	s_cselect_b32 s0, -1, 0
	s_or_b32 s0, vcc_lo, s0
	s_and_b32 exec_lo, exec_lo, s0
	s_cbranch_execz .LBB132_52
; %bb.51:
	v_add_nc_u32_e32 v5, 0x1000, v7
	v_cmp_neq_f32_e64 vcc_lo, s16, 0
	ds_read2_b32 v[1:2], v5 offset1:32
	ds_read2_b32 v[3:4], v5 offset0:64 offset1:96
	ds_read2_b32 v[7:8], v5 offset0:128 offset1:160
	s_waitcnt lgkmcnt(2)
	v_add_f32_e32 v1, 0, v1
	v_add_f32_e32 v1, v1, v2
	s_waitcnt lgkmcnt(1)
	v_add_f32_e32 v3, v1, v3
	ds_read2_b32 v[1:2], v5 offset0:192 offset1:224
	v_add_f32_e32 v5, v3, v4
	v_mad_u64_u32 v[3:4], null, s2, v0, 0
	s_waitcnt lgkmcnt(1)
	v_add_f32_e32 v5, v5, v7
	v_add_f32_e32 v7, v5, v8
	v_mad_u64_u32 v[4:5], null, s3, v0, v[4:5]
	s_waitcnt lgkmcnt(0)
	v_add_f32_e32 v0, v7, v1
	v_add_f32_e32 v0, v0, v2
	v_mul_f32_e32 v2, s7, v0
	v_fmac_f32_e32 v6, s7, v0
	v_lshlrev_b64 v[0:1], 2, v[3:4]
	v_cndmask_b32_e32 v2, v2, v6, vcc_lo
	v_add_co_u32 v0, vcc_lo, s14, v0
	v_add_co_ci_u32_e64 v1, null, s15, v1, vcc_lo
	flat_store_dword v[0:1], v2
.LBB132_52:
	s_endpgm
	.section	.rodata,"a",@progbits
	.p2align	6, 0x0
	.amdhsa_kernel _ZL58rocblas_symv_kernel_upper_double_buffered_diagonal_genericILi32ELi8E24rocblas_internal_val_ptrIfEPKPKfPKPfEvbiT1_lT2_lllSA_lllS9_lT3_lllii
		.amdhsa_group_segment_fixed_size 6272
		.amdhsa_private_segment_fixed_size 0
		.amdhsa_kernarg_size 400
		.amdhsa_user_sgpr_count 6
		.amdhsa_user_sgpr_private_segment_buffer 1
		.amdhsa_user_sgpr_dispatch_ptr 0
		.amdhsa_user_sgpr_queue_ptr 0
		.amdhsa_user_sgpr_kernarg_segment_ptr 1
		.amdhsa_user_sgpr_dispatch_id 0
		.amdhsa_user_sgpr_flat_scratch_init 0
		.amdhsa_user_sgpr_private_segment_size 0
		.amdhsa_wavefront_size32 1
		.amdhsa_uses_dynamic_stack 0
		.amdhsa_system_sgpr_private_segment_wavefront_offset 0
		.amdhsa_system_sgpr_workgroup_id_x 1
		.amdhsa_system_sgpr_workgroup_id_y 0
		.amdhsa_system_sgpr_workgroup_id_z 1
		.amdhsa_system_sgpr_workgroup_info 0
		.amdhsa_system_vgpr_workitem_id 1
		.amdhsa_next_free_vgpr 17
		.amdhsa_next_free_sgpr 26
		.amdhsa_reserve_vcc 1
		.amdhsa_reserve_flat_scratch 1
		.amdhsa_float_round_mode_32 0
		.amdhsa_float_round_mode_16_64 0
		.amdhsa_float_denorm_mode_32 3
		.amdhsa_float_denorm_mode_16_64 3
		.amdhsa_dx10_clamp 1
		.amdhsa_ieee_mode 1
		.amdhsa_fp16_overflow 0
		.amdhsa_workgroup_processor_mode 1
		.amdhsa_memory_ordered 1
		.amdhsa_forward_progress 1
		.amdhsa_shared_vgpr_count 0
		.amdhsa_exception_fp_ieee_invalid_op 0
		.amdhsa_exception_fp_denorm_src 0
		.amdhsa_exception_fp_ieee_div_zero 0
		.amdhsa_exception_fp_ieee_overflow 0
		.amdhsa_exception_fp_ieee_underflow 0
		.amdhsa_exception_fp_ieee_inexact 0
		.amdhsa_exception_int_div_zero 0
	.end_amdhsa_kernel
	.section	.text._ZL58rocblas_symv_kernel_upper_double_buffered_diagonal_genericILi32ELi8E24rocblas_internal_val_ptrIfEPKPKfPKPfEvbiT1_lT2_lllSA_lllS9_lT3_lllii,"axG",@progbits,_ZL58rocblas_symv_kernel_upper_double_buffered_diagonal_genericILi32ELi8E24rocblas_internal_val_ptrIfEPKPKfPKPfEvbiT1_lT2_lllSA_lllS9_lT3_lllii,comdat
.Lfunc_end132:
	.size	_ZL58rocblas_symv_kernel_upper_double_buffered_diagonal_genericILi32ELi8E24rocblas_internal_val_ptrIfEPKPKfPKPfEvbiT1_lT2_lllSA_lllS9_lT3_lllii, .Lfunc_end132-_ZL58rocblas_symv_kernel_upper_double_buffered_diagonal_genericILi32ELi8E24rocblas_internal_val_ptrIfEPKPKfPKPfEvbiT1_lT2_lllSA_lllS9_lT3_lllii
                                        ; -- End function
	.set _ZL58rocblas_symv_kernel_upper_double_buffered_diagonal_genericILi32ELi8E24rocblas_internal_val_ptrIfEPKPKfPKPfEvbiT1_lT2_lllSA_lllS9_lT3_lllii.num_vgpr, 17
	.set _ZL58rocblas_symv_kernel_upper_double_buffered_diagonal_genericILi32ELi8E24rocblas_internal_val_ptrIfEPKPKfPKPfEvbiT1_lT2_lllSA_lllS9_lT3_lllii.num_agpr, 0
	.set _ZL58rocblas_symv_kernel_upper_double_buffered_diagonal_genericILi32ELi8E24rocblas_internal_val_ptrIfEPKPKfPKPfEvbiT1_lT2_lllSA_lllS9_lT3_lllii.numbered_sgpr, 26
	.set _ZL58rocblas_symv_kernel_upper_double_buffered_diagonal_genericILi32ELi8E24rocblas_internal_val_ptrIfEPKPKfPKPfEvbiT1_lT2_lllSA_lllS9_lT3_lllii.num_named_barrier, 0
	.set _ZL58rocblas_symv_kernel_upper_double_buffered_diagonal_genericILi32ELi8E24rocblas_internal_val_ptrIfEPKPKfPKPfEvbiT1_lT2_lllSA_lllS9_lT3_lllii.private_seg_size, 0
	.set _ZL58rocblas_symv_kernel_upper_double_buffered_diagonal_genericILi32ELi8E24rocblas_internal_val_ptrIfEPKPKfPKPfEvbiT1_lT2_lllSA_lllS9_lT3_lllii.uses_vcc, 1
	.set _ZL58rocblas_symv_kernel_upper_double_buffered_diagonal_genericILi32ELi8E24rocblas_internal_val_ptrIfEPKPKfPKPfEvbiT1_lT2_lllSA_lllS9_lT3_lllii.uses_flat_scratch, 1
	.set _ZL58rocblas_symv_kernel_upper_double_buffered_diagonal_genericILi32ELi8E24rocblas_internal_val_ptrIfEPKPKfPKPfEvbiT1_lT2_lllSA_lllS9_lT3_lllii.has_dyn_sized_stack, 0
	.set _ZL58rocblas_symv_kernel_upper_double_buffered_diagonal_genericILi32ELi8E24rocblas_internal_val_ptrIfEPKPKfPKPfEvbiT1_lT2_lllSA_lllS9_lT3_lllii.has_recursion, 0
	.set _ZL58rocblas_symv_kernel_upper_double_buffered_diagonal_genericILi32ELi8E24rocblas_internal_val_ptrIfEPKPKfPKPfEvbiT1_lT2_lllSA_lllS9_lT3_lllii.has_indirect_call, 0
	.section	.AMDGPU.csdata,"",@progbits
; Kernel info:
; codeLenInByte = 2068
; TotalNumSgprs: 28
; NumVgprs: 17
; ScratchSize: 0
; MemoryBound: 0
; FloatMode: 240
; IeeeMode: 1
; LDSByteSize: 6272 bytes/workgroup (compile time only)
; SGPRBlocks: 0
; VGPRBlocks: 2
; NumSGPRsForWavesPerEU: 28
; NumVGPRsForWavesPerEU: 17
; Occupancy: 16
; WaveLimiterHint : 1
; COMPUTE_PGM_RSRC2:SCRATCH_EN: 0
; COMPUTE_PGM_RSRC2:USER_SGPR: 6
; COMPUTE_PGM_RSRC2:TRAP_HANDLER: 0
; COMPUTE_PGM_RSRC2:TGID_X_EN: 1
; COMPUTE_PGM_RSRC2:TGID_Y_EN: 0
; COMPUTE_PGM_RSRC2:TGID_Z_EN: 1
; COMPUTE_PGM_RSRC2:TIDIG_COMP_CNT: 1
	.section	.text._ZL62rocblas_symv_kernel_upper_double_buffered_non_diagonal_genericILi32ELi8ELi2ELi0E24rocblas_internal_val_ptrIfEPKPKfPKPfEvbiT3_lT4_lllSA_lllT5_lllii,"axG",@progbits,_ZL62rocblas_symv_kernel_upper_double_buffered_non_diagonal_genericILi32ELi8ELi2ELi0E24rocblas_internal_val_ptrIfEPKPKfPKPfEvbiT3_lT4_lllSA_lllT5_lllii,comdat
	.globl	_ZL62rocblas_symv_kernel_upper_double_buffered_non_diagonal_genericILi32ELi8ELi2ELi0E24rocblas_internal_val_ptrIfEPKPKfPKPfEvbiT3_lT4_lllSA_lllT5_lllii ; -- Begin function _ZL62rocblas_symv_kernel_upper_double_buffered_non_diagonal_genericILi32ELi8ELi2ELi0E24rocblas_internal_val_ptrIfEPKPKfPKPfEvbiT3_lT4_lllSA_lllT5_lllii
	.p2align	8
	.type	_ZL62rocblas_symv_kernel_upper_double_buffered_non_diagonal_genericILi32ELi8ELi2ELi0E24rocblas_internal_val_ptrIfEPKPKfPKPfEvbiT3_lT4_lllSA_lllT5_lllii,@function
_ZL62rocblas_symv_kernel_upper_double_buffered_non_diagonal_genericILi32ELi8ELi2ELi0E24rocblas_internal_val_ptrIfEPKPKfPKPfEvbiT3_lT4_lllSA_lllT5_lllii: ; @_ZL62rocblas_symv_kernel_upper_double_buffered_non_diagonal_genericILi32ELi8ELi2ELi0E24rocblas_internal_val_ptrIfEPKPKfPKPfEvbiT3_lT4_lllSA_lllT5_lllii
; %bb.0:
	s_clause 0x2
	s_load_dword s0, s[4:5], 0x0
	s_load_dwordx8 s[12:19], s[4:5], 0x8
	s_load_dwordx2 s[20:21], s[4:5], 0x28
	s_waitcnt lgkmcnt(0)
	s_bitcmp0_b32 s0, 0
	s_mov_b32 s0, 0
	s_cbranch_scc0 .LBB133_2
; %bb.1:
	s_mul_i32 s1, s15, s8
	s_mul_hi_u32 s2, s14, s8
	s_add_i32 s3, s2, s1
	s_mul_i32 s2, s14, s8
	s_lshl_b64 s[2:3], s[2:3], 2
	s_add_u32 s2, s12, s2
	s_addc_u32 s3, s13, s3
	s_load_dword s22, s[2:3], 0x0
	s_andn2_b32 vcc_lo, exec_lo, s0
	s_cbranch_vccz .LBB133_3
	s_branch .LBB133_4
.LBB133_2:
                                        ; implicit-def: $sgpr22
.LBB133_3:
	s_waitcnt lgkmcnt(0)
	s_mov_b32 s22, s12
.LBB133_4:
	s_waitcnt lgkmcnt(0)
	v_cmp_eq_f32_e64 s0, s22, 0
	s_and_b32 vcc_lo, exec_lo, s0
	s_cbranch_vccnz .LBB133_47
; %bb.5:
	s_load_dword s15, s[4:5], 0x84
	s_add_u32 s10, s4, 0x80
	s_addc_u32 s11, s5, 0
	s_cmp_eq_u32 s6, 0
	s_waitcnt lgkmcnt(0)
	v_cvt_f32_u32_e32 v2, s15
	v_rcp_iflag_f32_e32 v2, v2
	v_mul_f32_e32 v2, 0x4f7ffffe, v2
	v_cvt_u32_f32_e32 v2, v2
	v_readfirstlane_b32 s12, v2
	s_cbranch_scc1 .LBB133_47
; %bb.6:
	s_clause 0x1
	s_load_dwordx4 s[0:3], s[4:5], 0x38
	s_load_dwordx2 s[24:25], s[4:5], 0x58
	s_sub_i32 s9, 0, s15
	s_mul_i32 s13, s9, s12
	s_mov_b32 s9, 0
	s_mul_hi_u32 s13, s12, s13
	s_lshl_b64 s[26:27], s[8:9], 3
	s_add_i32 s12, s12, s13
	s_add_u32 s8, s16, s26
	s_mul_hi_u32 s14, s6, s12
	s_addc_u32 s9, s17, s27
	s_mul_i32 s16, s14, s15
	s_waitcnt lgkmcnt(0)
	s_add_u32 s12, s0, s26
	s_addc_u32 s13, s1, s27
	s_add_u32 s0, s24, s26
	s_addc_u32 s1, s25, s27
	s_sub_i32 s16, s6, s16
	s_add_i32 s17, s14, 1
	s_sub_i32 s23, s16, s15
	s_cmp_ge_u32 s16, s15
	s_cselect_b32 s14, s17, s14
	s_cselect_b32 s16, s23, s16
	s_add_i32 s17, s14, 1
	s_cmp_ge_u32 s16, s15
	s_cselect_b32 s14, s17, s14
	s_add_i32 s16, s15, -1
	s_mov_b32 s26, s14
	s_cmp_lg_u32 s7, s16
	s_cbranch_scc1 .LBB133_8
; %bb.7:
	s_mul_i32 s15, s14, s15
	s_sub_i32 s15, s6, s15
	s_add_i32 s26, s15, s14
.LBB133_8:
	s_cmp_eq_u32 s26, 0
	s_cbranch_scc1 .LBB133_47
; %bb.9:
	s_load_dwordx2 s[16:17], s[12:13], 0x0
	s_load_dwordx2 s[12:13], s[4:5], 0x48
	s_load_dword s23, s[10:11], 0x0
	s_load_dwordx2 s[8:9], s[8:9], 0x0
	s_lshl_b64 s[10:11], s[2:3], 2
	s_load_dwordx2 s[2:3], s[0:1], 0x0
	v_lshl_add_u32 v3, v1, 5, v0
	v_and_b32_e32 v2, 15, v0
	v_lshrrev_b32_e32 v8, 4, v3
	s_waitcnt lgkmcnt(0)
	s_add_u32 s27, s16, s10
	s_addc_u32 s28, s17, s11
	s_lshl_b32 s1, s6, 5
	s_load_dword s17, s[4:5], 0x78
	s_ashr_i32 s16, s1, 31
	s_mul_hi_u32 s0, s12, s1
	s_mul_i32 s10, s12, s16
	s_mul_i32 s11, s13, s1
	s_add_i32 s0, s0, s10
	s_mul_i32 s10, s12, s1
	s_add_i32 s11, s0, s11
	v_cmp_eq_u32_e64 s0, 0, v1
	s_lshl_b64 s[24:25], s[10:11], 2
	s_add_u32 s11, s27, s24
	s_addc_u32 s15, s28, s25
	s_add_i32 s23, s23, -1
	s_mov_b32 s24, -1
	s_cmp_lg_u32 s6, s23
	s_cselect_b32 s10, -1, 0
	s_and_b32 vcc_lo, exec_lo, s10
	s_cbranch_vccnz .LBB133_15
; %bb.10:
	s_and_saveexec_b32 s24, s0
	s_cbranch_execz .LBB133_14
; %bb.11:
	v_mov_b32_e32 v1, 0
	s_mov_b32 s25, exec_lo
	s_waitcnt lgkmcnt(0)
	v_cmpx_gt_i32_e64 s17, v0
	s_cbranch_execz .LBB133_13
; %bb.12:
	v_mad_u64_u32 v[3:4], null, s12, v0, 0
	v_mov_b32_e32 v1, v4
	v_mad_u64_u32 v[4:5], null, s13, v0, v[1:2]
	v_lshlrev_b64 v[3:4], 2, v[3:4]
	v_add_co_u32 v3, vcc_lo, s11, v3
	v_add_co_ci_u32_e64 v4, null, s15, v4, vcc_lo
	flat_load_dword v1, v[3:4]
.LBB133_13:
	s_or_b32 exec_lo, exec_lo, s25
	v_lshlrev_b32_e32 v3, 2, v0
	s_waitcnt vmcnt(0) lgkmcnt(0)
	ds_write_b32 v3, v1 offset:4096
.LBB133_14:
	s_or_b32 exec_lo, exec_lo, s24
	v_lshlrev_b32_e32 v1, 2, v2
	v_mov_b32_e32 v3, 0
	s_mov_b32 s24, 0
	v_lshl_or_b32 v1, v8, 7, v1
	v_add_nc_u32_e32 v4, 0x800, v1
	ds_write2_b32 v1, v3, v3 offset1:16
	ds_write2_b32 v4, v3, v3 offset1:16
.LBB133_15:
	s_and_b32 vcc_lo, exec_lo, s24
	s_cbranch_vccz .LBB133_19
; %bb.16:
	s_and_saveexec_b32 s24, s0
	s_cbranch_execz .LBB133_18
; %bb.17:
	v_mad_u64_u32 v[3:4], null, s12, v0, 0
	v_mov_b32_e32 v1, v4
	v_mad_u64_u32 v[4:5], null, s13, v0, v[1:2]
	v_lshlrev_b64 v[3:4], 2, v[3:4]
	v_add_co_u32 v3, vcc_lo, s11, v3
	v_add_co_ci_u32_e64 v4, null, s15, v4, vcc_lo
	flat_load_dword v1, v[3:4]
	v_lshlrev_b32_e32 v3, 2, v0
	s_waitcnt vmcnt(0) lgkmcnt(0)
	ds_write_b32 v3, v1 offset:4096
.LBB133_18:
	s_or_b32 exec_lo, exec_lo, s24
.LBB133_19:
	v_lshlrev_b32_e32 v9, 1, v8
	v_mov_b32_e32 v3, 0
	s_waitcnt lgkmcnt(0)
	s_lshr_b32 s11, s17, 31
	s_lshl_b64 s[18:19], s[18:19], 2
	s_add_i32 s11, s17, s11
	s_mul_i32 s7, s7, s14
	v_mad_u64_u32 v[4:5], null, s20, v9, v[2:3]
	s_ashr_i32 s11, s11, 1
	s_add_u32 s15, s8, s18
	s_mul_i32 s8, s20, s16
	s_mul_hi_u32 s18, s20, s1
	s_addc_u32 s19, s9, s19
	s_add_i32 s8, s18, s8
	v_mov_b32_e32 v1, v5
	s_mul_i32 s9, s21, s1
	v_cmp_gt_i32_e32 vcc_lo, s11, v8
	s_add_i32 s9, s8, s9
	s_mul_i32 s8, s20, s1
	v_mad_u64_u32 v[5:6], null, s21, v9, v[1:2]
	s_lshl_b64 s[8:9], s[8:9], 2
	v_mov_b32_e32 v6, v3
	s_add_u32 s18, s15, s8
	s_addc_u32 s24, s19, s9
	s_lshl_b32 s14, s7, 5
	v_mov_b32_e32 v7, v3
	s_ashr_i32 s15, s14, 31
	v_lshlrev_b64 v[4:5], 2, v[4:5]
	s_lshl_b64 s[8:9], s[14:15], 2
	s_add_u32 s19, s18, s8
	s_addc_u32 s24, s24, s9
	s_or_b32 s25, s10, vcc_lo
	s_barrier
	buffer_gl0_inv
	s_and_saveexec_b32 s7, s25
	s_cbranch_execz .LBB133_21
; %bb.20:
	v_add_co_u32 v6, vcc_lo, s19, v4
	v_add_co_ci_u32_e64 v7, null, s24, v5, vcc_lo
	s_lshl_b64 s[8:9], s[20:21], 2
	v_add_co_u32 v10, vcc_lo, v6, s8
	v_add_co_ci_u32_e64 v11, null, s9, v7, vcc_lo
	s_clause 0x1
	flat_load_dword v6, v[6:7]
	flat_load_dword v7, v[10:11]
.LBB133_21:
	s_or_b32 exec_lo, exec_lo, s7
	s_load_dwordx4 s[8:11], s[4:5], 0x60
	v_lshlrev_b32_e32 v1, 7, v8
	s_waitcnt lgkmcnt(0)
	s_lshl_b64 s[4:5], s[8:9], 2
	s_add_u32 s7, s2, s4
	s_addc_u32 s18, s3, s5
	s_cmp_gt_i32 s26, 0
	s_cbranch_scc1 .LBB133_23
; %bb.22:
	v_lshlrev_b32_e32 v3, 7, v8
	v_mov_b32_e32 v23, 0
	v_mov_b32_e32 v22, 0
	s_cbranch_execz .LBB133_24
	s_branch .LBB133_43
.LBB133_23:
                                        ; implicit-def: $vgpr3
	v_mov_b32_e32 v23, 0
	v_mov_b32_e32 v22, 0
.LBB133_24:
	v_mad_u64_u32 v[10:11], null, s12, v2, 0
	s_mul_i32 s2, s12, s15
	s_mul_hi_u32 s3, s12, s14
	s_mul_i32 s4, s13, s14
	s_add_i32 s3, s3, s2
	s_mul_i32 s2, s12, s14
	s_add_i32 s3, s3, s4
	v_mov_b32_e32 v3, v11
	s_lshl_b64 s[2:3], s[2:3], 2
	v_mad_u64_u32 v[16:17], null, s10, v0, 0
	s_add_u32 s27, s27, s2
	v_mad_u64_u32 v[11:12], null, s13, v2, v[3:4]
	s_addc_u32 s28, s28, s3
	s_mul_i32 s2, s10, s15
	s_mul_hi_u32 s3, s10, s14
	v_mov_b32_e32 v8, v17
	s_add_i32 s2, s3, s2
	s_mul_i32 s3, s11, s14
	v_lshlrev_b64 v[12:13], 2, v[10:11]
	s_add_i32 s3, s2, s3
	v_mad_u64_u32 v[17:18], null, s11, v0, v[8:9]
	s_mul_i32 s2, s10, s14
	v_lshl_add_u32 v27, v9, 2, 0x1000
	v_add_co_u32 v10, vcc_lo, s27, v12
	v_add_co_ci_u32_e64 v11, null, s28, v13, vcc_lo
	s_lshl_b64 s[2:3], s[2:3], 2
	v_lshlrev_b64 v[8:9], 2, v[16:17]
	v_lshlrev_b32_e32 v25, 2, v0
	flat_load_dword v28, v[10:11]
	v_or_b32_e32 v10, 16, v2
	v_mov_b32_e32 v24, 0
	s_add_u32 s8, s7, s2
	s_addc_u32 s9, s18, s3
	s_cmp_eq_u32 s26, 1
	v_mad_u64_u32 v[14:15], null, s12, v10, 0
	v_mov_b32_e32 v3, v15
	v_mad_u64_u32 v[10:11], null, s13, v10, v[3:4]
	v_lshlrev_b32_e32 v3, 2, v2
	v_add_nc_u32_e32 v3, v3, v1
	v_mov_b32_e32 v15, v10
	v_lshlrev_b64 v[14:15], 2, v[14:15]
	s_cbranch_scc1 .LBB133_36
; %bb.25:
	v_mov_b32_e32 v11, s9
	v_mov_b32_e32 v22, 0
	;; [unrolled: 1-line block ×3, first 2 shown]
	v_add_nc_u32_e32 v29, 0x400, v25
	v_mov_b32_e32 v23, 0
	v_mov_b32_e32 v26, 0
	;; [unrolled: 1-line block ×3, first 2 shown]
	s_lshl_b64 s[2:3], s[12:13], 7
	s_lshl_b64 s[4:5], s[10:11], 7
	s_add_i32 s12, s26, -2
	s_mov_b32 s13, 0
	s_lshl_b64 s[8:9], s[20:21], 2
.LBB133_26:                             ; =>This Loop Header: Depth=1
                                        ;     Child Loop BB133_32 Depth 2
	v_add_co_u32 v16, vcc_lo, s27, v14
	v_add_co_ci_u32_e64 v17, null, s28, v15, vcc_lo
	flat_load_dword v31, v[16:17]
	s_and_saveexec_b32 s14, s25
	s_cbranch_execz .LBB133_28
; %bb.27:                               ;   in Loop: Header=BB133_26 Depth=1
	v_add_co_u32 v16, vcc_lo, s19, v4
	v_add_co_ci_u32_e64 v17, null, s24, v5, vcc_lo
	v_add_co_u32 v18, vcc_lo, v16, s8
	v_add_co_ci_u32_e64 v19, null, s9, v17, vcc_lo
	s_clause 0x1
	flat_load_dword v26, v[16:17] offset:64
	flat_load_dword v24, v[18:19] offset:64
.LBB133_28:                             ;   in Loop: Header=BB133_26 Depth=1
	s_or_b32 exec_lo, exec_lo, s14
	ds_read_b64 v[18:19], v27
	s_waitcnt vmcnt(2)
	v_mov_b32_e32 v17, v7
	v_mov_b32_e32 v16, v6
	s_and_saveexec_b32 s14, s25
	s_cbranch_execz .LBB133_30
; %bb.29:                               ;   in Loop: Header=BB133_26 Depth=1
	v_add_co_u32 v16, vcc_lo, s19, v4
	v_add_co_ci_u32_e64 v17, null, s24, v5, vcc_lo
	v_add_co_u32 v20, vcc_lo, v16, s8
	v_add_co_ci_u32_e64 v21, null, s9, v17, vcc_lo
	s_clause 0x1
	flat_load_dword v16, v[16:17] offset:128
	flat_load_dword v17, v[20:21] offset:128
.LBB133_30:                             ;   in Loop: Header=BB133_26 Depth=1
	s_or_b32 exec_lo, exec_lo, s14
	s_add_u32 s27, s27, s2
	s_addc_u32 s28, s28, s3
	v_add_co_u32 v20, vcc_lo, s27, v12
	v_add_co_ci_u32_e64 v21, null, s28, v13, vcc_lo
	flat_load_dword v30, v[20:21]
	s_waitcnt lgkmcnt(1)
	v_fma_f32 v20, v6, v18, 0
	s_waitcnt vmcnt(2)
	v_fma_f32 v18, v26, v18, 0
	s_waitcnt vmcnt(0) lgkmcnt(0)
	s_barrier
	buffer_gl0_inv
	v_fmac_f32_e32 v20, v7, v19
	v_fmac_f32_e32 v18, v24, v19
	ds_write2_b32 v3, v20, v18 offset1:16
	s_waitcnt lgkmcnt(0)
	s_barrier
	buffer_gl0_inv
	s_and_saveexec_b32 s14, s0
	s_cbranch_execz .LBB133_34
; %bb.31:                               ;   in Loop: Header=BB133_26 Depth=1
	v_add_co_u32 v18, vcc_lo, v10, v8
	v_add_co_ci_u32_e64 v19, null, v11, v9, vcc_lo
	s_mov_b32 s15, 0
	flat_load_dword v21, v[18:19]
	ds_read2_b32 v[32:33], v25 offset1:32
	ds_read2_b32 v[34:35], v25 offset0:64 offset1:96
	ds_read2_b32 v[36:37], v25 offset0:128 offset1:160
	s_waitcnt lgkmcnt(2)
	v_add_f32_e32 v20, 0, v32
	v_add_f32_e32 v20, v20, v33
	ds_read2_b32 v[32:33], v25 offset0:192 offset1:224
	s_waitcnt lgkmcnt(2)
	v_add_f32_e32 v20, v20, v34
	v_add_f32_e32 v20, v20, v35
	ds_read2_b32 v[34:35], v29 offset1:32
	s_waitcnt lgkmcnt(2)
	v_add_f32_e32 v20, v20, v36
	v_add_f32_e32 v20, v20, v37
	ds_read2_b32 v[36:37], v29 offset0:64 offset1:96
	s_waitcnt lgkmcnt(2)
	v_add_f32_e32 v20, v20, v32
	v_add_f32_e32 v20, v20, v33
	ds_read2_b32 v[32:33], v29 offset0:128 offset1:160
	;; [unrolled: 4-line block ×3, first 2 shown]
	s_waitcnt lgkmcnt(2)
	v_add_f32_e32 v20, v20, v36
	v_add_f32_e32 v20, v20, v37
	s_waitcnt lgkmcnt(1)
	v_add_f32_e32 v20, v20, v32
	v_add_f32_e32 v20, v20, v33
	;; [unrolled: 3-line block ×3, first 2 shown]
	v_mul_f32_e32 v32, s22, v20
.LBB133_32:                             ;   Parent Loop BB133_26 Depth=1
                                        ; =>  This Inner Loop Header: Depth=2
	s_waitcnt vmcnt(0)
	v_add_f32_e32 v20, v21, v32
	flat_atomic_cmpswap v20, v[18:19], v[20:21] glc
	s_waitcnt vmcnt(0) lgkmcnt(0)
	v_cmp_eq_u32_e32 vcc_lo, v20, v21
	v_mov_b32_e32 v21, v20
	s_or_b32 s15, vcc_lo, s15
	s_andn2_b32 exec_lo, exec_lo, s15
	s_cbranch_execnz .LBB133_32
; %bb.33:                               ;   in Loop: Header=BB133_26 Depth=1
	s_or_b32 exec_lo, exec_lo, s15
	v_add_co_u32 v10, vcc_lo, v10, s4
	v_add_co_ci_u32_e64 v11, null, s5, v11, vcc_lo
.LBB133_34:                             ;   in Loop: Header=BB133_26 Depth=1
	s_or_b32 exec_lo, exec_lo, s14
	v_fmac_f32_e32 v22, v28, v6
	v_fmac_f32_e32 v23, v28, v7
	s_add_u32 s19, s19, 0x80
	s_addc_u32 s24, s24, 0
	s_add_i32 s14, s13, 1
	v_fmac_f32_e32 v22, v31, v26
	v_fmac_f32_e32 v23, v31, v24
	s_cmp_eq_u32 s13, s12
	s_cbranch_scc1 .LBB133_37
; %bb.35:                               ;   in Loop: Header=BB133_26 Depth=1
	v_mov_b32_e32 v6, v16
	v_mov_b32_e32 v28, v30
	;; [unrolled: 1-line block ×3, first 2 shown]
	s_mov_b32 s13, s14
	s_branch .LBB133_26
.LBB133_36:
	v_mov_b32_e32 v11, s9
	s_waitcnt vmcnt(1)
	v_mov_b32_e32 v17, v7
	v_mov_b32_e32 v10, s8
	;; [unrolled: 1-line block ×6, first 2 shown]
	s_waitcnt vmcnt(0) lgkmcnt(0)
	v_mov_b32_e32 v30, v28
.LBB133_37:
	v_add_co_u32 v6, vcc_lo, s27, v14
	v_add_co_ci_u32_e64 v7, null, s28, v15, vcc_lo
	flat_load_dword v7, v[6:7]
	s_and_saveexec_b32 s2, s25
	s_cbranch_execz .LBB133_39
; %bb.38:
	v_add_co_u32 v4, vcc_lo, s19, v4
	v_add_co_ci_u32_e64 v5, null, s24, v5, vcc_lo
	s_lshl_b64 s[4:5], s[20:21], 2
	v_add_co_u32 v12, vcc_lo, v4, s4
	v_add_co_ci_u32_e64 v13, null, s5, v5, vcc_lo
	s_clause 0x1
	flat_load_dword v26, v[4:5] offset:64
	flat_load_dword v24, v[12:13] offset:64
.LBB133_39:
	s_or_b32 exec_lo, exec_lo, s2
	ds_read_b64 v[4:5], v27
	v_fmac_f32_e32 v22, v30, v16
	v_fmac_f32_e32 v23, v30, v17
	s_waitcnt vmcnt(0) lgkmcnt(0)
	s_barrier
	buffer_gl0_inv
	v_fma_f32 v6, v16, v4, 0
	v_fma_f32 v4, v26, v4, 0
	v_fmac_f32_e32 v6, v17, v5
	v_fmac_f32_e32 v4, v24, v5
	ds_write2_b32 v3, v6, v4 offset1:16
	s_waitcnt lgkmcnt(0)
	s_barrier
	buffer_gl0_inv
	s_and_saveexec_b32 s2, s0
	s_cbranch_execz .LBB133_42
; %bb.40:
	v_add_co_u32 v3, vcc_lo, v10, v8
	v_add_co_ci_u32_e64 v4, null, v11, v9, vcc_lo
	v_add_nc_u32_e32 v14, 0x400, v25
	s_mov_b32 s3, 0
	flat_load_dword v6, v[3:4]
	ds_read2_b32 v[8:9], v25 offset1:32
	ds_read2_b32 v[10:11], v25 offset0:64 offset1:96
	ds_read2_b32 v[12:13], v25 offset0:128 offset1:160
	s_waitcnt lgkmcnt(2)
	v_add_f32_e32 v5, 0, v8
	v_add_f32_e32 v5, v5, v9
	ds_read2_b32 v[8:9], v25 offset0:192 offset1:224
	s_waitcnt lgkmcnt(2)
	v_add_f32_e32 v5, v5, v10
	v_add_f32_e32 v5, v5, v11
	ds_read2_b32 v[10:11], v14 offset1:32
	s_waitcnt lgkmcnt(2)
	v_add_f32_e32 v5, v5, v12
	v_add_f32_e32 v5, v5, v13
	ds_read2_b32 v[12:13], v14 offset0:64 offset1:96
	s_waitcnt lgkmcnt(2)
	v_add_f32_e32 v5, v5, v8
	v_add_f32_e32 v5, v5, v9
	ds_read2_b32 v[8:9], v14 offset0:128 offset1:160
	s_waitcnt lgkmcnt(2)
	v_add_f32_e32 v5, v5, v10
	v_add_f32_e32 v5, v5, v11
	ds_read2_b32 v[10:11], v14 offset0:192 offset1:224
	s_waitcnt lgkmcnt(2)
	v_add_f32_e32 v5, v5, v12
	v_add_f32_e32 v5, v5, v13
	s_waitcnt lgkmcnt(1)
	v_add_f32_e32 v5, v5, v8
	v_add_f32_e32 v5, v5, v9
	;; [unrolled: 3-line block ×3, first 2 shown]
	v_mul_f32_e32 v8, s22, v5
.LBB133_41:                             ; =>This Inner Loop Header: Depth=1
	s_waitcnt vmcnt(0)
	v_add_f32_e32 v5, v6, v8
	flat_atomic_cmpswap v5, v[3:4], v[5:6] glc
	s_waitcnt vmcnt(0) lgkmcnt(0)
	v_cmp_eq_u32_e32 vcc_lo, v5, v6
	v_mov_b32_e32 v6, v5
	s_or_b32 s3, vcc_lo, s3
	s_andn2_b32 exec_lo, exec_lo, s3
	s_cbranch_execnz .LBB133_41
.LBB133_42:
	s_or_b32 exec_lo, exec_lo, s2
	v_fmac_f32_e32 v22, v7, v26
	v_fmac_f32_e32 v23, v7, v24
	v_mov_b32_e32 v3, v1
.LBB133_43:
	v_lshl_add_u32 v1, v2, 2, v3
	v_add_nc_u32_e32 v1, 0x800, v1
	ds_write2_b32 v1, v22, v23 offset1:16
	s_waitcnt vmcnt(0) lgkmcnt(0)
	s_barrier
	buffer_gl0_inv
	s_and_saveexec_b32 s2, s0
	s_cbranch_execz .LBB133_47
; %bb.44:
	v_cmp_gt_i32_e32 vcc_lo, s17, v0
	s_cmp_lt_u32 s6, s23
	s_cselect_b32 s0, -1, 0
	s_or_b32 s0, vcc_lo, s0
	s_and_b32 exec_lo, exec_lo, s0
	s_cbranch_execz .LBB133_47
; %bb.45:
	v_mad_u64_u32 v[3:4], null, s10, v0, 0
	s_mul_i32 s0, s10, s16
	s_mul_hi_u32 s2, s10, s1
	s_mul_i32 s3, s11, s1
	s_add_i32 s2, s2, s0
	s_mul_i32 s0, s10, s1
	s_add_i32 s1, s2, s3
	v_mov_b32_e32 v1, v4
	s_lshl_b64 s[0:1], s[0:1], 2
	v_add_nc_u32_e32 v6, 2, v0
	s_add_u32 s0, s7, s0
	s_addc_u32 s1, s18, s1
	v_mad_u64_u32 v[4:5], null, s11, v0, v[1:2]
	v_add_nc_u32_e32 v5, 1, v0
	v_lshl_add_u32 v7, v0, 6, 0x800
	v_and_b32_e32 v6, 15, v6
	v_add_nc_u32_e32 v9, 3, v0
	v_add_nc_u32_e32 v10, 4, v0
	v_and_b32_e32 v5, 15, v5
	v_lshlrev_b64 v[3:4], 2, v[3:4]
	v_lshl_or_b32 v8, v2, 2, v7
	v_lshl_or_b32 v6, v6, 2, v7
	v_add_nc_u32_e32 v11, 5, v0
	v_lshl_or_b32 v5, v5, 2, v7
	v_add_nc_u32_e32 v12, 6, v0
	v_add_co_u32 v3, vcc_lo, s0, v3
	v_add_co_ci_u32_e64 v4, null, s1, v4, vcc_lo
	v_add_nc_u32_e32 v13, 7, v0
	v_and_b32_e32 v9, 15, v9
	v_and_b32_e32 v10, 15, v10
	flat_load_dword v1, v[3:4]
	ds_read_b32 v8, v8
	ds_read_b32 v5, v5
	;; [unrolled: 1-line block ×3, first 2 shown]
	v_and_b32_e32 v11, 15, v11
	v_and_b32_e32 v12, 15, v12
	;; [unrolled: 1-line block ×3, first 2 shown]
	v_lshl_or_b32 v9, v9, 2, v7
	v_lshl_or_b32 v10, v10, 2, v7
	;; [unrolled: 1-line block ×5, first 2 shown]
	ds_read_b32 v9, v9
	ds_read_b32 v10, v10
	;; [unrolled: 1-line block ×5, first 2 shown]
	v_xor_b32_e32 v2, 8, v2
	s_mov_b32 s0, 0
	v_lshl_or_b32 v2, v2, 2, v7
	s_waitcnt lgkmcnt(7)
	v_add_f32_e32 v8, 0, v8
	s_waitcnt lgkmcnt(6)
	v_add_f32_e32 v5, v8, v5
	v_add_nc_u32_e32 v8, 10, v0
	s_waitcnt lgkmcnt(5)
	v_add_f32_e32 v5, v5, v6
	v_add_nc_u32_e32 v6, 9, v0
	v_and_b32_e32 v8, 15, v8
	s_waitcnt lgkmcnt(4)
	v_add_f32_e32 v5, v5, v9
	v_and_b32_e32 v6, 15, v6
	v_lshl_or_b32 v8, v8, 2, v7
	v_add_nc_u32_e32 v9, 11, v0
	s_waitcnt lgkmcnt(3)
	v_add_f32_e32 v5, v5, v10
	v_lshl_or_b32 v6, v6, 2, v7
	v_add_nc_u32_e32 v10, 12, v0
	ds_read_b32 v2, v2
	ds_read_b32 v6, v6
	;; [unrolled: 1-line block ×3, first 2 shown]
	s_waitcnt lgkmcnt(5)
	v_add_f32_e32 v5, v5, v11
	v_add_nc_u32_e32 v11, 13, v0
	v_and_b32_e32 v9, 15, v9
	v_and_b32_e32 v10, 15, v10
	s_waitcnt lgkmcnt(4)
	v_add_f32_e32 v5, v5, v12
	v_add_nc_u32_e32 v12, 14, v0
	v_add_nc_u32_e32 v0, -1, v0
	v_and_b32_e32 v11, 15, v11
	v_lshl_or_b32 v9, v9, 2, v7
	s_waitcnt lgkmcnt(3)
	v_add_f32_e32 v5, v5, v13
	v_and_b32_e32 v12, 15, v12
	v_and_b32_e32 v0, 15, v0
	v_lshl_or_b32 v10, v10, 2, v7
	v_lshl_or_b32 v11, v11, 2, v7
	;; [unrolled: 1-line block ×4, first 2 shown]
	ds_read_b32 v7, v9
	ds_read_b32 v9, v10
	;; [unrolled: 1-line block ×5, first 2 shown]
	s_waitcnt lgkmcnt(7)
	v_add_f32_e32 v2, v5, v2
	s_waitcnt lgkmcnt(6)
	v_add_f32_e32 v2, v2, v6
	;; [unrolled: 2-line block ×8, first 2 shown]
	v_mul_f32_e32 v2, s22, v0
.LBB133_46:                             ; =>This Inner Loop Header: Depth=1
	s_waitcnt vmcnt(0)
	v_add_f32_e32 v0, v1, v2
	flat_atomic_cmpswap v0, v[3:4], v[0:1] glc
	s_waitcnt vmcnt(0) lgkmcnt(0)
	v_cmp_eq_u32_e32 vcc_lo, v0, v1
	v_mov_b32_e32 v1, v0
	s_or_b32 s0, vcc_lo, s0
	s_andn2_b32 exec_lo, exec_lo, s0
	s_cbranch_execnz .LBB133_46
.LBB133_47:
	s_endpgm
	.section	.rodata,"a",@progbits
	.p2align	6, 0x0
	.amdhsa_kernel _ZL62rocblas_symv_kernel_upper_double_buffered_non_diagonal_genericILi32ELi8ELi2ELi0E24rocblas_internal_val_ptrIfEPKPKfPKPfEvbiT3_lT4_lllSA_lllT5_lllii
		.amdhsa_group_segment_fixed_size 4224
		.amdhsa_private_segment_fixed_size 0
		.amdhsa_kernarg_size 384
		.amdhsa_user_sgpr_count 6
		.amdhsa_user_sgpr_private_segment_buffer 1
		.amdhsa_user_sgpr_dispatch_ptr 0
		.amdhsa_user_sgpr_queue_ptr 0
		.amdhsa_user_sgpr_kernarg_segment_ptr 1
		.amdhsa_user_sgpr_dispatch_id 0
		.amdhsa_user_sgpr_flat_scratch_init 0
		.amdhsa_user_sgpr_private_segment_size 0
		.amdhsa_wavefront_size32 1
		.amdhsa_uses_dynamic_stack 0
		.amdhsa_system_sgpr_private_segment_wavefront_offset 0
		.amdhsa_system_sgpr_workgroup_id_x 1
		.amdhsa_system_sgpr_workgroup_id_y 1
		.amdhsa_system_sgpr_workgroup_id_z 1
		.amdhsa_system_sgpr_workgroup_info 0
		.amdhsa_system_vgpr_workitem_id 1
		.amdhsa_next_free_vgpr 38
		.amdhsa_next_free_sgpr 29
		.amdhsa_reserve_vcc 1
		.amdhsa_reserve_flat_scratch 1
		.amdhsa_float_round_mode_32 0
		.amdhsa_float_round_mode_16_64 0
		.amdhsa_float_denorm_mode_32 3
		.amdhsa_float_denorm_mode_16_64 3
		.amdhsa_dx10_clamp 1
		.amdhsa_ieee_mode 1
		.amdhsa_fp16_overflow 0
		.amdhsa_workgroup_processor_mode 1
		.amdhsa_memory_ordered 1
		.amdhsa_forward_progress 1
		.amdhsa_shared_vgpr_count 0
		.amdhsa_exception_fp_ieee_invalid_op 0
		.amdhsa_exception_fp_denorm_src 0
		.amdhsa_exception_fp_ieee_div_zero 0
		.amdhsa_exception_fp_ieee_overflow 0
		.amdhsa_exception_fp_ieee_underflow 0
		.amdhsa_exception_fp_ieee_inexact 0
		.amdhsa_exception_int_div_zero 0
	.end_amdhsa_kernel
	.section	.text._ZL62rocblas_symv_kernel_upper_double_buffered_non_diagonal_genericILi32ELi8ELi2ELi0E24rocblas_internal_val_ptrIfEPKPKfPKPfEvbiT3_lT4_lllSA_lllT5_lllii,"axG",@progbits,_ZL62rocblas_symv_kernel_upper_double_buffered_non_diagonal_genericILi32ELi8ELi2ELi0E24rocblas_internal_val_ptrIfEPKPKfPKPfEvbiT3_lT4_lllSA_lllT5_lllii,comdat
.Lfunc_end133:
	.size	_ZL62rocblas_symv_kernel_upper_double_buffered_non_diagonal_genericILi32ELi8ELi2ELi0E24rocblas_internal_val_ptrIfEPKPKfPKPfEvbiT3_lT4_lllSA_lllT5_lllii, .Lfunc_end133-_ZL62rocblas_symv_kernel_upper_double_buffered_non_diagonal_genericILi32ELi8ELi2ELi0E24rocblas_internal_val_ptrIfEPKPKfPKPfEvbiT3_lT4_lllSA_lllT5_lllii
                                        ; -- End function
	.set _ZL62rocblas_symv_kernel_upper_double_buffered_non_diagonal_genericILi32ELi8ELi2ELi0E24rocblas_internal_val_ptrIfEPKPKfPKPfEvbiT3_lT4_lllSA_lllT5_lllii.num_vgpr, 38
	.set _ZL62rocblas_symv_kernel_upper_double_buffered_non_diagonal_genericILi32ELi8ELi2ELi0E24rocblas_internal_val_ptrIfEPKPKfPKPfEvbiT3_lT4_lllSA_lllT5_lllii.num_agpr, 0
	.set _ZL62rocblas_symv_kernel_upper_double_buffered_non_diagonal_genericILi32ELi8ELi2ELi0E24rocblas_internal_val_ptrIfEPKPKfPKPfEvbiT3_lT4_lllSA_lllT5_lllii.numbered_sgpr, 29
	.set _ZL62rocblas_symv_kernel_upper_double_buffered_non_diagonal_genericILi32ELi8ELi2ELi0E24rocblas_internal_val_ptrIfEPKPKfPKPfEvbiT3_lT4_lllSA_lllT5_lllii.num_named_barrier, 0
	.set _ZL62rocblas_symv_kernel_upper_double_buffered_non_diagonal_genericILi32ELi8ELi2ELi0E24rocblas_internal_val_ptrIfEPKPKfPKPfEvbiT3_lT4_lllSA_lllT5_lllii.private_seg_size, 0
	.set _ZL62rocblas_symv_kernel_upper_double_buffered_non_diagonal_genericILi32ELi8ELi2ELi0E24rocblas_internal_val_ptrIfEPKPKfPKPfEvbiT3_lT4_lllSA_lllT5_lllii.uses_vcc, 1
	.set _ZL62rocblas_symv_kernel_upper_double_buffered_non_diagonal_genericILi32ELi8ELi2ELi0E24rocblas_internal_val_ptrIfEPKPKfPKPfEvbiT3_lT4_lllSA_lllT5_lllii.uses_flat_scratch, 1
	.set _ZL62rocblas_symv_kernel_upper_double_buffered_non_diagonal_genericILi32ELi8ELi2ELi0E24rocblas_internal_val_ptrIfEPKPKfPKPfEvbiT3_lT4_lllSA_lllT5_lllii.has_dyn_sized_stack, 0
	.set _ZL62rocblas_symv_kernel_upper_double_buffered_non_diagonal_genericILi32ELi8ELi2ELi0E24rocblas_internal_val_ptrIfEPKPKfPKPfEvbiT3_lT4_lllSA_lllT5_lllii.has_recursion, 0
	.set _ZL62rocblas_symv_kernel_upper_double_buffered_non_diagonal_genericILi32ELi8ELi2ELi0E24rocblas_internal_val_ptrIfEPKPKfPKPfEvbiT3_lT4_lllSA_lllT5_lllii.has_indirect_call, 0
	.section	.AMDGPU.csdata,"",@progbits
; Kernel info:
; codeLenInByte = 3084
; TotalNumSgprs: 31
; NumVgprs: 38
; ScratchSize: 0
; MemoryBound: 0
; FloatMode: 240
; IeeeMode: 1
; LDSByteSize: 4224 bytes/workgroup (compile time only)
; SGPRBlocks: 0
; VGPRBlocks: 4
; NumSGPRsForWavesPerEU: 31
; NumVGPRsForWavesPerEU: 38
; Occupancy: 16
; WaveLimiterHint : 1
; COMPUTE_PGM_RSRC2:SCRATCH_EN: 0
; COMPUTE_PGM_RSRC2:USER_SGPR: 6
; COMPUTE_PGM_RSRC2:TRAP_HANDLER: 0
; COMPUTE_PGM_RSRC2:TGID_X_EN: 1
; COMPUTE_PGM_RSRC2:TGID_Y_EN: 1
; COMPUTE_PGM_RSRC2:TGID_Z_EN: 1
; COMPUTE_PGM_RSRC2:TIDIG_COMP_CNT: 1
	.section	.text._ZL62rocblas_symv_kernel_upper_double_buffered_non_diagonal_genericILi32ELi8ELi2ELi1E24rocblas_internal_val_ptrIfEPKPKfPKPfEvbiT3_lT4_lllSA_lllT5_lllii,"axG",@progbits,_ZL62rocblas_symv_kernel_upper_double_buffered_non_diagonal_genericILi32ELi8ELi2ELi1E24rocblas_internal_val_ptrIfEPKPKfPKPfEvbiT3_lT4_lllSA_lllT5_lllii,comdat
	.globl	_ZL62rocblas_symv_kernel_upper_double_buffered_non_diagonal_genericILi32ELi8ELi2ELi1E24rocblas_internal_val_ptrIfEPKPKfPKPfEvbiT3_lT4_lllSA_lllT5_lllii ; -- Begin function _ZL62rocblas_symv_kernel_upper_double_buffered_non_diagonal_genericILi32ELi8ELi2ELi1E24rocblas_internal_val_ptrIfEPKPKfPKPfEvbiT3_lT4_lllSA_lllT5_lllii
	.p2align	8
	.type	_ZL62rocblas_symv_kernel_upper_double_buffered_non_diagonal_genericILi32ELi8ELi2ELi1E24rocblas_internal_val_ptrIfEPKPKfPKPfEvbiT3_lT4_lllSA_lllT5_lllii,@function
_ZL62rocblas_symv_kernel_upper_double_buffered_non_diagonal_genericILi32ELi8ELi2ELi1E24rocblas_internal_val_ptrIfEPKPKfPKPfEvbiT3_lT4_lllSA_lllT5_lllii: ; @_ZL62rocblas_symv_kernel_upper_double_buffered_non_diagonal_genericILi32ELi8ELi2ELi1E24rocblas_internal_val_ptrIfEPKPKfPKPfEvbiT3_lT4_lllSA_lllT5_lllii
; %bb.0:
	s_clause 0x2
	s_load_dword s0, s[4:5], 0x0
	s_load_dwordx8 s[12:19], s[4:5], 0x8
	s_load_dwordx2 s[20:21], s[4:5], 0x28
	s_waitcnt lgkmcnt(0)
	s_bitcmp0_b32 s0, 0
	s_mov_b32 s0, 0
	s_cbranch_scc0 .LBB134_2
; %bb.1:
	s_mul_i32 s1, s15, s8
	s_mul_hi_u32 s2, s14, s8
	s_add_i32 s3, s2, s1
	s_mul_i32 s2, s14, s8
	s_lshl_b64 s[2:3], s[2:3], 2
	s_add_u32 s2, s12, s2
	s_addc_u32 s3, s13, s3
	s_load_dword s22, s[2:3], 0x0
	s_andn2_b32 vcc_lo, exec_lo, s0
	s_cbranch_vccz .LBB134_3
	s_branch .LBB134_4
.LBB134_2:
                                        ; implicit-def: $sgpr22
.LBB134_3:
	s_waitcnt lgkmcnt(0)
	s_mov_b32 s22, s12
.LBB134_4:
	s_waitcnt lgkmcnt(0)
	v_cmp_eq_f32_e64 s0, s22, 0
	s_and_b32 vcc_lo, exec_lo, s0
	s_cbranch_vccnz .LBB134_79
; %bb.5:
	s_load_dword s15, s[4:5], 0x84
	s_add_u32 s10, s4, 0x80
	s_addc_u32 s11, s5, 0
	s_cmp_eq_u32 s6, 0
	s_waitcnt lgkmcnt(0)
	v_cvt_f32_u32_e32 v2, s15
	v_rcp_iflag_f32_e32 v2, v2
	v_mul_f32_e32 v2, 0x4f7ffffe, v2
	v_cvt_u32_f32_e32 v2, v2
	v_readfirstlane_b32 s12, v2
	s_cbranch_scc1 .LBB134_79
; %bb.6:
	s_clause 0x1
	s_load_dwordx4 s[0:3], s[4:5], 0x38
	s_load_dwordx2 s[24:25], s[4:5], 0x58
	s_sub_i32 s9, 0, s15
	s_mul_i32 s13, s9, s12
	s_mov_b32 s9, 0
	s_mul_hi_u32 s13, s12, s13
	s_lshl_b64 s[26:27], s[8:9], 3
	s_add_i32 s12, s12, s13
	s_add_u32 s8, s16, s26
	s_mul_hi_u32 s14, s6, s12
	s_addc_u32 s9, s17, s27
	s_mul_i32 s16, s14, s15
	s_waitcnt lgkmcnt(0)
	s_add_u32 s12, s0, s26
	s_addc_u32 s13, s1, s27
	s_add_u32 s0, s24, s26
	s_addc_u32 s1, s25, s27
	s_sub_i32 s16, s6, s16
	s_add_i32 s17, s14, 1
	s_sub_i32 s23, s16, s15
	s_cmp_ge_u32 s16, s15
	s_cselect_b32 s14, s17, s14
	s_cselect_b32 s16, s23, s16
	s_add_i32 s17, s14, 1
	s_cmp_ge_u32 s16, s15
	s_cselect_b32 s14, s17, s14
	s_add_i32 s16, s15, -1
	s_mov_b32 s25, s14
	s_cmp_lg_u32 s7, s16
	s_cbranch_scc1 .LBB134_8
; %bb.7:
	s_mul_i32 s15, s14, s15
	s_sub_i32 s15, s6, s15
	s_add_i32 s25, s15, s14
.LBB134_8:
	s_cmp_eq_u32 s25, 0
	s_cbranch_scc1 .LBB134_79
; %bb.9:
	s_load_dwordx2 s[16:17], s[12:13], 0x0
	s_load_dwordx2 s[12:13], s[4:5], 0x48
	s_load_dword s23, s[10:11], 0x0
	s_lshl_b64 s[2:3], s[2:3], 2
	s_load_dwordx2 s[8:9], s[8:9], 0x0
	v_lshl_add_u32 v2, v1, 5, v0
	s_mov_b32 s15, -1
	s_waitcnt lgkmcnt(0)
	s_add_u32 s26, s16, s2
	s_addc_u32 s27, s17, s3
	s_lshl_b32 s16, s6, 5
	s_load_dwordx2 s[2:3], s[0:1], 0x0
	s_ashr_i32 s17, s16, 31
	s_mul_hi_u32 s0, s12, s16
	s_mul_i32 s1, s12, s17
	s_mul_i32 s10, s13, s16
	s_add_i32 s1, s0, s1
	s_mul_i32 s0, s12, s16
	s_add_i32 s1, s1, s10
	s_lshl_b64 s[0:1], s[0:1], 2
	s_add_u32 s10, s26, s0
	s_addc_u32 s11, s27, s1
	s_add_i32 s23, s23, -1
	v_cmp_eq_u32_e64 s0, 0, v1
	s_cmp_lg_u32 s6, s23
	s_cselect_b32 s1, -1, 0
	s_and_b32 vcc_lo, exec_lo, s1
	s_cbranch_vccz .LBB134_13
; %bb.10:
	s_and_saveexec_b32 s15, s0
	s_cbranch_execz .LBB134_12
; %bb.11:
	v_mad_u64_u32 v[3:4], null, s12, v0, 0
	v_mov_b32_e32 v1, v4
	v_mad_u64_u32 v[4:5], null, s13, v0, v[1:2]
	v_lshlrev_b64 v[3:4], 2, v[3:4]
	v_add_co_u32 v3, vcc_lo, s10, v3
	v_add_co_ci_u32_e64 v4, null, s11, v4, vcc_lo
	flat_load_dword v1, v[3:4]
	v_lshlrev_b32_e32 v3, 2, v0
	s_waitcnt vmcnt(0) lgkmcnt(0)
	ds_write_b32 v3, v1 offset:4096
.LBB134_12:
	s_or_b32 exec_lo, exec_lo, s15
	s_mov_b32 s15, 0
.LBB134_13:
	s_load_dword s24, s[4:5], 0x78
	v_and_b32_e32 v1, 15, v0
	v_lshrrev_b32_e32 v4, 4, v2
	s_andn2_b32 vcc_lo, exec_lo, s15
	s_cbranch_vccnz .LBB134_19
; %bb.14:
	s_and_saveexec_b32 s15, s0
	s_cbranch_execz .LBB134_18
; %bb.15:
	v_mov_b32_e32 v2, 0
	s_mov_b32 s28, exec_lo
	s_waitcnt lgkmcnt(0)
	v_cmpx_gt_i32_e64 s24, v0
	s_cbranch_execz .LBB134_17
; %bb.16:
	v_mad_u64_u32 v[2:3], null, s12, v0, 0
	v_mad_u64_u32 v[5:6], null, s13, v0, v[3:4]
	v_mov_b32_e32 v3, v5
	v_lshlrev_b64 v[2:3], 2, v[2:3]
	v_add_co_u32 v2, vcc_lo, s10, v2
	v_add_co_ci_u32_e64 v3, null, s11, v3, vcc_lo
	flat_load_dword v2, v[2:3]
.LBB134_17:
	s_or_b32 exec_lo, exec_lo, s28
	v_lshlrev_b32_e32 v3, 2, v0
	s_waitcnt vmcnt(0) lgkmcnt(0)
	ds_write_b32 v3, v2 offset:4096
.LBB134_18:
	s_or_b32 exec_lo, exec_lo, s15
	v_lshlrev_b32_e32 v2, 2, v1
	v_mov_b32_e32 v3, 0
	v_lshl_or_b32 v2, v4, 7, v2
	v_add_nc_u32_e32 v5, 0x800, v2
	ds_write2_b32 v2, v3, v3 offset1:16
	ds_write2_b32 v5, v3, v3 offset1:16
.LBB134_19:
	v_lshlrev_b32_e32 v5, 1, v4
	v_mov_b32_e32 v2, 0
	s_waitcnt lgkmcnt(0)
	s_lshr_b32 s15, s24, 31
	s_lshl_b64 s[10:11], s[18:19], 2
	s_add_i32 s15, s24, s15
	s_mul_i32 s18, s20, s17
	v_mad_u64_u32 v[2:3], null, s20, v5, v[1:2]
	s_ashr_i32 s28, s15, 1
	s_add_u32 s10, s8, s10
	s_mul_hi_u32 s8, s20, s16
	s_addc_u32 s11, s9, s11
	s_add_i32 s8, s8, s18
	s_mul_i32 s9, s21, s16
	v_mad_u64_u32 v[6:7], null, s21, v5, v[3:4]
	s_add_i32 s9, s8, s9
	s_mul_i32 s8, s20, s16
	s_mul_i32 s7, s7, s14
	s_lshl_b64 s[8:9], s[8:9], 2
	v_cndmask_b32_e64 v23, 0, 1, s1
	s_add_u32 s10, s10, s8
	s_addc_u32 s11, s11, s9
	s_lshl_b32 s14, s7, 5
	v_mov_b32_e32 v3, v6
	s_ashr_i32 s15, s14, 31
	s_lshl_b64 s[8:9], s[14:15], 2
	s_barrier
	s_add_u32 s18, s10, s8
	s_addc_u32 s19, s11, s9
	s_andn2_b32 vcc_lo, exec_lo, s1
	buffer_gl0_inv
	s_cbranch_vccnz .LBB134_21
; %bb.20:
	v_lshlrev_b64 v[6:7], 2, v[2:3]
	s_lshl_b64 s[8:9], s[20:21], 2
	v_add_co_u32 v6, vcc_lo, s18, v6
	v_add_co_ci_u32_e64 v7, null, s19, v7, vcc_lo
	v_add_co_u32 v9, vcc_lo, v6, s8
	v_add_co_ci_u32_e64 v10, null, s9, v7, vcc_lo
	s_clause 0x1
	flat_load_dword v8, v[6:7]
	flat_load_dword v9, v[9:10]
	v_cmp_le_i32_e64 s1, s28, v4
	s_cbranch_execz .LBB134_22
	s_branch .LBB134_29
.LBB134_21:
                                        ; implicit-def: $vgpr8_vgpr9
	v_cmp_le_i32_e64 s1, s28, v4
.LBB134_22:
                                        ; implicit-def: $vgpr8_vgpr9
	s_and_saveexec_b32 s7, s1
	s_xor_b32 s1, exec_lo, s7
	s_cbranch_execz .LBB134_26
; %bb.23:
	s_waitcnt vmcnt(1) lgkmcnt(1)
	v_mov_b32_e32 v8, 0
	s_mov_b32 s7, exec_lo
	s_waitcnt vmcnt(0) lgkmcnt(0)
	v_mov_b32_e32 v9, v8
	v_cmpx_eq_u32_e64 s28, v4
	s_cbranch_execz .LBB134_25
; %bb.24:
	v_lshlrev_b64 v[6:7], 2, v[2:3]
	v_add_co_u32 v6, vcc_lo, s18, v6
	v_add_co_ci_u32_e64 v7, null, s19, v7, vcc_lo
	flat_load_dword v6, v[6:7]
	v_mov_b32_e32 v7, v8
	s_waitcnt vmcnt(0) lgkmcnt(0)
	v_mov_b32_e32 v9, v7
	v_mov_b32_e32 v8, v6
.LBB134_25:
	s_or_b32 exec_lo, exec_lo, s7
.LBB134_26:
	s_andn2_saveexec_b32 s1, s1
	s_cbranch_execz .LBB134_28
; %bb.27:
	v_lshlrev_b64 v[6:7], 2, v[2:3]
	s_lshl_b64 s[8:9], s[20:21], 2
	v_add_co_u32 v6, vcc_lo, s18, v6
	v_add_co_ci_u32_e64 v7, null, s19, v7, vcc_lo
	s_waitcnt vmcnt(0) lgkmcnt(0)
	v_add_co_u32 v9, vcc_lo, v6, s8
	v_add_co_ci_u32_e64 v10, null, s9, v7, vcc_lo
	s_clause 0x1
	flat_load_dword v8, v[6:7]
	flat_load_dword v9, v[9:10]
.LBB134_28:
	s_or_b32 exec_lo, exec_lo, s1
.LBB134_29:
	s_load_dwordx4 s[8:11], s[4:5], 0x60
	v_lshlrev_b32_e32 v22, 7, v4
	s_mov_b32 s1, 0
	s_waitcnt lgkmcnt(0)
	s_lshl_b64 s[4:5], s[8:9], 2
	s_add_u32 s7, s2, s4
	s_addc_u32 s3, s3, s5
	s_cmp_gt_i32 s25, 0
	s_cbranch_scc1 .LBB134_31
; %bb.30:
	v_lshlrev_b32_e32 v6, 7, v4
	v_mov_b32_e32 v25, 0
	v_mov_b32_e32 v24, 0
	s_andn2_b32 vcc_lo, exec_lo, s1
	s_cbranch_vccz .LBB134_32
	s_branch .LBB134_75
.LBB134_31:
                                        ; implicit-def: $vgpr6
	v_mov_b32_e32 v25, 0
	v_mov_b32_e32 v24, 0
.LBB134_32:
	v_mad_u64_u32 v[6:7], null, s12, v1, 0
	s_mul_i32 s1, s12, s15
	s_mul_hi_u32 s2, s12, s14
	s_mul_i32 s5, s13, s14
	s_add_i32 s1, s2, s1
	s_mul_i32 s4, s12, s14
	s_add_i32 s5, s1, s5
	s_waitcnt vmcnt(1)
	v_mad_u64_u32 v[10:11], null, s13, v1, v[7:8]
	s_lshl_b64 s[4:5], s[4:5], 2
	v_or_b32_e32 v16, 16, v1
	s_add_u32 s26, s26, s4
	s_addc_u32 s27, s27, s5
	v_mad_u64_u32 v[14:15], null, s10, v0, 0
	v_mov_b32_e32 v7, v10
	v_mad_u64_u32 v[12:13], null, s12, v16, 0
	s_mul_i32 s1, s10, s15
	s_mul_hi_u32 s2, s10, s14
	v_lshlrev_b64 v[10:11], 2, v[6:7]
	s_add_i32 s1, s2, s1
	s_mul_i32 s2, s11, s14
	s_mul_i32 s4, s10, s14
	s_add_i32 s5, s1, s2
	v_cmp_le_i32_e64 s2, s28, v4
	v_add_co_u32 v6, vcc_lo, s26, v10
	v_add_co_ci_u32_e64 v7, null, s27, v11, vcc_lo
	s_lshl_b64 s[4:5], s[4:5], 2
	v_cmp_eq_u32_e64 s1, s28, v4
	v_lshl_add_u32 v28, v5, 2, 0x1000
	flat_load_dword v29, v[6:7]
	v_mov_b32_e32 v6, v13
	v_mov_b32_e32 v7, v15
	v_lshlrev_b32_e32 v26, 2, v0
	v_mov_b32_e32 v30, 0
	s_add_u32 s14, s7, s4
	s_addc_u32 s15, s3, s5
	v_mad_u64_u32 v[15:16], null, s13, v16, v[6:7]
	v_mad_u64_u32 v[6:7], null, s11, v0, v[7:8]
	v_lshlrev_b32_e32 v16, 2, v1
	s_cmp_eq_u32 s25, 1
	v_mov_b32_e32 v13, v15
	v_add_nc_u32_e32 v27, v16, v22
	v_mov_b32_e32 v15, v6
	v_lshlrev_b64 v[12:13], 2, v[12:13]
	v_lshlrev_b64 v[4:5], 2, v[14:15]
	s_cbranch_scc1 .LBB134_60
; %bb.33:
	v_mov_b32_e32 v6, s14
	v_lshlrev_b64 v[14:15], 2, v[2:3]
	v_mov_b32_e32 v24, 0
	v_mov_b32_e32 v7, s15
	v_add_nc_u32_e32 v32, 0x400, v26
	v_mov_b32_e32 v25, 0
	v_mov_b32_e32 v17, 0
	;; [unrolled: 1-line block ×3, first 2 shown]
	s_lshl_b64 s[4:5], s[12:13], 7
	s_lshl_b64 s[8:9], s[10:11], 7
	s_add_i32 s14, s25, -2
	s_mov_b32 s15, 0
	s_lshl_b64 s[12:13], s[20:21], 2
.LBB134_34:                             ; =>This Loop Header: Depth=1
                                        ;     Child Loop BB134_56 Depth 2
	v_add_co_u32 v18, vcc_lo, s26, v12
	v_add_co_ci_u32_e64 v19, null, s27, v13, vcc_lo
	v_cmp_ne_u32_e32 vcc_lo, 1, v23
	s_mov_b32 s25, -1
                                        ; implicit-def: $vgpr30
                                        ; implicit-def: $vgpr31
	flat_load_dword v33, v[18:19]
	s_cbranch_vccnz .LBB134_36
; %bb.35:                               ;   in Loop: Header=BB134_34 Depth=1
	v_add_co_u32 v18, vcc_lo, s18, v14
	v_add_co_ci_u32_e64 v19, null, s19, v15, vcc_lo
	s_mov_b32 s25, 0
	v_add_co_u32 v20, vcc_lo, v18, s12
	v_add_co_ci_u32_e64 v21, null, s13, v19, vcc_lo
	s_clause 0x1
	flat_load_dword v31, v[18:19] offset:64
	flat_load_dword v30, v[20:21] offset:64
.LBB134_36:                             ;   in Loop: Header=BB134_34 Depth=1
	s_andn2_b32 vcc_lo, exec_lo, s25
	s_cbranch_vccnz .LBB134_44
; %bb.37:                               ;   in Loop: Header=BB134_34 Depth=1
	s_and_saveexec_b32 s25, s2
	s_xor_b32 s25, exec_lo, s25
	s_cbranch_execz .LBB134_41
; %bb.38:                               ;   in Loop: Header=BB134_34 Depth=1
	s_and_saveexec_b32 s28, s1
	s_cbranch_execz .LBB134_40
; %bb.39:                               ;   in Loop: Header=BB134_34 Depth=1
	v_add_co_u32 v17, vcc_lo, s18, v14
	v_add_co_ci_u32_e64 v18, null, s19, v15, vcc_lo
	flat_load_dword v17, v[17:18] offset:64
.LBB134_40:                             ;   in Loop: Header=BB134_34 Depth=1
	s_or_b32 exec_lo, exec_lo, s28
.LBB134_41:                             ;   in Loop: Header=BB134_34 Depth=1
	s_andn2_saveexec_b32 s25, s25
	s_cbranch_execz .LBB134_43
; %bb.42:                               ;   in Loop: Header=BB134_34 Depth=1
	v_add_co_u32 v16, vcc_lo, s18, v14
	s_waitcnt vmcnt(0) lgkmcnt(0)
	v_add_co_ci_u32_e64 v17, null, s19, v15, vcc_lo
	v_add_co_u32 v18, vcc_lo, v16, s12
	v_add_co_ci_u32_e64 v19, null, s13, v17, vcc_lo
	s_clause 0x1
	flat_load_dword v17, v[16:17] offset:64
	flat_load_dword v16, v[18:19] offset:64
.LBB134_43:                             ;   in Loop: Header=BB134_34 Depth=1
	s_or_b32 exec_lo, exec_lo, s25
	s_waitcnt vmcnt(0) lgkmcnt(0)
	v_mov_b32_e32 v31, v17
	v_mov_b32_e32 v30, v16
.LBB134_44:                             ;   in Loop: Header=BB134_34 Depth=1
	ds_read_b64 v[18:19], v28
	v_cmp_ne_u32_e32 vcc_lo, 1, v23
	s_mov_b32 s25, -1
                                        ; implicit-def: $vgpr16_vgpr17
	s_cbranch_vccnz .LBB134_46
; %bb.45:                               ;   in Loop: Header=BB134_34 Depth=1
	v_add_co_u32 v16, vcc_lo, s18, v14
	v_add_co_ci_u32_e64 v17, null, s19, v15, vcc_lo
	s_mov_b32 s25, 0
	v_add_co_u32 v20, vcc_lo, v16, s12
	v_add_co_ci_u32_e64 v21, null, s13, v17, vcc_lo
	s_clause 0x1
	flat_load_dword v16, v[16:17] offset:128
	flat_load_dword v17, v[20:21] offset:128
.LBB134_46:                             ;   in Loop: Header=BB134_34 Depth=1
	s_andn2_b32 vcc_lo, exec_lo, s25
	s_cbranch_vccnz .LBB134_54
; %bb.47:                               ;   in Loop: Header=BB134_34 Depth=1
                                        ; implicit-def: $vgpr16_vgpr17
	s_and_saveexec_b32 s25, s2
	s_xor_b32 s25, exec_lo, s25
	s_cbranch_execz .LBB134_51
; %bb.48:                               ;   in Loop: Header=BB134_34 Depth=1
	s_waitcnt vmcnt(0) lgkmcnt(0)
	v_mov_b32_e32 v17, v9
	v_mov_b32_e32 v16, v8
	s_and_saveexec_b32 s28, s1
	s_cbranch_execz .LBB134_50
; %bb.49:                               ;   in Loop: Header=BB134_34 Depth=1
	v_add_co_u32 v16, vcc_lo, s18, v14
	v_add_co_ci_u32_e64 v17, null, s19, v15, vcc_lo
	flat_load_dword v16, v[16:17] offset:128
	v_mov_b32_e32 v17, v9
.LBB134_50:                             ;   in Loop: Header=BB134_34 Depth=1
	s_or_b32 exec_lo, exec_lo, s28
.LBB134_51:                             ;   in Loop: Header=BB134_34 Depth=1
	s_andn2_saveexec_b32 s25, s25
	s_cbranch_execz .LBB134_53
; %bb.52:                               ;   in Loop: Header=BB134_34 Depth=1
	s_waitcnt vmcnt(0) lgkmcnt(0)
	v_add_co_u32 v16, vcc_lo, s18, v14
	v_add_co_ci_u32_e64 v17, null, s19, v15, vcc_lo
	v_add_co_u32 v20, vcc_lo, v16, s12
	v_add_co_ci_u32_e64 v21, null, s13, v17, vcc_lo
	s_clause 0x1
	flat_load_dword v16, v[16:17] offset:128
	flat_load_dword v17, v[20:21] offset:128
.LBB134_53:                             ;   in Loop: Header=BB134_34 Depth=1
	s_or_b32 exec_lo, exec_lo, s25
.LBB134_54:                             ;   in Loop: Header=BB134_34 Depth=1
	s_add_u32 s26, s26, s4
	s_addc_u32 s27, s27, s5
	v_add_co_u32 v20, vcc_lo, s26, v10
	v_add_co_ci_u32_e64 v21, null, s27, v11, vcc_lo
	flat_load_dword v34, v[20:21]
	s_waitcnt lgkmcnt(1)
	v_fma_f32 v20, v8, v18, 0
	s_waitcnt vmcnt(2)
	v_fma_f32 v18, v31, v18, 0
	s_waitcnt vmcnt(0) lgkmcnt(0)
	s_barrier
	buffer_gl0_inv
	v_fmac_f32_e32 v20, v9, v19
	v_fmac_f32_e32 v18, v30, v19
	ds_write2_b32 v27, v20, v18 offset1:16
	s_waitcnt lgkmcnt(0)
	s_barrier
	buffer_gl0_inv
	s_and_saveexec_b32 s25, s0
	s_cbranch_execz .LBB134_58
; %bb.55:                               ;   in Loop: Header=BB134_34 Depth=1
	v_add_co_u32 v18, vcc_lo, v6, v4
	v_add_co_ci_u32_e64 v19, null, v7, v5, vcc_lo
	s_mov_b32 s28, 0
	flat_load_dword v21, v[18:19]
	ds_read2_b32 v[35:36], v26 offset1:32
	ds_read2_b32 v[37:38], v26 offset0:64 offset1:96
	ds_read2_b32 v[39:40], v26 offset0:128 offset1:160
	s_waitcnt lgkmcnt(2)
	v_add_f32_e32 v20, 0, v35
	v_add_f32_e32 v20, v20, v36
	ds_read2_b32 v[35:36], v26 offset0:192 offset1:224
	s_waitcnt lgkmcnt(2)
	v_add_f32_e32 v20, v20, v37
	v_add_f32_e32 v20, v20, v38
	ds_read2_b32 v[37:38], v32 offset1:32
	s_waitcnt lgkmcnt(2)
	v_add_f32_e32 v20, v20, v39
	v_add_f32_e32 v20, v20, v40
	ds_read2_b32 v[39:40], v32 offset0:64 offset1:96
	s_waitcnt lgkmcnt(2)
	v_add_f32_e32 v20, v20, v35
	v_add_f32_e32 v20, v20, v36
	ds_read2_b32 v[35:36], v32 offset0:128 offset1:160
	;; [unrolled: 4-line block ×3, first 2 shown]
	s_waitcnt lgkmcnt(2)
	v_add_f32_e32 v20, v20, v39
	v_add_f32_e32 v20, v20, v40
	s_waitcnt lgkmcnt(1)
	v_add_f32_e32 v20, v20, v35
	v_add_f32_e32 v20, v20, v36
	s_waitcnt lgkmcnt(0)
	v_add_f32_e32 v20, v20, v37
	v_add_f32_e32 v20, v20, v38
	v_mul_f32_e32 v35, s22, v20
.LBB134_56:                             ;   Parent Loop BB134_34 Depth=1
                                        ; =>  This Inner Loop Header: Depth=2
	s_waitcnt vmcnt(0)
	v_add_f32_e32 v20, v21, v35
	flat_atomic_cmpswap v20, v[18:19], v[20:21] glc
	s_waitcnt vmcnt(0) lgkmcnt(0)
	v_cmp_eq_u32_e32 vcc_lo, v20, v21
	v_mov_b32_e32 v21, v20
	s_or_b32 s28, vcc_lo, s28
	s_andn2_b32 exec_lo, exec_lo, s28
	s_cbranch_execnz .LBB134_56
; %bb.57:                               ;   in Loop: Header=BB134_34 Depth=1
	s_or_b32 exec_lo, exec_lo, s28
	v_add_co_u32 v6, vcc_lo, v6, s8
	v_add_co_ci_u32_e64 v7, null, s9, v7, vcc_lo
.LBB134_58:                             ;   in Loop: Header=BB134_34 Depth=1
	s_or_b32 exec_lo, exec_lo, s25
	v_fmac_f32_e32 v24, v29, v8
	v_fmac_f32_e32 v25, v29, v9
	s_add_u32 s18, s18, 0x80
	s_addc_u32 s19, s19, 0
	s_add_i32 s25, s15, 1
	v_fmac_f32_e32 v24, v33, v31
	v_fmac_f32_e32 v25, v33, v30
	s_cmp_eq_u32 s15, s14
	s_cbranch_scc1 .LBB134_61
; %bb.59:                               ;   in Loop: Header=BB134_34 Depth=1
	v_mov_b32_e32 v8, v16
	v_mov_b32_e32 v29, v34
	;; [unrolled: 1-line block ×5, first 2 shown]
	s_mov_b32 s15, s25
	s_branch .LBB134_34
.LBB134_60:
	v_mov_b32_e32 v6, s14
	s_waitcnt vmcnt(1)
	v_mov_b32_e32 v17, v9
	v_mov_b32_e32 v7, s15
	;; [unrolled: 1-line block ×6, first 2 shown]
	s_waitcnt vmcnt(0) lgkmcnt(0)
	v_mov_b32_e32 v34, v29
.LBB134_61:
	v_add_co_u32 v8, vcc_lo, s26, v12
	v_add_co_ci_u32_e64 v9, null, s27, v13, vcc_lo
	v_cmp_ne_u32_e32 vcc_lo, 1, v23
	flat_load_dword v8, v[8:9]
	s_cbranch_vccnz .LBB134_63
; %bb.62:
	v_lshlrev_b64 v[9:10], 2, v[2:3]
	s_lshl_b64 s[4:5], s[20:21], 2
	v_add_co_u32 v9, vcc_lo, s18, v9
	v_add_co_ci_u32_e64 v10, null, s19, v10, vcc_lo
	v_add_co_u32 v11, vcc_lo, v9, s4
	v_add_co_ci_u32_e64 v12, null, s5, v10, vcc_lo
	s_clause 0x1
	flat_load_dword v9, v[9:10] offset:64
	flat_load_dword v10, v[11:12] offset:64
	s_cbranch_execz .LBB134_64
	s_branch .LBB134_71
.LBB134_63:
                                        ; implicit-def: $vgpr10
                                        ; implicit-def: $vgpr9
.LBB134_64:
	s_and_saveexec_b32 s4, s2
	s_xor_b32 s2, exec_lo, s4
	s_cbranch_execz .LBB134_68
; %bb.65:
	s_and_saveexec_b32 s4, s1
	s_cbranch_execz .LBB134_67
; %bb.66:
	v_lshlrev_b64 v[2:3], 2, v[2:3]
	v_add_co_u32 v2, vcc_lo, s18, v2
	v_add_co_ci_u32_e64 v3, null, s19, v3, vcc_lo
	flat_load_dword v31, v[2:3] offset:64
.LBB134_67:
	s_or_b32 exec_lo, exec_lo, s4
                                        ; implicit-def: $vgpr2_vgpr3
.LBB134_68:
	s_andn2_saveexec_b32 s1, s2
	s_cbranch_execz .LBB134_70
; %bb.69:
	v_lshlrev_b64 v[2:3], 2, v[2:3]
	s_lshl_b64 s[4:5], s[20:21], 2
	v_add_co_u32 v2, vcc_lo, s18, v2
	v_add_co_ci_u32_e64 v3, null, s19, v3, vcc_lo
	s_waitcnt vmcnt(1) lgkmcnt(1)
	v_add_co_u32 v9, vcc_lo, v2, s4
	s_waitcnt vmcnt(0) lgkmcnt(0)
	v_add_co_ci_u32_e64 v10, null, s5, v3, vcc_lo
	s_clause 0x1
	flat_load_dword v31, v[2:3] offset:64
	flat_load_dword v30, v[9:10] offset:64
.LBB134_70:
	s_or_b32 exec_lo, exec_lo, s1
	s_waitcnt vmcnt(0) lgkmcnt(0)
	v_mov_b32_e32 v9, v31
	v_mov_b32_e32 v10, v30
.LBB134_71:
	ds_read_b64 v[2:3], v28
	v_fmac_f32_e32 v24, v34, v16
	v_fmac_f32_e32 v25, v34, v17
	s_waitcnt vmcnt(0) lgkmcnt(0)
	s_barrier
	buffer_gl0_inv
	v_fma_f32 v11, v16, v2, 0
	v_fma_f32 v2, v9, v2, 0
	v_fmac_f32_e32 v11, v17, v3
	v_fmac_f32_e32 v2, v10, v3
	ds_write2_b32 v27, v11, v2 offset1:16
	s_waitcnt lgkmcnt(0)
	s_barrier
	buffer_gl0_inv
	s_and_saveexec_b32 s1, s0
	s_cbranch_execz .LBB134_74
; %bb.72:
	v_add_co_u32 v2, vcc_lo, v6, v4
	v_add_co_ci_u32_e64 v3, null, v7, v5, vcc_lo
	v_add_nc_u32_e32 v15, 0x400, v26
	s_mov_b32 s2, 0
	flat_load_dword v5, v[2:3]
	ds_read2_b32 v[6:7], v26 offset1:32
	ds_read2_b32 v[11:12], v26 offset0:64 offset1:96
	ds_read2_b32 v[13:14], v26 offset0:128 offset1:160
	s_waitcnt lgkmcnt(2)
	v_add_f32_e32 v4, 0, v6
	v_add_f32_e32 v4, v4, v7
	ds_read2_b32 v[6:7], v26 offset0:192 offset1:224
	s_waitcnt lgkmcnt(2)
	v_add_f32_e32 v4, v4, v11
	v_add_f32_e32 v4, v4, v12
	ds_read2_b32 v[11:12], v15 offset1:32
	s_waitcnt lgkmcnt(2)
	v_add_f32_e32 v4, v4, v13
	v_add_f32_e32 v4, v4, v14
	ds_read2_b32 v[13:14], v15 offset0:64 offset1:96
	s_waitcnt lgkmcnt(2)
	v_add_f32_e32 v4, v4, v6
	v_add_f32_e32 v4, v4, v7
	ds_read2_b32 v[6:7], v15 offset0:128 offset1:160
	;; [unrolled: 4-line block ×3, first 2 shown]
	s_waitcnt lgkmcnt(2)
	v_add_f32_e32 v4, v4, v13
	v_add_f32_e32 v4, v4, v14
	s_waitcnt lgkmcnt(1)
	v_add_f32_e32 v4, v4, v6
	v_add_f32_e32 v4, v4, v7
	;; [unrolled: 3-line block ×3, first 2 shown]
	v_mul_f32_e32 v6, s22, v4
.LBB134_73:                             ; =>This Inner Loop Header: Depth=1
	s_waitcnt vmcnt(0)
	v_add_f32_e32 v4, v5, v6
	flat_atomic_cmpswap v4, v[2:3], v[4:5] glc
	s_waitcnt vmcnt(0) lgkmcnt(0)
	v_cmp_eq_u32_e32 vcc_lo, v4, v5
	v_mov_b32_e32 v5, v4
	s_or_b32 s2, vcc_lo, s2
	s_andn2_b32 exec_lo, exec_lo, s2
	s_cbranch_execnz .LBB134_73
.LBB134_74:
	s_or_b32 exec_lo, exec_lo, s1
	v_fmac_f32_e32 v24, v8, v9
	v_fmac_f32_e32 v25, v8, v10
	v_mov_b32_e32 v6, v22
.LBB134_75:
	v_lshl_add_u32 v2, v1, 2, v6
	v_add_nc_u32_e32 v2, 0x800, v2
	ds_write2_b32 v2, v24, v25 offset1:16
	s_waitcnt vmcnt(0) lgkmcnt(0)
	s_barrier
	buffer_gl0_inv
	s_and_saveexec_b32 s1, s0
	s_cbranch_execz .LBB134_79
; %bb.76:
	v_cmp_gt_i32_e32 vcc_lo, s24, v0
	s_cmp_lt_u32 s6, s23
	s_cselect_b32 s0, -1, 0
	s_or_b32 s0, vcc_lo, s0
	s_and_b32 exec_lo, exec_lo, s0
	s_cbranch_execz .LBB134_79
; %bb.77:
	v_mad_u64_u32 v[2:3], null, s10, v0, 0
	s_mul_i32 s0, s10, s17
	s_mul_hi_u32 s1, s10, s16
	s_mul_i32 s2, s11, s16
	s_add_i32 s1, s1, s0
	s_mul_i32 s0, s10, s16
	s_add_i32 s1, s1, s2
	v_mad_u64_u32 v[3:4], null, s11, v0, v[3:4]
	s_lshl_b64 s[0:1], s[0:1], 2
	v_add_nc_u32_e32 v4, 1, v0
	s_add_u32 s0, s7, s0
	s_addc_u32 s1, s3, s1
	v_add_nc_u32_e32 v6, 2, v0
	v_lshl_add_u32 v7, v0, 6, 0x800
	v_lshlrev_b64 v[2:3], 2, v[2:3]
	v_and_b32_e32 v4, 15, v4
	v_add_nc_u32_e32 v9, 3, v0
	v_and_b32_e32 v6, 15, v6
	v_lshl_or_b32 v8, v1, 2, v7
	v_add_nc_u32_e32 v10, 4, v0
	v_add_co_u32 v2, vcc_lo, s0, v2
	v_add_co_ci_u32_e64 v3, null, s1, v3, vcc_lo
	v_lshl_or_b32 v4, v4, 2, v7
	v_lshl_or_b32 v6, v6, 2, v7
	v_add_nc_u32_e32 v11, 5, v0
	flat_load_dword v5, v[2:3]
	ds_read_b32 v8, v8
	ds_read_b32 v4, v4
	;; [unrolled: 1-line block ×3, first 2 shown]
	v_add_nc_u32_e32 v12, 6, v0
	v_add_nc_u32_e32 v13, 7, v0
	v_and_b32_e32 v9, 15, v9
	v_and_b32_e32 v10, 15, v10
	;; [unrolled: 1-line block ×5, first 2 shown]
	v_lshl_or_b32 v9, v9, 2, v7
	v_lshl_or_b32 v10, v10, 2, v7
	;; [unrolled: 1-line block ×5, first 2 shown]
	ds_read_b32 v9, v9
	ds_read_b32 v10, v10
	;; [unrolled: 1-line block ×5, first 2 shown]
	v_xor_b32_e32 v1, 8, v1
	s_mov_b32 s0, 0
	s_waitcnt lgkmcnt(7)
	v_add_f32_e32 v8, 0, v8
	v_lshl_or_b32 v1, v1, 2, v7
	s_waitcnt lgkmcnt(6)
	v_add_f32_e32 v4, v8, v4
	v_add_nc_u32_e32 v8, 10, v0
	s_waitcnt lgkmcnt(5)
	v_add_f32_e32 v4, v4, v6
	v_add_nc_u32_e32 v6, 9, v0
	v_and_b32_e32 v8, 15, v8
	s_waitcnt lgkmcnt(4)
	v_add_f32_e32 v4, v4, v9
	v_and_b32_e32 v6, 15, v6
	v_lshl_or_b32 v8, v8, 2, v7
	v_add_nc_u32_e32 v9, 11, v0
	s_waitcnt lgkmcnt(3)
	v_add_f32_e32 v4, v4, v10
	v_lshl_or_b32 v6, v6, 2, v7
	v_add_nc_u32_e32 v10, 12, v0
	ds_read_b32 v1, v1
	ds_read_b32 v6, v6
	;; [unrolled: 1-line block ×3, first 2 shown]
	s_waitcnt lgkmcnt(5)
	v_add_f32_e32 v4, v4, v11
	v_add_nc_u32_e32 v11, 13, v0
	v_and_b32_e32 v9, 15, v9
	v_and_b32_e32 v10, 15, v10
	s_waitcnt lgkmcnt(4)
	v_add_f32_e32 v4, v4, v12
	v_add_nc_u32_e32 v12, 14, v0
	v_add_nc_u32_e32 v0, -1, v0
	v_and_b32_e32 v11, 15, v11
	v_lshl_or_b32 v9, v9, 2, v7
	s_waitcnt lgkmcnt(3)
	v_add_f32_e32 v4, v4, v13
	v_and_b32_e32 v12, 15, v12
	v_and_b32_e32 v0, 15, v0
	v_lshl_or_b32 v10, v10, 2, v7
	v_lshl_or_b32 v11, v11, 2, v7
	;; [unrolled: 1-line block ×4, first 2 shown]
	ds_read_b32 v7, v9
	ds_read_b32 v9, v10
	;; [unrolled: 1-line block ×5, first 2 shown]
	s_waitcnt lgkmcnt(7)
	v_add_f32_e32 v1, v4, v1
	s_waitcnt lgkmcnt(6)
	v_add_f32_e32 v1, v1, v6
	;; [unrolled: 2-line block ×8, first 2 shown]
	v_mul_f32_e32 v0, s22, v0
.LBB134_78:                             ; =>This Inner Loop Header: Depth=1
	s_waitcnt vmcnt(0)
	v_add_f32_e32 v4, v5, v0
	flat_atomic_cmpswap v1, v[2:3], v[4:5] glc
	s_waitcnt vmcnt(0) lgkmcnt(0)
	v_cmp_eq_u32_e32 vcc_lo, v1, v5
	v_mov_b32_e32 v5, v1
	s_or_b32 s0, vcc_lo, s0
	s_andn2_b32 exec_lo, exec_lo, s0
	s_cbranch_execnz .LBB134_78
.LBB134_79:
	s_endpgm
	.section	.rodata,"a",@progbits
	.p2align	6, 0x0
	.amdhsa_kernel _ZL62rocblas_symv_kernel_upper_double_buffered_non_diagonal_genericILi32ELi8ELi2ELi1E24rocblas_internal_val_ptrIfEPKPKfPKPfEvbiT3_lT4_lllSA_lllT5_lllii
		.amdhsa_group_segment_fixed_size 4224
		.amdhsa_private_segment_fixed_size 0
		.amdhsa_kernarg_size 384
		.amdhsa_user_sgpr_count 6
		.amdhsa_user_sgpr_private_segment_buffer 1
		.amdhsa_user_sgpr_dispatch_ptr 0
		.amdhsa_user_sgpr_queue_ptr 0
		.amdhsa_user_sgpr_kernarg_segment_ptr 1
		.amdhsa_user_sgpr_dispatch_id 0
		.amdhsa_user_sgpr_flat_scratch_init 0
		.amdhsa_user_sgpr_private_segment_size 0
		.amdhsa_wavefront_size32 1
		.amdhsa_uses_dynamic_stack 0
		.amdhsa_system_sgpr_private_segment_wavefront_offset 0
		.amdhsa_system_sgpr_workgroup_id_x 1
		.amdhsa_system_sgpr_workgroup_id_y 1
		.amdhsa_system_sgpr_workgroup_id_z 1
		.amdhsa_system_sgpr_workgroup_info 0
		.amdhsa_system_vgpr_workitem_id 1
		.amdhsa_next_free_vgpr 41
		.amdhsa_next_free_sgpr 29
		.amdhsa_reserve_vcc 1
		.amdhsa_reserve_flat_scratch 1
		.amdhsa_float_round_mode_32 0
		.amdhsa_float_round_mode_16_64 0
		.amdhsa_float_denorm_mode_32 3
		.amdhsa_float_denorm_mode_16_64 3
		.amdhsa_dx10_clamp 1
		.amdhsa_ieee_mode 1
		.amdhsa_fp16_overflow 0
		.amdhsa_workgroup_processor_mode 1
		.amdhsa_memory_ordered 1
		.amdhsa_forward_progress 1
		.amdhsa_shared_vgpr_count 0
		.amdhsa_exception_fp_ieee_invalid_op 0
		.amdhsa_exception_fp_denorm_src 0
		.amdhsa_exception_fp_ieee_div_zero 0
		.amdhsa_exception_fp_ieee_overflow 0
		.amdhsa_exception_fp_ieee_underflow 0
		.amdhsa_exception_fp_ieee_inexact 0
		.amdhsa_exception_int_div_zero 0
	.end_amdhsa_kernel
	.section	.text._ZL62rocblas_symv_kernel_upper_double_buffered_non_diagonal_genericILi32ELi8ELi2ELi1E24rocblas_internal_val_ptrIfEPKPKfPKPfEvbiT3_lT4_lllSA_lllT5_lllii,"axG",@progbits,_ZL62rocblas_symv_kernel_upper_double_buffered_non_diagonal_genericILi32ELi8ELi2ELi1E24rocblas_internal_val_ptrIfEPKPKfPKPfEvbiT3_lT4_lllSA_lllT5_lllii,comdat
.Lfunc_end134:
	.size	_ZL62rocblas_symv_kernel_upper_double_buffered_non_diagonal_genericILi32ELi8ELi2ELi1E24rocblas_internal_val_ptrIfEPKPKfPKPfEvbiT3_lT4_lllSA_lllT5_lllii, .Lfunc_end134-_ZL62rocblas_symv_kernel_upper_double_buffered_non_diagonal_genericILi32ELi8ELi2ELi1E24rocblas_internal_val_ptrIfEPKPKfPKPfEvbiT3_lT4_lllSA_lllT5_lllii
                                        ; -- End function
	.set _ZL62rocblas_symv_kernel_upper_double_buffered_non_diagonal_genericILi32ELi8ELi2ELi1E24rocblas_internal_val_ptrIfEPKPKfPKPfEvbiT3_lT4_lllSA_lllT5_lllii.num_vgpr, 41
	.set _ZL62rocblas_symv_kernel_upper_double_buffered_non_diagonal_genericILi32ELi8ELi2ELi1E24rocblas_internal_val_ptrIfEPKPKfPKPfEvbiT3_lT4_lllSA_lllT5_lllii.num_agpr, 0
	.set _ZL62rocblas_symv_kernel_upper_double_buffered_non_diagonal_genericILi32ELi8ELi2ELi1E24rocblas_internal_val_ptrIfEPKPKfPKPfEvbiT3_lT4_lllSA_lllT5_lllii.numbered_sgpr, 29
	.set _ZL62rocblas_symv_kernel_upper_double_buffered_non_diagonal_genericILi32ELi8ELi2ELi1E24rocblas_internal_val_ptrIfEPKPKfPKPfEvbiT3_lT4_lllSA_lllT5_lllii.num_named_barrier, 0
	.set _ZL62rocblas_symv_kernel_upper_double_buffered_non_diagonal_genericILi32ELi8ELi2ELi1E24rocblas_internal_val_ptrIfEPKPKfPKPfEvbiT3_lT4_lllSA_lllT5_lllii.private_seg_size, 0
	.set _ZL62rocblas_symv_kernel_upper_double_buffered_non_diagonal_genericILi32ELi8ELi2ELi1E24rocblas_internal_val_ptrIfEPKPKfPKPfEvbiT3_lT4_lllSA_lllT5_lllii.uses_vcc, 1
	.set _ZL62rocblas_symv_kernel_upper_double_buffered_non_diagonal_genericILi32ELi8ELi2ELi1E24rocblas_internal_val_ptrIfEPKPKfPKPfEvbiT3_lT4_lllSA_lllT5_lllii.uses_flat_scratch, 1
	.set _ZL62rocblas_symv_kernel_upper_double_buffered_non_diagonal_genericILi32ELi8ELi2ELi1E24rocblas_internal_val_ptrIfEPKPKfPKPfEvbiT3_lT4_lllSA_lllT5_lllii.has_dyn_sized_stack, 0
	.set _ZL62rocblas_symv_kernel_upper_double_buffered_non_diagonal_genericILi32ELi8ELi2ELi1E24rocblas_internal_val_ptrIfEPKPKfPKPfEvbiT3_lT4_lllSA_lllT5_lllii.has_recursion, 0
	.set _ZL62rocblas_symv_kernel_upper_double_buffered_non_diagonal_genericILi32ELi8ELi2ELi1E24rocblas_internal_val_ptrIfEPKPKfPKPfEvbiT3_lT4_lllSA_lllT5_lllii.has_indirect_call, 0
	.section	.AMDGPU.csdata,"",@progbits
; Kernel info:
; codeLenInByte = 3752
; TotalNumSgprs: 31
; NumVgprs: 41
; ScratchSize: 0
; MemoryBound: 0
; FloatMode: 240
; IeeeMode: 1
; LDSByteSize: 4224 bytes/workgroup (compile time only)
; SGPRBlocks: 0
; VGPRBlocks: 5
; NumSGPRsForWavesPerEU: 31
; NumVGPRsForWavesPerEU: 41
; Occupancy: 16
; WaveLimiterHint : 1
; COMPUTE_PGM_RSRC2:SCRATCH_EN: 0
; COMPUTE_PGM_RSRC2:USER_SGPR: 6
; COMPUTE_PGM_RSRC2:TRAP_HANDLER: 0
; COMPUTE_PGM_RSRC2:TGID_X_EN: 1
; COMPUTE_PGM_RSRC2:TGID_Y_EN: 1
; COMPUTE_PGM_RSRC2:TGID_Z_EN: 1
; COMPUTE_PGM_RSRC2:TIDIG_COMP_CNT: 1
	.section	.text._ZL26rocblas_hemvn_kernel_upperILb0ELi64ELi4ELi33ELi32ELi16ElPKfPKS1_PfEviT6_lT7_lT5_lS6_lS7_lS5_lT8_i,"axG",@progbits,_ZL26rocblas_hemvn_kernel_upperILb0ELi64ELi4ELi33ELi32ELi16ElPKfPKS1_PfEviT6_lT7_lT5_lS6_lS7_lS5_lT8_i,comdat
	.globl	_ZL26rocblas_hemvn_kernel_upperILb0ELi64ELi4ELi33ELi32ELi16ElPKfPKS1_PfEviT6_lT7_lT5_lS6_lS7_lS5_lT8_i ; -- Begin function _ZL26rocblas_hemvn_kernel_upperILb0ELi64ELi4ELi33ELi32ELi16ElPKfPKS1_PfEviT6_lT7_lT5_lS6_lS7_lS5_lT8_i
	.p2align	8
	.type	_ZL26rocblas_hemvn_kernel_upperILb0ELi64ELi4ELi33ELi32ELi16ElPKfPKS1_PfEviT6_lT7_lT5_lS6_lS7_lS5_lT8_i,@function
_ZL26rocblas_hemvn_kernel_upperILb0ELi64ELi4ELi33ELi32ELi16ElPKfPKS1_PfEviT6_lT7_lT5_lS6_lS7_lS5_lT8_i: ; @_ZL26rocblas_hemvn_kernel_upperILb0ELi64ELi4ELi33ELi32ELi16ElPKfPKS1_PfEviT6_lT7_lT5_lS6_lS7_lS5_lT8_i
; %bb.0:
	s_load_dwordx2 s[2:3], s[4:5], 0x84
	s_add_u32 s0, s4, 0x78
	s_mov_b32 s18, s7
	s_addc_u32 s1, s5, 0
	s_waitcnt lgkmcnt(0)
	s_lshr_b32 s7, s2, 16
	s_and_b32 s2, s2, 0xffff
	s_and_b32 s3, s3, 0xffff
	s_mul_i32 s2, s7, s2
	s_mul_i32 s2, s2, s3
	s_cmpk_lg_i32 s2, 0x100
	s_cbranch_scc1 .LBB135_4
; %bb.1:
	s_clause 0x1
	s_load_dwordx8 s[8:15], s[4:5], 0x8
	s_load_dwordx4 s[20:23], s[4:5], 0x58
	s_mov_b32 s19, 0
	s_waitcnt lgkmcnt(0)
	s_mul_i32 s3, s11, s18
	s_mul_hi_u32 s7, s10, s18
	s_mul_i32 s2, s10, s18
	s_add_i32 s3, s7, s3
	s_mul_i32 s7, s23, s18
	s_lshl_b64 s[2:3], s[2:3], 2
	s_mul_hi_u32 s10, s22, s18
	s_add_u32 s2, s8, s2
	s_addc_u32 s3, s9, s3
	s_add_i32 s9, s10, s7
	s_mul_i32 s8, s22, s18
	s_lshl_b64 s[8:9], s[8:9], 2
	s_add_u32 s8, s20, s8
	s_addc_u32 s9, s21, s9
	s_load_dword s2, s[2:3], 0x0
	s_load_dword s3, s[8:9], 0x0
	s_waitcnt lgkmcnt(0)
	v_cmp_eq_f32_e64 s2, s2, 0
	v_cmp_eq_f32_e64 s3, s3, 1.0
	s_and_b32 s3, s2, s3
	s_and_b32 vcc_lo, exec_lo, s3
	s_cbranch_vccnz .LBB135_4
; %bb.2:
	s_and_b32 vcc_lo, exec_lo, s2
	s_cbranch_vccz .LBB135_5
; %bb.3:
	s_cbranch_execz .LBB135_6
.LBB135_4:
	s_endpgm
.LBB135_5:
.LBB135_6:
	s_clause 0x1
	s_load_dwordx4 s[20:23], s[4:5], 0x38
	s_load_dword s26, s[4:5], 0x0
	s_lshl_b64 s[2:3], s[18:19], 3
	s_load_dwordx2 s[8:9], s[4:5], 0x48
	s_add_u32 s10, s12, s2
	s_addc_u32 s11, s13, s3
	s_load_dword s19, s[0:1], 0x0
	s_waitcnt lgkmcnt(0)
	s_add_u32 s2, s20, s2
	s_addc_u32 s3, s21, s3
	s_lshl_b64 s[12:13], s[22:23], 2
	s_load_dwordx2 s[2:3], s[2:3], 0x0
	s_waitcnt lgkmcnt(0)
	s_add_u32 s7, s2, s12
	s_addc_u32 s13, s3, s13
	s_lshl_b32 s12, s6, 6
	s_clause 0x1
	s_load_dwordx2 s[16:17], s[4:5], 0x28
	s_load_dwordx2 s[20:21], s[4:5], 0x68
	s_load_dwordx2 s[2:3], s[10:11], 0x0
	v_add_nc_u32_e32 v18, s12, v0
	s_ashr_i32 s27, s26, 31
	s_add_i32 s1, s19, -1
	s_lshr_b32 s0, s27, 26
	v_ashrrev_i32_e32 v19, 31, v18
	v_mul_lo_u32 v4, s9, v18
	v_mad_u64_u32 v[2:3], null, s8, v18, 0
	s_add_i32 s0, s26, s0
	v_mul_lo_u32 v5, s8, v19
	s_andn2_b32 s0, s0, 63
	s_sub_i32 s24, s26, s0
	v_cmp_eq_u32_e64 s0, 0, v1
	s_cmp_eq_u32 s6, s1
	s_cselect_b32 s10, s24, 0
	v_add3_u32 v3, v3, v5, v4
	v_lshlrev_b64 v[2:3], 2, v[2:3]
	v_add_co_u32 v8, vcc_lo, s7, v2
	v_add_co_ci_u32_e64 v9, null, s13, v3, vcc_lo
	s_and_saveexec_b32 s1, s0
	s_cbranch_execz .LBB135_10
; %bb.7:
	v_cmp_gt_i32_e32 vcc_lo, s10, v0
	s_cmp_eq_u32 s10, 0
	v_mov_b32_e32 v2, 0
	s_cselect_b32 s4, -1, 0
	s_or_b32 s5, s4, vcc_lo
	s_and_saveexec_b32 s4, s5
	s_cbranch_execz .LBB135_9
; %bb.8:
	flat_load_dword v2, v[8:9]
.LBB135_9:
	s_or_b32 exec_lo, exec_lo, s4
	v_lshlrev_b32_e32 v3, 2, v0
	s_waitcnt vmcnt(0) lgkmcnt(0)
	ds_write_b32 v3, v2 offset:4544
.LBB135_10:
	s_or_b32 exec_lo, exec_lo, s1
	v_lshl_add_u32 v14, v1, 6, v0
	v_and_b32_e32 v2, 31, v0
	v_mov_b32_e32 v3, 0
	s_lshl_b64 s[4:5], s[14:15], 2
	s_waitcnt lgkmcnt(0)
	s_mul_hi_u32 s1, s16, s12
	v_lshrrev_b32_e32 v15, 5, v14
	s_add_u32 s11, s2, s4
	s_addc_u32 s3, s3, s5
	s_ashr_i32 s13, s12, 31
	s_mul_i32 s7, s17, s12
	v_mad_u64_u32 v[4:5], null, s16, v15, v[2:3]
	s_lshl_b64 s[4:5], s[12:13], 2
	s_mul_i32 s14, s16, s13
	s_add_u32 s4, s11, s4
	s_addc_u32 s5, s3, s5
	s_add_i32 s1, s1, s14
	s_mul_i32 s2, s16, s12
	v_mad_u64_u32 v[5:6], null, s17, v15, v[5:6]
	s_add_i32 s3, s1, s7
	v_cmp_gt_i32_e64 s1, s10, v2
	s_lshl_b64 s[2:3], s[2:3], 2
	s_cmp_eq_u32 s10, 0
	v_lshlrev_b32_e32 v16, 2, v2
	s_cselect_b32 s25, -1, 0
	v_lshlrev_b64 v[6:7], 2, v[4:5]
	s_cmp_lg_u32 s10, 0
	s_cselect_b32 s28, -1, 0
	v_add_co_u32 v4, vcc_lo, s4, v6
	v_add_co_ci_u32_e64 v5, null, s5, v7, vcc_lo
	s_and_b32 vcc_lo, exec_lo, s28
	v_add_co_u32 v10, s2, v4, s2
	v_add_co_ci_u32_e64 v11, null, s3, v5, s2
	s_cbranch_vccz .LBB135_20
; %bb.11:
	v_sub_co_u32 v4, vcc_lo, v10, v16
	s_ashr_i32 s11, s10, 31
	v_subrev_co_ci_u32_e64 v5, null, 0, v11, vcc_lo
	s_lshl_b64 s[2:3], s[10:11], 2
	s_mov_b32 s4, exec_lo
	v_add_co_u32 v4, vcc_lo, v4, s2
	v_add_co_ci_u32_e64 v5, null, s3, v5, vcc_lo
	v_add_co_u32 v4, vcc_lo, v4, -4
	v_add_co_ci_u32_e64 v5, null, -1, v5, vcc_lo
	v_cndmask_b32_e64 v4, v4, v10, s1
	v_cndmask_b32_e64 v5, v5, v11, s1
	v_cmpx_gt_i32_e64 s10, v15
	s_cbranch_execz .LBB135_13
; %bb.12:
	flat_load_dword v3, v[4:5]
.LBB135_13:
	s_or_b32 exec_lo, exec_lo, s4
	v_lshlrev_b32_e32 v12, 2, v2
	v_add_nc_u32_e32 v13, 8, v15
	v_mul_u32_u24_e32 v17, 0x84, v15
	v_mov_b32_e32 v20, 0
	v_mad_u32_u24 v21, 0x84, v15, v12
	v_cmp_gt_i32_e32 vcc_lo, s10, v13
	v_mov_b32_e32 v13, 0
	s_waitcnt vmcnt(0) lgkmcnt(0)
	ds_write_b32 v21, v3
	s_and_saveexec_b32 s4, vcc_lo
	s_cbranch_execz .LBB135_15
; %bb.14:
	s_lshl_b64 s[14:15], s[16:17], 5
	v_add_co_u32 v20, vcc_lo, v4, s14
	v_add_co_ci_u32_e64 v21, null, s15, v5, vcc_lo
	flat_load_dword v20, v[20:21]
.LBB135_15:
	s_or_b32 exec_lo, exec_lo, s4
	v_add_nc_u32_e32 v3, 16, v15
	v_add_nc_u32_e32 v12, v17, v12
	s_mov_b32 s4, exec_lo
	s_waitcnt vmcnt(0) lgkmcnt(0)
	ds_write_b32 v12, v20 offset:1056
	v_cmpx_gt_i32_e64 s10, v3
	s_cbranch_execz .LBB135_17
; %bb.16:
	s_lshl_b64 s[14:15], s[16:17], 6
	v_add_co_u32 v20, vcc_lo, v4, s14
	v_add_co_ci_u32_e64 v21, null, s15, v5, vcc_lo
	flat_load_dword v13, v[20:21]
.LBB135_17:
	s_or_b32 exec_lo, exec_lo, s4
	v_add_nc_u32_e32 v3, 24, v15
	v_mov_b32_e32 v17, 0
	s_mov_b32 s4, exec_lo
	s_waitcnt vmcnt(0) lgkmcnt(0)
	ds_write_b32 v12, v13 offset:2112
	v_cmpx_gt_i32_e64 s10, v3
	s_cbranch_execz .LBB135_19
; %bb.18:
	v_mad_u64_u32 v[20:21], null, 0x60, s16, v[4:5]
	v_mov_b32_e32 v3, v21
	v_mad_u64_u32 v[21:22], null, 0x60, s17, v[3:4]
	flat_load_dword v17, v[20:21]
.LBB135_19:
	s_or_b32 exec_lo, exec_lo, s4
	v_add_co_u32 v3, vcc_lo, v4, v16
	v_add_co_ci_u32_e64 v4, null, 0, v5, vcc_lo
	s_waitcnt vmcnt(0) lgkmcnt(0)
	ds_write_b32 v12, v17 offset:3168
	v_sub_co_u32 v3, vcc_lo, v3, s2
	v_subrev_co_ci_u32_e64 v4, null, s3, v4, vcc_lo
	v_add_co_u32 v3, vcc_lo, v3, 4
	v_add_co_ci_u32_e64 v4, null, 0, v4, vcc_lo
	v_cndmask_b32_e64 v3, v3, v10, s1
	v_cndmask_b32_e64 v4, v4, v11, s1
	v_mul_u32_u24_e32 v22, 0x84, v15
	s_branch .LBB135_22
.LBB135_20:
                                        ; implicit-def: $vgpr3_vgpr4
	v_mul_u32_u24_e32 v22, 0x84, v15
	s_cbranch_execz .LBB135_22
; %bb.21:
	s_lshl_b64 s[2:3], s[16:17], 5
	v_add_co_u32 v3, vcc_lo, v10, s2
	v_add_co_ci_u32_e64 v4, null, s3, v11, vcc_lo
	v_add_co_u32 v12, vcc_lo, v3, s2
	v_add_co_ci_u32_e64 v13, null, s3, v4, vcc_lo
	;; [unrolled: 2-line block ×3, first 2 shown]
	s_clause 0x3
	flat_load_dword v5, v[10:11]
	flat_load_dword v17, v[3:4]
	;; [unrolled: 1-line block ×4, first 2 shown]
	v_mov_b32_e32 v3, v10
	v_lshl_add_u32 v20, v2, 2, v22
	v_mov_b32_e32 v4, v11
	s_waitcnt vmcnt(3) lgkmcnt(3)
	ds_write_b32 v20, v5
	s_waitcnt vmcnt(2) lgkmcnt(3)
	ds_write_b32 v20, v17 offset:1056
	s_waitcnt vmcnt(1) lgkmcnt(3)
	ds_write_b32 v20, v12 offset:2112
	;; [unrolled: 2-line block ×3, first 2 shown]
.LBB135_22:
	v_lshlrev_b32_e32 v23, 2, v2
	v_lshlrev_b32_e32 v5, 2, v15
	s_waitcnt lgkmcnt(0)
	s_barrier
	buffer_gl0_inv
	v_lshl_or_b32 v10, v2, 7, v23
	v_cmp_gt_u32_e64 s2, v5, v2
	v_lshl_add_u32 v12, v5, 2, v10
	v_mad_u32_u24 v10, 0x210, v15, v23
	s_and_saveexec_b32 s1, s2
	s_cbranch_execz .LBB135_24
; %bb.23:
	ds_read_b32 v11, v10
	s_waitcnt lgkmcnt(0)
	ds_write_b32 v12, v11
.LBB135_24:
	s_or_b32 exec_lo, exec_lo, s1
	v_or_b32_e32 v25, 1, v5
	v_cmp_ge_u32_e64 s3, v5, v2
	v_mad_u32_u24 v11, 0x84, v25, v23
	s_and_saveexec_b32 s1, s3
	s_cbranch_execz .LBB135_26
; %bb.25:
	ds_read_b32 v13, v11
	s_waitcnt lgkmcnt(0)
	ds_write_b32 v12, v13 offset:4
.LBB135_26:
	s_or_b32 exec_lo, exec_lo, s1
	v_or_b32_e32 v13, 2, v5
	v_cmp_gt_u32_e64 s4, v13, v2
	s_and_saveexec_b32 s1, s4
	s_cbranch_execz .LBB135_28
; %bb.27:
	v_mad_u32_u24 v13, 0x84, v13, v23
	ds_read_b32 v13, v13
	s_waitcnt lgkmcnt(0)
	ds_write_b32 v12, v13 offset:8
.LBB135_28:
	s_or_b32 exec_lo, exec_lo, s1
	v_or_b32_e32 v17, 3, v5
	s_mov_b32 s1, exec_lo
	v_cmp_gt_u32_e64 s5, v17, v2
	v_mul_u32_u24_e32 v13, 0x84, v17
	v_cmpx_le_u32_e64 v17, v2
	s_xor_b32 s1, exec_lo, s1
; %bb.29:
	v_mul_u32_u24_e32 v13, 0x84, v17
                                        ; implicit-def: $vgpr17
                                        ; implicit-def: $vgpr12
; %bb.30:
	s_andn2_saveexec_b32 s1, s1
	s_cbranch_execz .LBB135_32
; %bb.31:
	v_mad_u32_u24 v17, 0x84, v17, v23
	ds_read_b32 v17, v17
	s_waitcnt lgkmcnt(0)
	ds_write_b32 v12, v17 offset:12
.LBB135_32:
	s_or_b32 exec_lo, exec_lo, s1
	v_lshlrev_b32_e32 v27, 2, v5
	s_waitcnt lgkmcnt(0)
	s_barrier
	buffer_gl0_inv
	ds_read_b32 v12, v10
	ds_read_b128 v[28:31], v27 offset:4544
	ds_read2_b32 v[10:11], v11 offset1:33
	v_add_nc_u32_e32 v21, v23, v13
	v_mul_u32_u24_e32 v17, 33, v2
	v_mov_b32_e32 v32, 0
	v_cmp_gt_u32_e64 s1, 32, v14
	ds_read_b32 v13, v21
	v_lshlrev_b32_e32 v17, 2, v17
	s_waitcnt lgkmcnt(0)
	s_barrier
	buffer_gl0_inv
	v_lshl_add_u32 v20, v15, 2, v17
	v_fma_f32 v12, v12, v28, 0
	v_fmac_f32_e32 v12, v10, v29
	v_fmac_f32_e32 v12, v11, v30
	;; [unrolled: 1-line block ×3, first 2 shown]
	ds_write_b32 v20, v12
	s_waitcnt lgkmcnt(0)
	s_barrier
	buffer_gl0_inv
	s_and_saveexec_b32 s7, s1
	s_cbranch_execz .LBB135_34
; %bb.33:
	ds_read2_b32 v[10:11], v17 offset1:1
	ds_read2_b32 v[12:13], v17 offset0:2 offset1:3
	ds_read2_b32 v[28:29], v17 offset0:4 offset1:5
	;; [unrolled: 1-line block ×3, first 2 shown]
	s_waitcnt lgkmcnt(3)
	v_add_f32_e32 v10, v10, v11
	s_waitcnt lgkmcnt(2)
	v_add_f32_e32 v10, v10, v12
	v_add_f32_e32 v10, v10, v13
	s_waitcnt lgkmcnt(1)
	v_add_f32_e32 v10, v10, v28
	;; [unrolled: 3-line block ×3, first 2 shown]
	v_add_f32_e32 v32, v10, v31
.LBB135_34:
	s_or_b32 exec_lo, exec_lo, s7
	s_lshl_b64 s[14:15], s[16:17], 7
	v_add_co_u32 v10, vcc_lo, v3, s14
	v_add_co_ci_u32_e64 v11, null, s15, v4, vcc_lo
	s_lshl_b64 s[14:15], s[16:17], 5
	v_add_co_u32 v3, vcc_lo, 0x80, v10
	v_add_co_ci_u32_e64 v4, null, 0, v11, vcc_lo
	s_and_b32 vcc_lo, exec_lo, s28
	s_barrier
	buffer_gl0_inv
	s_cbranch_vccz .LBB135_44
; %bb.35:
	v_sub_co_u32 v12, vcc_lo, v10, v16
	s_ashr_i32 s11, s10, 31
	v_subrev_co_ci_u32_e64 v13, null, 0, v11, vcc_lo
	s_lshl_b64 s[22:23], s[10:11], 2
	v_or_b32_e32 v24, 32, v2
	v_add_co_u32 v12, vcc_lo, v12, s22
	v_add_co_ci_u32_e64 v13, null, s23, v13, vcc_lo
	v_mov_b32_e32 v28, 0
	v_add_co_u32 v12, vcc_lo, v12, -4
	v_add_co_ci_u32_e64 v13, null, -1, v13, vcc_lo
	v_cmp_gt_i32_e32 vcc_lo, s10, v24
	v_mov_b32_e32 v24, 0
	s_sub_i32 s11, s10, 32
	s_mov_b32 s29, exec_lo
	v_cndmask_b32_e32 v13, v13, v4, vcc_lo
	v_cndmask_b32_e32 v12, v12, v3, vcc_lo
	v_cmpx_gt_i32_e64 s11, v15
	s_cbranch_execz .LBB135_37
; %bb.36:
	flat_load_dword v24, v[12:13]
.LBB135_37:
	s_or_b32 exec_lo, exec_lo, s29
	v_add_nc_u32_e32 v26, 8, v15
	v_mad_u32_u24 v29, 0x84, v15, v23
	s_mov_b32 s29, exec_lo
	s_waitcnt vmcnt(0) lgkmcnt(0)
	ds_write_b32 v29, v24
	v_cmpx_gt_i32_e64 s11, v26
	s_cbranch_execz .LBB135_39
; %bb.38:
	v_add_co_u32 v28, s7, v12, s14
	v_add_co_ci_u32_e64 v29, null, s15, v13, s7
	flat_load_dword v28, v[28:29]
.LBB135_39:
	s_or_b32 exec_lo, exec_lo, s29
	v_add_nc_u32_e32 v29, 16, v15
	v_add_nc_u32_e32 v24, v22, v23
	v_mov_b32_e32 v26, 0
	v_cmp_gt_i32_e64 s7, s11, v29
	v_mov_b32_e32 v29, 0
	s_waitcnt vmcnt(0) lgkmcnt(0)
	ds_write_b32 v24, v28 offset:1056
	s_and_saveexec_b32 s29, s7
	s_cbranch_execz .LBB135_41
; %bb.40:
	s_lshl_b64 s[30:31], s[16:17], 6
	v_add_co_u32 v28, s7, v12, s30
	v_add_co_ci_u32_e64 v29, null, s31, v13, s7
	flat_load_dword v29, v[28:29]
.LBB135_41:
	s_or_b32 exec_lo, exec_lo, s29
	v_add_nc_u32_e32 v28, 24, v15
	s_waitcnt vmcnt(0) lgkmcnt(0)
	ds_write_b32 v24, v29 offset:2112
	v_cmp_gt_i32_e64 s7, s11, v28
	s_and_saveexec_b32 s11, s7
	s_cbranch_execz .LBB135_43
; %bb.42:
	v_mad_u64_u32 v[28:29], null, 0x60, s16, v[12:13]
	v_mov_b32_e32 v26, v29
	v_mad_u64_u32 v[29:30], null, 0x60, s17, v[26:27]
	flat_load_dword v26, v[28:29]
.LBB135_43:
	s_or_b32 exec_lo, exec_lo, s11
	v_add_co_u32 v12, s7, v12, v16
	v_add_co_ci_u32_e64 v13, null, 0, v13, s7
	s_waitcnt vmcnt(0) lgkmcnt(0)
	ds_write_b32 v24, v26 offset:3168
	v_sub_co_u32 v12, s7, v12, s22
	v_subrev_co_ci_u32_e64 v13, null, s23, v13, s7
	v_add_co_u32 v12, s7, 0x84, v12
	v_add_co_ci_u32_e64 v13, null, 0, v13, s7
	v_cndmask_b32_e32 v12, v12, v3, vcc_lo
	v_cndmask_b32_e32 v13, v13, v4, vcc_lo
	v_mul_u32_u24_e32 v26, 0x210, v15
	v_mad_u32_u24 v24, 0x84, v15, v23
	s_branch .LBB135_46
.LBB135_44:
                                        ; implicit-def: $vgpr12_vgpr13
	v_mul_u32_u24_e32 v26, 0x210, v15
	v_mad_u32_u24 v24, 0x84, v15, v23
	s_cbranch_execz .LBB135_46
; %bb.45:
	v_add_co_u32 v12, vcc_lo, v10, s14
	v_add_co_ci_u32_e64 v13, null, s15, v11, vcc_lo
	v_add_co_u32 v28, vcc_lo, v12, s14
	v_add_co_ci_u32_e64 v29, null, s15, v13, vcc_lo
	;; [unrolled: 2-line block ×3, first 2 shown]
	s_clause 0x3
	flat_load_dword v10, v[10:11] offset:128
	flat_load_dword v11, v[12:13] offset:128
	;; [unrolled: 1-line block ×4, first 2 shown]
	v_mov_b32_e32 v13, v4
	v_mov_b32_e32 v12, v3
	s_waitcnt vmcnt(3) lgkmcnt(3)
	ds_write_b32 v24, v10
	s_waitcnt vmcnt(2) lgkmcnt(3)
	ds_write_b32 v24, v11 offset:1056
	s_waitcnt vmcnt(1) lgkmcnt(3)
	ds_write_b32 v24, v28 offset:2112
	;; [unrolled: 2-line block ×3, first 2 shown]
.LBB135_46:
	v_mul_u32_u24_e32 v4, 0x84, v25
	v_add_nc_u32_e32 v25, v23, v26
	v_lshl_add_u32 v3, v5, 2, v17
	s_waitcnt lgkmcnt(0)
	s_barrier
	buffer_gl0_inv
	s_and_saveexec_b32 s7, s2
	s_cbranch_execz .LBB135_50
; %bb.47:
	ds_read_b32 v10, v25
	s_waitcnt lgkmcnt(0)
	ds_write_b32 v3, v10
	s_or_b32 exec_lo, exec_lo, s7
	v_add_nc_u32_e32 v26, v23, v4
	s_and_saveexec_b32 s2, s3
	s_cbranch_execnz .LBB135_51
.LBB135_48:
	s_or_b32 exec_lo, exec_lo, s2
	s_and_saveexec_b32 s2, s4
	s_cbranch_execz .LBB135_52
.LBB135_49:
	ds_read_b32 v4, v26 offset:132
	s_waitcnt lgkmcnt(0)
	ds_write_b32 v3, v4 offset:8
	s_or_b32 exec_lo, exec_lo, s2
	v_add_nc_u32_e32 v27, 0x11c0, v27
	s_and_saveexec_b32 s2, s5
	s_cbranch_execnz .LBB135_53
	s_branch .LBB135_54
.LBB135_50:
	s_or_b32 exec_lo, exec_lo, s7
	v_add_nc_u32_e32 v26, v23, v4
	s_and_saveexec_b32 s2, s3
	s_cbranch_execz .LBB135_48
.LBB135_51:
	ds_read_b32 v4, v26
	s_waitcnt lgkmcnt(0)
	ds_write_b32 v3, v4 offset:4
	s_or_b32 exec_lo, exec_lo, s2
	s_and_saveexec_b32 s2, s4
	s_cbranch_execnz .LBB135_49
.LBB135_52:
	s_or_b32 exec_lo, exec_lo, s2
	v_add_nc_u32_e32 v27, 0x11c0, v27
	s_and_saveexec_b32 s2, s5
	s_cbranch_execz .LBB135_54
.LBB135_53:
	ds_read_b32 v4, v21
	s_waitcnt lgkmcnt(0)
	ds_write_b32 v3, v4 offset:12
.LBB135_54:
	s_or_b32 exec_lo, exec_lo, s2
	s_waitcnt lgkmcnt(0)
	s_barrier
	buffer_gl0_inv
	ds_read_b32 v10, v25
	ds_read_b128 v[28:31], v27 offset:128
	ds_read2_b32 v[3:4], v26 offset1:33
	ds_read_b32 v11, v21
	v_cmp_eq_u32_e64 s2, 1, v15
	s_waitcnt lgkmcnt(0)
	s_barrier
	buffer_gl0_inv
	v_fma_f32 v10, v10, v28, 0
	v_fmac_f32_e32 v10, v3, v29
	v_fmac_f32_e32 v10, v4, v30
	;; [unrolled: 1-line block ×3, first 2 shown]
	ds_write_b32 v20, v10
	s_waitcnt lgkmcnt(0)
	s_barrier
	buffer_gl0_inv
	s_and_saveexec_b32 s3, s2
	s_cbranch_execz .LBB135_56
; %bb.55:
	ds_read2_b32 v[3:4], v17 offset1:1
	ds_read2_b32 v[10:11], v17 offset0:2 offset1:3
	ds_read2_b32 v[28:29], v17 offset0:4 offset1:5
	;; [unrolled: 1-line block ×3, first 2 shown]
	s_waitcnt lgkmcnt(3)
	v_add_f32_e32 v3, v3, v4
	s_waitcnt lgkmcnt(2)
	v_add_f32_e32 v3, v3, v10
	v_add_f32_e32 v3, v3, v11
	s_waitcnt lgkmcnt(1)
	v_add_f32_e32 v3, v3, v28
	;; [unrolled: 3-line block ×3, first 2 shown]
	v_add_f32_e32 v32, v3, v31
.LBB135_56:
	s_or_b32 exec_lo, exec_lo, s3
	v_add_co_u32 v3, vcc_lo, 0xffffff80, v12
	v_add_co_ci_u32_e64 v4, null, -1, v13, vcc_lo
	s_and_b32 vcc_lo, exec_lo, s28
	s_barrier
	buffer_gl0_inv
	s_cbranch_vccz .LBB135_66
; %bb.57:
	v_sub_co_u32 v10, vcc_lo, v3, v16
	s_ashr_i32 s11, s10, 31
	v_subrev_co_ci_u32_e64 v11, null, 0, v4, vcc_lo
	s_lshl_b64 s[4:5], s[10:11], 2
	v_mov_b32_e32 v13, 0
	v_add_co_u32 v10, vcc_lo, v10, s4
	v_add_co_ci_u32_e64 v11, null, s5, v11, vcc_lo
	v_mov_b32_e32 v12, 0
	v_add_co_u32 v10, vcc_lo, v10, -4
	v_add_co_ci_u32_e64 v11, null, -1, v11, vcc_lo
	v_cmp_gt_i32_e32 vcc_lo, s10, v2
	s_sub_i32 s7, s10, 32
	s_mov_b32 s11, exec_lo
	v_cndmask_b32_e32 v11, v11, v4, vcc_lo
	v_cndmask_b32_e32 v10, v10, v3, vcc_lo
	v_cmpx_gt_i32_e64 s7, v15
	s_cbranch_execz .LBB135_59
; %bb.58:
	flat_load_dword v12, v[10:11]
.LBB135_59:
	s_or_b32 exec_lo, exec_lo, s11
	v_add_nc_u32_e32 v2, 8, v15
	s_mov_b32 s11, exec_lo
	s_waitcnt vmcnt(0) lgkmcnt(0)
	ds_write_b32 v24, v12
	v_cmpx_gt_i32_e64 s7, v2
	s_cbranch_execz .LBB135_61
; %bb.60:
	v_add_co_u32 v12, s3, v10, s14
	v_add_co_ci_u32_e64 v13, null, s15, v11, s3
	flat_load_dword v13, v[12:13]
.LBB135_61:
	s_or_b32 exec_lo, exec_lo, s11
	v_add_nc_u32_e32 v12, 16, v15
	v_add_nc_u32_e32 v22, v22, v23
	v_mov_b32_e32 v23, 0
	v_mov_b32_e32 v28, 0
	s_mov_b32 s11, exec_lo
	s_waitcnt vmcnt(0) lgkmcnt(0)
	ds_write_b32 v22, v13 offset:1056
	v_cmpx_gt_i32_e64 s7, v12
	s_cbranch_execz .LBB135_63
; %bb.62:
	s_lshl_b64 s[22:23], s[16:17], 6
	v_add_co_u32 v28, s3, v10, s22
	v_add_co_ci_u32_e64 v29, null, s23, v11, s3
	flat_load_dword v28, v[28:29]
.LBB135_63:
	s_or_b32 exec_lo, exec_lo, s11
	v_add_nc_u32_e32 v13, 24, v15
	s_waitcnt vmcnt(0) lgkmcnt(0)
	ds_write_b32 v22, v28 offset:2112
	v_cmp_gt_i32_e64 s3, s7, v13
	s_and_saveexec_b32 s7, s3
	s_cbranch_execz .LBB135_65
; %bb.64:
	v_mad_u64_u32 v[28:29], null, 0x60, s16, v[10:11]
	v_mov_b32_e32 v23, v29
	v_mad_u64_u32 v[29:30], null, 0x60, s17, v[23:24]
	flat_load_dword v23, v[28:29]
.LBB135_65:
	s_or_b32 exec_lo, exec_lo, s7
	v_add_co_u32 v10, s3, v10, v16
	v_add_co_ci_u32_e64 v11, null, 0, v11, s3
	s_waitcnt vmcnt(0) lgkmcnt(0)
	ds_write_b32 v22, v23 offset:3168
	v_sub_co_u32 v10, s3, v10, s4
	v_subrev_co_ci_u32_e64 v11, null, s5, v11, s3
	v_add_co_u32 v10, s3, v10, 4
	v_add_co_ci_u32_e64 v11, null, 0, v11, s3
	v_cndmask_b32_e32 v10, v10, v3, vcc_lo
	v_cndmask_b32_e32 v11, v11, v4, vcc_lo
	s_branch .LBB135_68
.LBB135_66:
                                        ; implicit-def: $vgpr10_vgpr11
                                        ; implicit-def: $vgpr2
                                        ; implicit-def: $vgpr12
                                        ; implicit-def: $vgpr13
	s_cbranch_execz .LBB135_68
; %bb.67:
	v_add_co_u32 v10, vcc_lo, v3, s14
	v_add_co_ci_u32_e64 v11, null, s15, v4, vcc_lo
	v_add_nc_u32_e32 v2, 8, v15
	v_add_co_u32 v12, vcc_lo, v10, s14
	v_add_co_ci_u32_e64 v13, null, s15, v11, vcc_lo
	v_add_co_u32 v22, vcc_lo, v12, s14
	v_add_co_ci_u32_e64 v23, null, s15, v13, vcc_lo
	s_clause 0x3
	flat_load_dword v16, v[3:4]
	flat_load_dword v28, v[10:11]
	;; [unrolled: 1-line block ×4, first 2 shown]
	v_mov_b32_e32 v11, v4
	v_add_nc_u32_e32 v12, 16, v15
	v_add_nc_u32_e32 v13, 24, v15
	v_mov_b32_e32 v10, v3
	s_waitcnt vmcnt(3) lgkmcnt(3)
	ds_write_b32 v24, v16
	s_waitcnt vmcnt(2) lgkmcnt(3)
	ds_write_b32 v24, v28 offset:1056
	s_waitcnt vmcnt(1) lgkmcnt(3)
	ds_write_b32 v24, v29 offset:2112
	;; [unrolled: 2-line block ×3, first 2 shown]
.LBB135_68:
	v_lshlrev_b32_e32 v2, 2, v2
	v_add_nc_u32_e32 v3, v17, v5
	v_lshlrev_b32_e32 v12, 2, v12
	v_lshlrev_b32_e32 v13, 2, v13
	s_waitcnt lgkmcnt(0)
	v_add_nc_u32_e32 v4, v17, v2
	s_barrier
	buffer_gl0_inv
	ds_read_b32 v22, v5 offset:4544
	ds_read_b32 v23, v3
	ds_read_b32 v24, v4
	;; [unrolled: 1-line block ×3, first 2 shown]
	ds_read_b32 v25, v13 offset:4544
	ds_read_b32 v28, v12 offset:4544
	;; [unrolled: 1-line block ×3, first 2 shown]
	v_add_nc_u32_e32 v2, v17, v12
	v_add_nc_u32_e32 v3, v17, v13
	ds_read_b32 v30, v2
	ds_read_b32 v31, v3
	ds_read_b128 v[2:5], v27 offset:128
	ds_read_b32 v16, v21
	ds_read2_b32 v[12:13], v26 offset1:33
	s_waitcnt lgkmcnt(0)
	s_barrier
	buffer_gl0_inv
	v_fma_f32 v21, v23, v22, 0
	v_fmac_f32_e32 v21, v24, v29
	v_fmac_f32_e32 v21, v30, v28
	;; [unrolled: 1-line block ×3, first 2 shown]
	ds_write_b32 v20, v21
	s_waitcnt lgkmcnt(0)
	s_barrier
	buffer_gl0_inv
	s_and_saveexec_b32 s3, s2
	s_cbranch_execz .LBB135_70
; %bb.69:
	ds_read2_b32 v[21:22], v17 offset1:1
	ds_read2_b32 v[23:24], v17 offset0:2 offset1:3
	ds_read2_b32 v[25:26], v17 offset0:4 offset1:5
	;; [unrolled: 1-line block ×3, first 2 shown]
	s_waitcnt lgkmcnt(3)
	v_add_f32_e32 v21, v32, v21
	v_add_f32_e32 v21, v21, v22
	s_waitcnt lgkmcnt(2)
	v_add_f32_e32 v21, v21, v23
	v_add_f32_e32 v21, v21, v24
	;; [unrolled: 3-line block ×4, first 2 shown]
.LBB135_70:
	s_or_b32 exec_lo, exec_lo, s3
	v_fma_f32 v2, v15, v2, 0
	s_barrier
	buffer_gl0_inv
	v_fmac_f32_e32 v2, v12, v3
	v_fmac_f32_e32 v2, v13, v4
	;; [unrolled: 1-line block ×3, first 2 shown]
	ds_write_b32 v20, v2
	s_waitcnt lgkmcnt(0)
	s_barrier
	buffer_gl0_inv
	s_and_saveexec_b32 s2, s1
	s_cbranch_execz .LBB135_72
; %bb.71:
	ds_read2_b32 v[2:3], v17 offset1:1
	ds_read2_b32 v[4:5], v17 offset0:2 offset1:3
	ds_read2_b32 v[12:13], v17 offset0:4 offset1:5
	;; [unrolled: 1-line block ×3, first 2 shown]
	s_waitcnt lgkmcnt(3)
	v_add_f32_e32 v2, v32, v2
	v_add_f32_e32 v2, v2, v3
	s_waitcnt lgkmcnt(2)
	v_add_f32_e32 v2, v2, v4
	v_add_f32_e32 v2, v2, v5
	;; [unrolled: 3-line block ×4, first 2 shown]
.LBB135_72:
	s_or_b32 exec_lo, exec_lo, s2
	s_mul_hi_u32 s1, s26, s18
	s_mul_i32 s27, s27, s18
	s_mul_i32 s2, s26, s18
	s_add_i32 s1, s1, s27
	s_mul_hi_u32 s3, s2, s19
	s_mul_i32 s1, s1, s19
	s_mul_i32 s2, s2, s19
	s_add_i32 s3, s3, s1
	s_mul_hi_i32 s5, s26, s6
	s_lshl_b64 s[2:3], s[2:3], 2
	s_mul_i32 s4, s26, s6
	s_add_u32 s1, s20, s2
	s_addc_u32 s2, s21, s3
	s_lshl_b64 s[4:5], s[4:5], 2
	v_lshlrev_b32_e32 v33, 2, v0
	s_add_u32 s3, s1, s4
	s_addc_u32 s7, s2, s5
	s_add_i32 s1, s6, 1
	s_cmp_ge_u32 s1, s19
	s_barrier
	buffer_gl0_inv
	s_cbranch_scc1 .LBB135_129
; %bb.73:
	v_lshlrev_b32_e32 v34, 2, v1
	s_lshl_b64 s[14:15], s[14:15], 2
	s_mul_i32 s1, s8, s13
	s_mul_hi_u32 s2, s8, s12
	s_mul_i32 s5, s9, s12
	v_mad_u64_u32 v[2:3], null, s16, v34, 0
	s_add_i32 s1, s2, s1
	s_mul_i32 s4, s8, s12
	s_add_i32 s5, s1, s5
	v_lshlrev_b32_e32 v17, 4, v1
	s_lshl_b64 s[4:5], s[4:5], 2
	v_lshrrev_b32_e32 v12, 2, v14
	v_mad_u64_u32 v[3:4], null, s17, v34, v[3:4]
	v_add_co_u32 v4, vcc_lo, v10, s14
	v_add_co_ci_u32_e64 v13, null, s15, v11, vcc_lo
	v_and_b32_e32 v5, 15, v0
	v_sub_co_u32 v4, vcc_lo, v4, v6
	v_lshlrev_b64 v[2:3], 2, v[2:3]
	v_sub_co_ci_u32_e64 v13, null, v13, v7, vcc_lo
	v_sub_co_u32 v38, vcc_lo, v8, s4
	v_subrev_co_ci_u32_e64 v39, null, s5, v9, vcc_lo
	v_add_co_u32 v40, vcc_lo, v4, v2
	v_and_b32_e32 v2, 48, v0
	v_add_nc_u32_e32 v8, 0x88, v17
	v_and_b32_e32 v21, 0x7ff0, v14
	v_and_b32_e32 v4, 0x1ffc, v12
	v_or_b32_e32 v12, 60, v33
	v_lshlrev_b32_e32 v9, 2, v2
	v_cmp_gt_u32_e64 s1, 64, v14
	v_add_nc_u32_e32 v14, 0x8c, v17
	v_add_nc_u32_e32 v15, 0x84, v17
	v_add_co_ci_u32_e64 v41, null, v13, v3, vcc_lo
	v_mul_u32_u24_e32 v20, 0x10c, v5
	v_mad_u64_u32 v[2:3], null, s16, v8, 0
	v_mad_u32_u24 v42, 0x10c, v5, v4
	v_mad_u32_u24 v43, 0x10c, v5, v9
	;; [unrolled: 1-line block ×3, first 2 shown]
	v_mad_u64_u32 v[4:5], null, s16, v14, 0
	v_mad_u64_u32 v[12:13], null, s16, v15, 0
	v_sub_co_u32 v22, vcc_lo, v2, v6
	v_add_nc_u32_e32 v16, 0xc8, v17
	v_add_nc_u32_e32 v28, 0xc0, v17
	v_mad_u64_u32 v[8:9], null, s17, v8, v[3:4]
	v_mov_b32_e32 v3, v5
	v_mov_b32_e32 v2, v13
	v_add_nc_u32_e32 v48, 0x104, v17
	v_add_nc_u32_e32 v49, 0x100, v17
	;; [unrolled: 1-line block ×4, first 2 shown]
	v_sub_co_ci_u32_e64 v23, null, v8, v7, vcc_lo
	v_mad_u64_u32 v[8:9], null, s17, v14, v[3:4]
	v_mad_u64_u32 v[13:14], null, s16, v16, 0
	;; [unrolled: 1-line block ×3, first 2 shown]
	v_add_nc_u32_e32 v15, 0xcc, v17
	v_sub_co_u32 v24, vcc_lo, v4, v6
	v_sub_co_ci_u32_e64 v25, null, v8, v7, vcc_lo
	v_mad_u64_u32 v[4:5], null, s16, v15, 0
	v_mov_b32_e32 v3, v14
	v_sub_co_u32 v26, vcc_lo, v12, v6
	v_sub_co_ci_u32_e64 v27, null, v2, v7, vcc_lo
	v_add_nc_u32_e32 v12, 0xc4, v17
	v_mad_u64_u32 v[2:3], null, s17, v16, v[3:4]
	v_mov_b32_e32 v3, v5
	v_sub_co_u32 v29, vcc_lo, v13, v6
	v_mad_u64_u32 v[8:9], null, s16, v12, 0
	v_mad_u64_u32 v[14:15], null, s17, v15, v[3:4]
	;; [unrolled: 1-line block ×3, first 2 shown]
	v_sub_co_ci_u32_e64 v30, null, v2, v7, vcc_lo
	v_mov_b32_e32 v2, v9
	v_add_nc_u32_e32 v9, 0x108, v17
	v_sub_co_u32 v31, vcc_lo, v4, v6
	v_mov_b32_e32 v3, v16
	v_sub_co_ci_u32_e64 v65, null, v14, v7, vcc_lo
	v_add_nc_u32_e32 v14, 0x10c, v17
	v_sub_co_u32 v16, vcc_lo, v8, v6
	v_mad_u64_u32 v[4:5], null, s17, v12, v[2:3]
	v_mad_u64_u32 v[12:13], null, s16, v9, 0
	v_mad_u32_u24 v36, 0x430, v1, v33
	v_or_b32_e32 v45, 1, v34
	v_or_b32_e32 v46, 2, v34
	;; [unrolled: 1-line block ×3, first 2 shown]
	v_mad_u64_u32 v[2:3], null, s17, v28, v[3:4]
	v_sub_co_ci_u32_e64 v28, null, v4, v7, vcc_lo
	v_mad_u64_u32 v[4:5], null, s16, v14, 0
	v_mov_b32_e32 v3, v13
	v_sub_co_u32 v68, vcc_lo, v15, v6
	v_sub_co_ci_u32_e64 v69, null, v2, v7, vcc_lo
	v_sub_co_u32 v70, vcc_lo, v12, v6
	v_mad_u64_u32 v[2:3], null, s17, v9, v[3:4]
	v_mov_b32_e32 v3, v5
	v_mad_u64_u32 v[8:9], null, s16, v48, 0
	v_add_nc_u32_e32 v50, 18, v34
	v_add_nc_u32_e32 v51, 19, v34
	v_mad_u64_u32 v[13:14], null, s17, v14, v[3:4]
	v_mad_u64_u32 v[14:15], null, s16, v49, 0
	v_sub_co_ci_u32_e64 v71, null, v2, v7, vcc_lo
	v_mov_b32_e32 v2, v9
	v_add_nc_u32_e32 v9, 0x148, v17
	v_sub_co_u32 v72, vcc_lo, v4, v6
	v_mov_b32_e32 v3, v15
	v_sub_co_ci_u32_e64 v73, null, v13, v7, vcc_lo
	v_mad_u64_u32 v[12:13], null, s16, v9, 0
	v_mad_u64_u32 v[4:5], null, s17, v48, v[2:3]
	v_add_nc_u32_e32 v15, 0x14c, v17
	v_sub_co_u32 v74, vcc_lo, v8, v6
	v_add_nc_u32_e32 v48, 16, v34
	v_add_nc_u32_e32 v52, 32, v34
	v_add_nc_u32_e32 v53, 33, v34
	v_mad_u64_u32 v[2:3], null, s17, v49, v[3:4]
	v_sub_co_ci_u32_e64 v75, null, v4, v7, vcc_lo
	v_mad_u64_u32 v[4:5], null, s16, v15, 0
	v_mov_b32_e32 v3, v13
	v_sub_co_u32 v76, vcc_lo, v14, v6
	v_sub_co_ci_u32_e64 v77, null, v2, v7, vcc_lo
	v_add_nc_u32_e32 v49, 0x144, v17
	v_mad_u64_u32 v[2:3], null, s17, v9, v[3:4]
	v_mov_b32_e32 v3, v5
	v_add_nc_u32_e32 v17, 0x140, v17
	v_mad_u64_u32 v[8:9], null, s16, v49, 0
	v_sub_co_u32 v12, vcc_lo, v12, v6
	v_mad_u64_u32 v[13:14], null, s17, v15, v[3:4]
	v_mad_u64_u32 v[14:15], null, s16, v17, 0
	v_sub_co_ci_u32_e64 v79, null, v2, v7, vcc_lo
	v_mov_b32_e32 v2, v9
	v_sub_co_u32 v9, vcc_lo, v4, v6
	v_sub_co_ci_u32_e64 v13, null, v13, v7, vcc_lo
	v_mov_b32_e32 v3, v15
	v_add_nc_u32_e32 v54, 34, v34
	v_add_nc_u32_e32 v55, 35, v34
	;; [unrolled: 1-line block ×4, first 2 shown]
	v_mad_u64_u32 v[4:5], null, s17, v49, v[2:3]
	v_add_nc_u32_e32 v49, 17, v34
	v_add_nc_u32_e32 v88, v20, v21
	;; [unrolled: 1-line block ×4, first 2 shown]
	s_add_i32 s11, s19, -2
	s_add_i32 s12, s12, 64
	v_mad_u64_u32 v[2:3], null, s17, v17, v[3:4]
	v_sub_co_u32 v3, vcc_lo, v8, v6
	v_sub_co_ci_u32_e64 v4, null, v4, v7, vcc_lo
	v_sub_co_u32 v5, vcc_lo, v14, v6
	v_sub_co_ci_u32_e64 v2, null, v2, v7, vcc_lo
	v_add_co_u32 v56, vcc_lo, v10, v22
	v_add_co_ci_u32_e64 v57, null, v11, v23, vcc_lo
	v_add_co_u32 v58, vcc_lo, v10, v24
	v_add_co_ci_u32_e64 v59, null, v11, v25, vcc_lo
	;; [unrolled: 2-line block ×15, first 2 shown]
	s_lshl_b64 s[4:5], s[16:17], 8
	s_cmp_eq_u32 s11, s6
	s_cselect_b32 s13, s24, 0
	s_and_saveexec_b32 s2, s0
	s_cbranch_execz .LBB135_78
	s_branch .LBB135_75
.LBB135_74:                             ;   in Loop: Header=BB135_78 Depth=1
	s_mov_b32 s6, s2
	s_cmp_eq_u32 s11, s6
	s_cselect_b32 s13, s24, 0
	s_and_saveexec_b32 s2, s0
	s_cbranch_execz .LBB135_78
.LBB135_75:
	v_cmp_gt_i32_e32 vcc_lo, s13, v0
	s_cmp_eq_u32 s13, 0
	v_mov_b32_e32 v2, 0
	s_cselect_b32 s14, -1, 0
	s_or_b32 s15, s14, vcc_lo
	s_and_saveexec_b32 s14, s15
	s_cbranch_execz .LBB135_77
; %bb.76:
	s_ashr_i32 s15, s12, 31
	s_mul_hi_u32 s16, s8, s12
	s_mul_i32 s15, s8, s15
	s_mul_i32 s17, s9, s12
	s_add_i32 s15, s16, s15
	s_mul_i32 s16, s8, s12
	s_add_i32 s17, s15, s17
	s_lshl_b64 s[16:17], s[16:17], 2
	v_add_co_u32 v2, vcc_lo, v38, s16
	v_add_co_ci_u32_e64 v3, null, s17, v39, vcc_lo
	flat_load_dword v2, v[2:3]
.LBB135_77:
	s_or_b32 exec_lo, exec_lo, s14
	v_add_nc_u32_e32 v3, 0x10c0, v33
	s_waitcnt vmcnt(0) lgkmcnt(0)
	ds_write_b32 v3, v2
.LBB135_78:                             ; =>This Inner Loop Header: Depth=1
	s_or_b32 exec_lo, exec_lo, s2
	s_cmp_eq_u32 s13, 0
	v_add_co_u32 v2, vcc_lo, v40, v33
	s_cselect_b32 s14, -1, 0
	s_cmp_lg_u32 s13, 0
	v_add_co_ci_u32_e64 v3, null, 0, v41, vcc_lo
	s_cselect_b32 s2, -1, 0
	s_mov_b32 s15, -1
	s_and_b32 vcc_lo, exec_lo, s2
	s_waitcnt lgkmcnt(0)
	s_barrier
	buffer_gl0_inv
                                        ; implicit-def: $vgpr92
                                        ; implicit-def: $vgpr93
                                        ; implicit-def: $vgpr91
                                        ; implicit-def: $vgpr94
	s_cbranch_vccz .LBB135_88
; %bb.79:                               ;   in Loop: Header=BB135_78 Depth=1
	v_mov_b32_e32 v91, 0
	v_mov_b32_e32 v94, 0
	s_mov_b32 s15, exec_lo
	v_cmpx_gt_i32_e64 s13, v34
	s_cbranch_execz .LBB135_81
; %bb.80:                               ;   in Loop: Header=BB135_78 Depth=1
	flat_load_dword v94, v[2:3]
.LBB135_81:                             ;   in Loop: Header=BB135_78 Depth=1
	s_or_b32 exec_lo, exec_lo, s15
	s_mov_b32 s15, exec_lo
	v_cmpx_gt_i32_e64 s13, v45
	s_cbranch_execz .LBB135_83
; %bb.82:                               ;   in Loop: Header=BB135_78 Depth=1
	v_add_co_u32 v4, vcc_lo, v60, v33
	v_add_co_ci_u32_e64 v5, null, 0, v61, vcc_lo
	flat_load_dword v91, v[4:5]
.LBB135_83:                             ;   in Loop: Header=BB135_78 Depth=1
	s_or_b32 exec_lo, exec_lo, s15
	v_mov_b32_e32 v92, 0
	v_mov_b32_e32 v93, 0
	s_mov_b32 s15, exec_lo
	v_cmpx_gt_i32_e64 s13, v46
	s_cbranch_execz .LBB135_85
; %bb.84:                               ;   in Loop: Header=BB135_78 Depth=1
	v_add_co_u32 v4, vcc_lo, v56, v33
	v_add_co_ci_u32_e64 v5, null, 0, v57, vcc_lo
	flat_load_dword v93, v[4:5]
.LBB135_85:                             ;   in Loop: Header=BB135_78 Depth=1
	s_or_b32 exec_lo, exec_lo, s15
	s_mov_b32 s15, exec_lo
	v_cmpx_gt_i32_e64 s13, v47
	s_cbranch_execz .LBB135_87
; %bb.86:                               ;   in Loop: Header=BB135_78 Depth=1
	v_add_co_u32 v4, vcc_lo, v58, v33
	v_add_co_ci_u32_e64 v5, null, 0, v59, vcc_lo
	flat_load_dword v92, v[4:5]
.LBB135_87:                             ;   in Loop: Header=BB135_78 Depth=1
	s_or_b32 exec_lo, exec_lo, s15
	s_mov_b32 s15, 0
.LBB135_88:                             ;   in Loop: Header=BB135_78 Depth=1
	s_and_b32 vcc_lo, exec_lo, s15
	s_cbranch_vccz .LBB135_90
; %bb.89:                               ;   in Loop: Header=BB135_78 Depth=1
	v_add_co_u32 v4, vcc_lo, v60, v33
	v_add_co_ci_u32_e64 v5, null, 0, v61, vcc_lo
	v_add_co_u32 v6, vcc_lo, v56, v33
	v_add_co_ci_u32_e64 v7, null, 0, v57, vcc_lo
	;; [unrolled: 2-line block ×3, first 2 shown]
	s_waitcnt vmcnt(0) lgkmcnt(0)
	flat_load_dword v94, v[2:3]
	flat_load_dword v91, v[4:5]
	;; [unrolled: 1-line block ×4, first 2 shown]
.LBB135_90:                             ;   in Loop: Header=BB135_78 Depth=1
	ds_read_b32 v6, v35
	ds_read_b128 v[2:5], v37
	v_cndmask_b32_e64 v14, 0, 1, s2
                                        ; implicit-def: $vgpr97
                                        ; implicit-def: $vgpr98
                                        ; implicit-def: $vgpr95
                                        ; implicit-def: $vgpr96
	s_waitcnt vmcnt(0) lgkmcnt(1)
	v_mul_f32_e32 v7, v94, v6
	v_mul_f32_e32 v8, v91, v6
	;; [unrolled: 1-line block ×4, first 2 shown]
	ds_write2_b32 v36, v7, v8 offset1:67
	ds_write2_b32 v36, v9, v6 offset0:134 offset1:201
	s_waitcnt lgkmcnt(0)
	s_barrier
	buffer_gl0_inv
	ds_read2_b32 v[22:23], v88 offset1:1
	ds_read2_b32 v[20:21], v88 offset0:2 offset1:3
	v_add_co_u32 v6, vcc_lo, v68, v33
	v_add_co_ci_u32_e64 v7, null, 0, v69, vcc_lo
	s_andn2_b32 vcc_lo, exec_lo, s2
	s_mov_b32 s2, -1
	s_waitcnt lgkmcnt(0)
	s_barrier
	buffer_gl0_inv
	s_cbranch_vccnz .LBB135_100
; %bb.91:                               ;   in Loop: Header=BB135_78 Depth=1
	v_mov_b32_e32 v95, 0
	v_mov_b32_e32 v96, 0
	s_mov_b32 s2, exec_lo
	v_cmpx_gt_i32_e64 s13, v48
	s_cbranch_execz .LBB135_93
; %bb.92:                               ;   in Loop: Header=BB135_78 Depth=1
	flat_load_dword v96, v[6:7]
.LBB135_93:                             ;   in Loop: Header=BB135_78 Depth=1
	s_or_b32 exec_lo, exec_lo, s2
	s_mov_b32 s2, exec_lo
	v_cmpx_gt_i32_e64 s13, v49
	s_cbranch_execz .LBB135_95
; %bb.94:                               ;   in Loop: Header=BB135_78 Depth=1
	v_add_co_u32 v8, vcc_lo, v66, v33
	v_add_co_ci_u32_e64 v9, null, 0, v67, vcc_lo
	flat_load_dword v95, v[8:9]
.LBB135_95:                             ;   in Loop: Header=BB135_78 Depth=1
	s_or_b32 exec_lo, exec_lo, s2
	v_mov_b32_e32 v97, 0
	v_mov_b32_e32 v98, 0
	s_mov_b32 s2, exec_lo
	v_cmpx_gt_i32_e64 s13, v50
	s_cbranch_execz .LBB135_97
; %bb.96:                               ;   in Loop: Header=BB135_78 Depth=1
	v_add_co_u32 v8, vcc_lo, v62, v33
	v_add_co_ci_u32_e64 v9, null, 0, v63, vcc_lo
	flat_load_dword v98, v[8:9]
.LBB135_97:                             ;   in Loop: Header=BB135_78 Depth=1
	s_or_b32 exec_lo, exec_lo, s2
	s_mov_b32 s2, exec_lo
	v_cmpx_gt_i32_e64 s13, v51
	s_cbranch_execz .LBB135_99
; %bb.98:                               ;   in Loop: Header=BB135_78 Depth=1
	v_add_co_u32 v8, vcc_lo, v64, v33
	v_add_co_ci_u32_e64 v9, null, 0, v65, vcc_lo
	flat_load_dword v97, v[8:9]
.LBB135_99:                             ;   in Loop: Header=BB135_78 Depth=1
	s_or_b32 exec_lo, exec_lo, s2
	s_mov_b32 s2, 0
.LBB135_100:                            ;   in Loop: Header=BB135_78 Depth=1
	s_and_b32 vcc_lo, exec_lo, s2
	s_cbranch_vccz .LBB135_102
; %bb.101:                              ;   in Loop: Header=BB135_78 Depth=1
	v_add_co_u32 v8, vcc_lo, v66, v33
	v_add_co_ci_u32_e64 v9, null, 0, v67, vcc_lo
	v_add_co_u32 v10, vcc_lo, v62, v33
	v_add_co_ci_u32_e64 v11, null, 0, v63, vcc_lo
	;; [unrolled: 2-line block ×3, first 2 shown]
	s_waitcnt vmcnt(0) lgkmcnt(0)
	flat_load_dword v96, v[6:7]
	flat_load_dword v95, v[8:9]
	;; [unrolled: 1-line block ×4, first 2 shown]
.LBB135_102:                            ;   in Loop: Header=BB135_78 Depth=1
	ds_read_b32 v10, v35
	ds_read_b128 v[6:9], v37 offset:64
	v_cmp_ne_u32_e32 vcc_lo, 1, v14
                                        ; implicit-def: $vgpr101
                                        ; implicit-def: $vgpr102
                                        ; implicit-def: $vgpr99
                                        ; implicit-def: $vgpr100
	s_and_b32 vcc_lo, exec_lo, vcc_lo
	s_waitcnt vmcnt(0) lgkmcnt(1)
	v_mul_f32_e32 v11, v96, v10
	v_mul_f32_e32 v12, v95, v10
	;; [unrolled: 1-line block ×4, first 2 shown]
	ds_write2_b32 v36, v11, v12 offset1:67
	ds_write2_b32 v36, v13, v10 offset0:134 offset1:201
	s_waitcnt lgkmcnt(0)
	s_barrier
	buffer_gl0_inv
	ds_read2_b32 v[26:27], v88 offset1:1
	ds_read2_b32 v[24:25], v88 offset0:2 offset1:3
	v_add_co_u32 v10, s2, v76, v33
	v_add_co_ci_u32_e64 v11, null, 0, v77, s2
	s_mov_b32 s2, -1
	s_waitcnt lgkmcnt(0)
	s_barrier
	buffer_gl0_inv
	s_cbranch_vccnz .LBB135_112
; %bb.103:                              ;   in Loop: Header=BB135_78 Depth=1
	v_mov_b32_e32 v99, 0
	v_mov_b32_e32 v100, 0
	s_mov_b32 s2, exec_lo
	v_cmpx_gt_i32_e64 s13, v52
	s_cbranch_execz .LBB135_105
; %bb.104:                              ;   in Loop: Header=BB135_78 Depth=1
	flat_load_dword v100, v[10:11]
.LBB135_105:                            ;   in Loop: Header=BB135_78 Depth=1
	s_or_b32 exec_lo, exec_lo, s2
	s_mov_b32 s2, exec_lo
	v_cmpx_gt_i32_e64 s13, v53
	s_cbranch_execz .LBB135_107
; %bb.106:                              ;   in Loop: Header=BB135_78 Depth=1
	v_add_co_u32 v12, vcc_lo, v74, v33
	v_add_co_ci_u32_e64 v13, null, 0, v75, vcc_lo
	flat_load_dword v99, v[12:13]
.LBB135_107:                            ;   in Loop: Header=BB135_78 Depth=1
	s_or_b32 exec_lo, exec_lo, s2
	v_mov_b32_e32 v101, 0
	v_mov_b32_e32 v102, 0
	s_mov_b32 s2, exec_lo
	v_cmpx_gt_i32_e64 s13, v54
	s_cbranch_execz .LBB135_109
; %bb.108:                              ;   in Loop: Header=BB135_78 Depth=1
	v_add_co_u32 v12, vcc_lo, v70, v33
	v_add_co_ci_u32_e64 v13, null, 0, v71, vcc_lo
	flat_load_dword v102, v[12:13]
.LBB135_109:                            ;   in Loop: Header=BB135_78 Depth=1
	s_or_b32 exec_lo, exec_lo, s2
	s_mov_b32 s2, exec_lo
	v_cmpx_gt_i32_e64 s13, v55
	s_cbranch_execz .LBB135_111
; %bb.110:                              ;   in Loop: Header=BB135_78 Depth=1
	v_add_co_u32 v12, vcc_lo, v72, v33
	v_add_co_ci_u32_e64 v13, null, 0, v73, vcc_lo
	flat_load_dword v101, v[12:13]
.LBB135_111:                            ;   in Loop: Header=BB135_78 Depth=1
	s_or_b32 exec_lo, exec_lo, s2
	s_mov_b32 s2, 0
.LBB135_112:                            ;   in Loop: Header=BB135_78 Depth=1
	s_and_b32 vcc_lo, exec_lo, s2
	s_cbranch_vccz .LBB135_114
; %bb.113:                              ;   in Loop: Header=BB135_78 Depth=1
	v_add_co_u32 v12, vcc_lo, v74, v33
	v_add_co_ci_u32_e64 v13, null, 0, v75, vcc_lo
	v_add_co_u32 v15, vcc_lo, v70, v33
	v_add_co_ci_u32_e64 v16, null, 0, v71, vcc_lo
	;; [unrolled: 2-line block ×3, first 2 shown]
	s_waitcnt vmcnt(0) lgkmcnt(0)
	flat_load_dword v100, v[10:11]
	flat_load_dword v99, v[12:13]
	;; [unrolled: 1-line block ×4, first 2 shown]
.LBB135_114:                            ;   in Loop: Header=BB135_78 Depth=1
	ds_read_b32 v15, v35
	ds_read_b128 v[10:13], v37 offset:128
	v_cmp_ne_u32_e32 vcc_lo, 1, v14
	v_add_co_u32 v14, s2, v84, v33
                                        ; implicit-def: $vgpr105
                                        ; implicit-def: $vgpr106
                                        ; implicit-def: $vgpr103
                                        ; implicit-def: $vgpr104
	s_and_b32 vcc_lo, exec_lo, vcc_lo
	s_waitcnt vmcnt(0) lgkmcnt(1)
	v_mul_f32_e32 v16, v100, v15
	v_mul_f32_e32 v17, v99, v15
	;; [unrolled: 1-line block ×4, first 2 shown]
	ds_write2_b32 v36, v16, v17 offset1:67
	ds_write2_b32 v36, v28, v15 offset0:134 offset1:201
	s_waitcnt lgkmcnt(0)
	s_barrier
	buffer_gl0_inv
	ds_read2_b32 v[30:31], v88 offset1:1
	ds_read2_b32 v[28:29], v88 offset0:2 offset1:3
	v_add_co_ci_u32_e64 v15, null, 0, v85, s2
	s_mov_b32 s2, -1
	s_waitcnt lgkmcnt(0)
	s_barrier
	buffer_gl0_inv
	s_cbranch_vccnz .LBB135_124
; %bb.115:                              ;   in Loop: Header=BB135_78 Depth=1
	v_mov_b32_e32 v103, 0
	v_mov_b32_e32 v104, 0
	s_mov_b32 s2, exec_lo
	v_cmpx_gt_i32_e64 s13, v86
	s_cbranch_execz .LBB135_117
; %bb.116:                              ;   in Loop: Header=BB135_78 Depth=1
	flat_load_dword v104, v[14:15]
.LBB135_117:                            ;   in Loop: Header=BB135_78 Depth=1
	s_or_b32 exec_lo, exec_lo, s2
	s_mov_b32 s2, exec_lo
	v_cmpx_gt_i32_e64 s13, v87
	s_cbranch_execz .LBB135_119
; %bb.118:                              ;   in Loop: Header=BB135_78 Depth=1
	v_add_co_u32 v16, vcc_lo, v82, v33
	v_add_co_ci_u32_e64 v17, null, 0, v83, vcc_lo
	flat_load_dword v103, v[16:17]
.LBB135_119:                            ;   in Loop: Header=BB135_78 Depth=1
	s_or_b32 exec_lo, exec_lo, s2
	v_mov_b32_e32 v105, 0
	v_mov_b32_e32 v106, 0
	s_mov_b32 s2, exec_lo
	v_cmpx_gt_i32_e64 s13, v89
	s_cbranch_execz .LBB135_121
; %bb.120:                              ;   in Loop: Header=BB135_78 Depth=1
	v_add_co_u32 v16, vcc_lo, v78, v33
	v_add_co_ci_u32_e64 v17, null, 0, v79, vcc_lo
	flat_load_dword v106, v[16:17]
.LBB135_121:                            ;   in Loop: Header=BB135_78 Depth=1
	s_or_b32 exec_lo, exec_lo, s2
	s_mov_b32 s2, exec_lo
	v_cmpx_gt_i32_e64 s13, v90
	s_cbranch_execz .LBB135_123
; %bb.122:                              ;   in Loop: Header=BB135_78 Depth=1
	v_add_co_u32 v16, vcc_lo, v80, v33
	v_add_co_ci_u32_e64 v17, null, 0, v81, vcc_lo
	flat_load_dword v105, v[16:17]
.LBB135_123:                            ;   in Loop: Header=BB135_78 Depth=1
	s_or_b32 exec_lo, exec_lo, s2
	s_mov_b32 s2, 0
.LBB135_124:                            ;   in Loop: Header=BB135_78 Depth=1
	s_and_b32 vcc_lo, exec_lo, s2
	s_cbranch_vccz .LBB135_126
; %bb.125:                              ;   in Loop: Header=BB135_78 Depth=1
	v_add_co_u32 v16, vcc_lo, v82, v33
	v_add_co_ci_u32_e64 v17, null, 0, v83, vcc_lo
	s_waitcnt vmcnt(0) lgkmcnt(0)
	v_add_co_u32 v105, vcc_lo, v78, v33
	v_add_co_ci_u32_e64 v106, null, 0, v79, vcc_lo
	v_add_co_u32 v107, vcc_lo, v80, v33
	v_add_co_ci_u32_e64 v108, null, 0, v81, vcc_lo
	flat_load_dword v104, v[14:15]
	flat_load_dword v103, v[16:17]
	;; [unrolled: 1-line block ×4, first 2 shown]
.LBB135_126:                            ;   in Loop: Header=BB135_78 Depth=1
	ds_read_b32 v107, v35
	ds_read_b128 v[14:17], v37 offset:192
	v_add_f32_e32 v26, 0, v26
	v_add_f32_e32 v22, 0, v22
	;; [unrolled: 1-line block ×3, first 2 shown]
	v_cmp_gt_i32_e32 vcc_lo, s13, v0
	v_add_f32_e32 v26, v26, v27
	v_add_f32_e32 v22, v22, v23
	;; [unrolled: 1-line block ×3, first 2 shown]
	s_or_b32 s2, s14, vcc_lo
	v_add_f32_e32 v24, v26, v24
	v_add_f32_e32 v20, v22, v20
	;; [unrolled: 1-line block ×3, first 2 shown]
	s_and_b32 s13, s1, s2
	v_add_f32_e32 v24, v24, v25
	v_add_f32_e32 v20, v20, v21
	s_waitcnt vmcnt(0) lgkmcnt(1)
	v_mul_f32_e32 v108, v104, v107
	v_mul_f32_e32 v109, v103, v107
	;; [unrolled: 1-line block ×4, first 2 shown]
	ds_write2_b32 v36, v108, v109 offset1:67
	ds_write2_b32 v36, v110, v107 offset0:134 offset1:201
	s_waitcnt lgkmcnt(0)
	s_barrier
	buffer_gl0_inv
	ds_read2_b32 v[107:108], v88 offset1:1
	ds_read2_b32 v[109:110], v88 offset0:2 offset1:3
	s_waitcnt lgkmcnt(0)
	s_barrier
	buffer_gl0_inv
	v_add_f32_e32 v107, 0, v107
	v_add_f32_e32 v23, v107, v108
	v_add_f32_e32 v22, v23, v109
	v_add_f32_e32 v23, v27, v29
	v_add_f32_e32 v21, v22, v110
	ds_write2_b32 v42, v20, v24 offset1:16
	ds_write2_b32 v42, v23, v21 offset0:32 offset1:48
	s_waitcnt lgkmcnt(0)
	s_barrier
	buffer_gl0_inv
	s_and_saveexec_b32 s2, s13
	s_cbranch_execz .LBB135_128
; %bb.127:                              ;   in Loop: Header=BB135_78 Depth=1
	ds_read2_b32 v[20:21], v43 offset1:1
	ds_read2_b32 v[22:23], v43 offset0:2 offset1:3
	ds_read2_b32 v[24:25], v43 offset0:4 offset1:5
	;; [unrolled: 1-line block ×3, first 2 shown]
	s_waitcnt lgkmcnt(3)
	v_add_f32_e32 v20, v20, v21
	s_waitcnt lgkmcnt(2)
	v_add_f32_e32 v20, v20, v22
	v_add_f32_e32 v22, v20, v23
	ds_read2_b32 v[20:21], v43 offset0:8 offset1:9
	s_waitcnt lgkmcnt(2)
	v_add_f32_e32 v22, v22, v24
	v_add_f32_e32 v24, v22, v25
	ds_read2_b32 v[22:23], v43 offset0:10 offset1:11
	;; [unrolled: 4-line block ×3, first 2 shown]
	ds_read_b32 v27, v43 offset:56
	s_waitcnt lgkmcnt(3)
	v_add_f32_e32 v20, v26, v20
	v_add_f32_e32 v20, v20, v21
	s_waitcnt lgkmcnt(2)
	v_add_f32_e32 v20, v20, v22
	ds_read_b32 v22, v44
	v_add_f32_e32 v20, v20, v23
	s_waitcnt lgkmcnt(2)
	v_add_f32_e32 v21, v20, v24
	v_add_nc_u32_e32 v20, s12, v0
	v_add_f32_e32 v23, v21, v25
	v_ashrrev_i32_e32 v21, 31, v20
	s_waitcnt lgkmcnt(1)
	v_add_f32_e32 v23, v23, v27
	v_lshlrev_b64 v[20:21], 2, v[20:21]
	s_waitcnt lgkmcnt(0)
	v_add_f32_e32 v22, v23, v22
	v_add_co_u32 v20, vcc_lo, s3, v20
	v_add_co_ci_u32_e64 v21, null, s7, v21, vcc_lo
	global_store_dword v[20:21], v22, off
.LBB135_128:                            ;   in Loop: Header=BB135_78 Depth=1
	s_or_b32 exec_lo, exec_lo, s2
	v_fmac_f32_e32 v32, v94, v2
	v_add_co_u32 v56, vcc_lo, v56, s4
	v_add_co_ci_u32_e64 v57, null, s5, v57, vcc_lo
	v_fmac_f32_e32 v32, v91, v3
	v_add_co_u32 v58, vcc_lo, v58, s4
	v_add_co_ci_u32_e64 v59, null, s5, v59, vcc_lo
	;; [unrolled: 3-line block ×15, first 2 shown]
	v_add_co_u32 v84, vcc_lo, v84, s4
	v_fmac_f32_e32 v32, v105, v17
	v_add_co_ci_u32_e64 v85, null, s5, v85, vcc_lo
	s_add_i32 s2, s6, 1
	s_add_i32 s6, s6, 2
	;; [unrolled: 1-line block ×3, first 2 shown]
	s_cmp_ge_u32 s6, s19
	s_waitcnt_vscnt null, 0x0
	s_barrier
	buffer_gl0_inv
	s_cbranch_scc0 .LBB135_74
.LBB135_129:
	v_cmp_gt_i32_e32 vcc_lo, s10, v0
	v_mad_u32_u24 v1, 0x10c, v1, v33
	s_or_b32 s1, s25, vcc_lo
	ds_write_b32 v1, v32
	s_and_b32 s0, s0, s1
	s_waitcnt lgkmcnt(0)
	s_barrier
	buffer_gl0_inv
	s_and_saveexec_b32 s1, s0
	s_cbranch_execz .LBB135_4
; %bb.130:
	ds_read2_b32 v[0:1], v33 offset1:67
	ds_read2_b32 v[2:3], v33 offset0:134 offset1:201
	s_waitcnt lgkmcnt(1)
	v_add_f32_e32 v0, v0, v1
	s_waitcnt lgkmcnt(0)
	v_add_f32_e32 v2, v0, v2
	v_lshlrev_b64 v[0:1], 2, v[18:19]
	v_add_f32_e32 v2, v2, v3
	v_add_co_u32 v0, vcc_lo, s3, v0
	v_add_co_ci_u32_e64 v1, null, s7, v1, vcc_lo
	global_store_dword v[0:1], v2, off
	s_endpgm
	.section	.rodata,"a",@progbits
	.p2align	6, 0x0
	.amdhsa_kernel _ZL26rocblas_hemvn_kernel_upperILb0ELi64ELi4ELi33ELi32ELi16ElPKfPKS1_PfEviT6_lT7_lT5_lS6_lS7_lS5_lT8_i
		.amdhsa_group_segment_fixed_size 4800
		.amdhsa_private_segment_fixed_size 0
		.amdhsa_kernarg_size 376
		.amdhsa_user_sgpr_count 6
		.amdhsa_user_sgpr_private_segment_buffer 1
		.amdhsa_user_sgpr_dispatch_ptr 0
		.amdhsa_user_sgpr_queue_ptr 0
		.amdhsa_user_sgpr_kernarg_segment_ptr 1
		.amdhsa_user_sgpr_dispatch_id 0
		.amdhsa_user_sgpr_flat_scratch_init 0
		.amdhsa_user_sgpr_private_segment_size 0
		.amdhsa_wavefront_size32 1
		.amdhsa_uses_dynamic_stack 0
		.amdhsa_system_sgpr_private_segment_wavefront_offset 0
		.amdhsa_system_sgpr_workgroup_id_x 1
		.amdhsa_system_sgpr_workgroup_id_y 0
		.amdhsa_system_sgpr_workgroup_id_z 1
		.amdhsa_system_sgpr_workgroup_info 0
		.amdhsa_system_vgpr_workitem_id 1
		.amdhsa_next_free_vgpr 111
		.amdhsa_next_free_sgpr 32
		.amdhsa_reserve_vcc 1
		.amdhsa_reserve_flat_scratch 1
		.amdhsa_float_round_mode_32 0
		.amdhsa_float_round_mode_16_64 0
		.amdhsa_float_denorm_mode_32 3
		.amdhsa_float_denorm_mode_16_64 3
		.amdhsa_dx10_clamp 1
		.amdhsa_ieee_mode 1
		.amdhsa_fp16_overflow 0
		.amdhsa_workgroup_processor_mode 1
		.amdhsa_memory_ordered 1
		.amdhsa_forward_progress 1
		.amdhsa_shared_vgpr_count 0
		.amdhsa_exception_fp_ieee_invalid_op 0
		.amdhsa_exception_fp_denorm_src 0
		.amdhsa_exception_fp_ieee_div_zero 0
		.amdhsa_exception_fp_ieee_overflow 0
		.amdhsa_exception_fp_ieee_underflow 0
		.amdhsa_exception_fp_ieee_inexact 0
		.amdhsa_exception_int_div_zero 0
	.end_amdhsa_kernel
	.section	.text._ZL26rocblas_hemvn_kernel_upperILb0ELi64ELi4ELi33ELi32ELi16ElPKfPKS1_PfEviT6_lT7_lT5_lS6_lS7_lS5_lT8_i,"axG",@progbits,_ZL26rocblas_hemvn_kernel_upperILb0ELi64ELi4ELi33ELi32ELi16ElPKfPKS1_PfEviT6_lT7_lT5_lS6_lS7_lS5_lT8_i,comdat
.Lfunc_end135:
	.size	_ZL26rocblas_hemvn_kernel_upperILb0ELi64ELi4ELi33ELi32ELi16ElPKfPKS1_PfEviT6_lT7_lT5_lS6_lS7_lS5_lT8_i, .Lfunc_end135-_ZL26rocblas_hemvn_kernel_upperILb0ELi64ELi4ELi33ELi32ELi16ElPKfPKS1_PfEviT6_lT7_lT5_lS6_lS7_lS5_lT8_i
                                        ; -- End function
	.set _ZL26rocblas_hemvn_kernel_upperILb0ELi64ELi4ELi33ELi32ELi16ElPKfPKS1_PfEviT6_lT7_lT5_lS6_lS7_lS5_lT8_i.num_vgpr, 111
	.set _ZL26rocblas_hemvn_kernel_upperILb0ELi64ELi4ELi33ELi32ELi16ElPKfPKS1_PfEviT6_lT7_lT5_lS6_lS7_lS5_lT8_i.num_agpr, 0
	.set _ZL26rocblas_hemvn_kernel_upperILb0ELi64ELi4ELi33ELi32ELi16ElPKfPKS1_PfEviT6_lT7_lT5_lS6_lS7_lS5_lT8_i.numbered_sgpr, 32
	.set _ZL26rocblas_hemvn_kernel_upperILb0ELi64ELi4ELi33ELi32ELi16ElPKfPKS1_PfEviT6_lT7_lT5_lS6_lS7_lS5_lT8_i.num_named_barrier, 0
	.set _ZL26rocblas_hemvn_kernel_upperILb0ELi64ELi4ELi33ELi32ELi16ElPKfPKS1_PfEviT6_lT7_lT5_lS6_lS7_lS5_lT8_i.private_seg_size, 0
	.set _ZL26rocblas_hemvn_kernel_upperILb0ELi64ELi4ELi33ELi32ELi16ElPKfPKS1_PfEviT6_lT7_lT5_lS6_lS7_lS5_lT8_i.uses_vcc, 1
	.set _ZL26rocblas_hemvn_kernel_upperILb0ELi64ELi4ELi33ELi32ELi16ElPKfPKS1_PfEviT6_lT7_lT5_lS6_lS7_lS5_lT8_i.uses_flat_scratch, 1
	.set _ZL26rocblas_hemvn_kernel_upperILb0ELi64ELi4ELi33ELi32ELi16ElPKfPKS1_PfEviT6_lT7_lT5_lS6_lS7_lS5_lT8_i.has_dyn_sized_stack, 0
	.set _ZL26rocblas_hemvn_kernel_upperILb0ELi64ELi4ELi33ELi32ELi16ElPKfPKS1_PfEviT6_lT7_lT5_lS6_lS7_lS5_lT8_i.has_recursion, 0
	.set _ZL26rocblas_hemvn_kernel_upperILb0ELi64ELi4ELi33ELi32ELi16ElPKfPKS1_PfEviT6_lT7_lT5_lS6_lS7_lS5_lT8_i.has_indirect_call, 0
	.section	.AMDGPU.csdata,"",@progbits
; Kernel info:
; codeLenInByte = 7816
; TotalNumSgprs: 34
; NumVgprs: 111
; ScratchSize: 0
; MemoryBound: 0
; FloatMode: 240
; IeeeMode: 1
; LDSByteSize: 4800 bytes/workgroup (compile time only)
; SGPRBlocks: 0
; VGPRBlocks: 13
; NumSGPRsForWavesPerEU: 34
; NumVGPRsForWavesPerEU: 111
; Occupancy: 9
; WaveLimiterHint : 1
; COMPUTE_PGM_RSRC2:SCRATCH_EN: 0
; COMPUTE_PGM_RSRC2:USER_SGPR: 6
; COMPUTE_PGM_RSRC2:TRAP_HANDLER: 0
; COMPUTE_PGM_RSRC2:TGID_X_EN: 1
; COMPUTE_PGM_RSRC2:TGID_Y_EN: 0
; COMPUTE_PGM_RSRC2:TGID_Z_EN: 1
; COMPUTE_PGM_RSRC2:TIDIG_COMP_CNT: 1
	.section	.text._ZL36rocblas_hemvn_kernel_upper_block_sumILi64ElPKfPKPffEviT1_lS5_lT2_lT0_lPT3_i,"axG",@progbits,_ZL36rocblas_hemvn_kernel_upper_block_sumILi64ElPKfPKPffEviT1_lS5_lT2_lT0_lPT3_i,comdat
	.globl	_ZL36rocblas_hemvn_kernel_upper_block_sumILi64ElPKfPKPffEviT1_lS5_lT2_lT0_lPT3_i ; -- Begin function _ZL36rocblas_hemvn_kernel_upper_block_sumILi64ElPKfPKPffEviT1_lS5_lT2_lT0_lPT3_i
	.p2align	8
	.type	_ZL36rocblas_hemvn_kernel_upper_block_sumILi64ElPKfPKPffEviT1_lS5_lT2_lT0_lPT3_i,@function
_ZL36rocblas_hemvn_kernel_upper_block_sumILi64ElPKfPKPffEviT1_lS5_lT2_lT0_lPT3_i: ; @_ZL36rocblas_hemvn_kernel_upper_block_sumILi64ElPKfPKPffEviT1_lS5_lT2_lT0_lPT3_i
; %bb.0:
	s_load_dwordx8 s[12:19], s[4:5], 0x8
	s_mov_b32 s9, 0
	s_waitcnt lgkmcnt(0)
	s_mul_i32 s1, s15, s7
	s_mul_hi_u32 s2, s14, s7
	s_mul_i32 s0, s14, s7
	s_add_i32 s1, s2, s1
	s_mul_i32 s2, s19, s7
	s_lshl_b64 s[0:1], s[0:1], 2
	s_mul_hi_u32 s3, s18, s7
	s_add_u32 s0, s12, s0
	s_addc_u32 s1, s13, s1
	s_add_i32 s3, s3, s2
	s_mul_i32 s2, s18, s7
	s_lshl_b64 s[2:3], s[2:3], 2
	s_add_u32 s2, s16, s2
	s_addc_u32 s3, s17, s3
	s_load_dword s13, s[0:1], 0x0
	s_load_dword s14, s[2:3], 0x0
	s_waitcnt lgkmcnt(0)
	v_cmp_eq_f32_e64 s0, s13, 0
	v_cmp_eq_f32_e64 s1, s14, 1.0
	s_and_b32 s0, s0, s1
	s_and_b32 vcc_lo, exec_lo, s0
	s_cbranch_vccnz .LBB136_19
; %bb.1:
	s_clause 0x1
	s_load_dwordx2 s[16:17], s[4:5], 0x28
	s_load_dword s10, s[4:5], 0x0
	s_mov_b32 s8, s7
	s_load_dwordx4 s[0:3], s[4:5], 0x30
	s_lshl_b64 s[18:19], s[8:9], 3
	v_lshl_or_b32 v0, s6, 6, v0
	v_cmp_neq_f32_e64 s11, s13, 0
	s_waitcnt lgkmcnt(0)
	s_add_u32 s16, s16, s18
	s_addc_u32 s17, s17, s19
	s_lshl_b64 s[0:1], s[0:1], 2
	s_load_dwordx2 s[16:17], s[16:17], 0x0
	s_waitcnt lgkmcnt(0)
	s_add_u32 s7, s16, s0
	v_cmp_gt_i32_e64 s0, s10, v0
	s_addc_u32 s12, s17, s1
	s_and_b32 vcc_lo, exec_lo, s11
	s_cbranch_vccnz .LBB136_6
; %bb.2:
	s_mov_b32 s1, 0
                                        ; implicit-def: $vgpr3
                                        ; implicit-def: $vgpr1_vgpr2
	s_and_saveexec_b32 s11, s0
	s_cbranch_execz .LBB136_7
; %bb.3:
	v_ashrrev_i32_e32 v3, 31, v0
	v_mul_lo_u32 v4, s3, v0
	v_mad_u64_u32 v[1:2], null, s2, v0, 0
	v_cmp_eq_f32_e64 s0, s14, 0
	v_mul_lo_u32 v5, s2, v3
	v_mov_b32_e32 v3, 0
	s_and_b32 vcc_lo, exec_lo, s0
	v_add3_u32 v2, v2, v5, v4
	s_cbranch_vccnz .LBB136_5
; %bb.4:
	v_lshlrev_b64 v[3:4], 2, v[1:2]
	v_add_co_u32 v3, vcc_lo, s7, v3
	v_add_co_ci_u32_e64 v4, null, s12, v4, vcc_lo
	flat_load_dword v3, v[3:4]
	s_waitcnt vmcnt(0) lgkmcnt(0)
	v_mul_f32_e32 v3, s14, v3
.LBB136_5:
	s_mov_b32 s9, exec_lo
	s_or_b32 exec_lo, exec_lo, s11
	s_and_b32 vcc_lo, exec_lo, s1
	s_cbranch_vccnz .LBB136_8
	s_branch .LBB136_17
.LBB136_6:
                                        ; implicit-def: $vgpr3
                                        ; implicit-def: $vgpr1_vgpr2
	s_cbranch_execnz .LBB136_8
	s_branch .LBB136_17
.LBB136_7:
	s_or_b32 exec_lo, exec_lo, s11
	s_and_b32 vcc_lo, exec_lo, s1
	s_cbranch_vccz .LBB136_17
.LBB136_8:
	s_mov_b32 s15, exec_lo
                                        ; implicit-def: $vgpr3
                                        ; implicit-def: $vgpr1_vgpr2
	v_cmpx_gt_i32_e64 s10, v0
	s_cbranch_execz .LBB136_16
; %bb.9:
	v_ashrrev_i32_e32 v1, 31, v0
	v_mov_b32_e32 v4, 0
	s_cmp_lt_i32 s6, 0
	s_cbranch_scc1 .LBB136_12
; %bb.10:
	s_clause 0x1
	s_load_dword s16, s[4:5], 0x58
	s_load_dwordx2 s[0:1], s[4:5], 0x48
	s_ashr_i32 s11, s10, 31
	s_mul_hi_u32 s4, s10, s8
	s_mul_i32 s5, s11, s8
	v_lshlrev_b64 v[2:3], 2, v[0:1]
	s_add_i32 s4, s4, s5
	s_mul_i32 s5, s10, s8
	v_mov_b32_e32 v4, 0
	s_waitcnt lgkmcnt(0)
	s_mul_i32 s8, s4, s16
	s_mul_hi_u32 s17, s5, s16
	s_mul_i32 s4, s5, s16
	s_add_i32 s5, s17, s8
	s_lshl_b64 s[4:5], s[4:5], 2
	s_add_u32 s0, s0, s4
	s_addc_u32 s1, s1, s5
	v_add_co_u32 v2, vcc_lo, s0, v2
	v_add_co_ci_u32_e64 v3, null, s1, v3, vcc_lo
	s_add_i32 s4, s6, 1
	s_lshl_b64 s[0:1], s[10:11], 2
.LBB136_11:                             ; =>This Inner Loop Header: Depth=1
	global_load_dword v5, v[2:3], off
	v_add_co_u32 v2, vcc_lo, v2, s0
	v_add_co_ci_u32_e64 v3, null, s1, v3, vcc_lo
	s_add_i32 s4, s4, -1
	s_cmp_eq_u32 s4, 0
	s_waitcnt vmcnt(0)
	v_add_f32_e32 v4, v4, v5
	s_cbranch_scc0 .LBB136_11
.LBB136_12:
	v_mul_lo_u32 v5, s3, v0
	v_mul_lo_u32 v6, s2, v1
	v_cmp_eq_f32_e64 s0, s14, 0
	s_and_b32 vcc_lo, exec_lo, s0
	s_mov_b32 s0, 0
	s_cbranch_vccz .LBB136_20
; %bb.13:
	v_mad_u64_u32 v[1:2], null, s2, v0, 0
	v_mul_f32_e32 v3, s13, v4
	v_add3_u32 v2, v2, v6, v5
	s_andn2_b32 vcc_lo, exec_lo, s0
	s_cbranch_vccnz .LBB136_15
.LBB136_14:
	v_mad_u64_u32 v[1:2], null, s2, v0, 0
	v_add3_u32 v2, v2, v6, v5
	v_lshlrev_b64 v[5:6], 2, v[1:2]
	v_add_co_u32 v5, vcc_lo, s7, v5
	v_add_co_ci_u32_e64 v6, null, s12, v6, vcc_lo
	flat_load_dword v0, v[5:6]
	s_waitcnt vmcnt(0) lgkmcnt(0)
	v_mul_f32_e32 v3, s14, v0
	v_fmac_f32_e32 v3, s13, v4
.LBB136_15:
	s_or_b32 s9, s9, exec_lo
.LBB136_16:
	s_or_b32 exec_lo, exec_lo, s15
.LBB136_17:
	s_and_saveexec_b32 s0, s9
	s_cbranch_execz .LBB136_19
; %bb.18:
	v_lshlrev_b64 v[0:1], 2, v[1:2]
	v_add_co_u32 v0, vcc_lo, s7, v0
	v_add_co_ci_u32_e64 v1, null, s12, v1, vcc_lo
	flat_store_dword v[0:1], v3
.LBB136_19:
	s_endpgm
.LBB136_20:
                                        ; implicit-def: $vgpr3
                                        ; implicit-def: $vgpr1_vgpr2
	s_branch .LBB136_14
	.section	.rodata,"a",@progbits
	.p2align	6, 0x0
	.amdhsa_kernel _ZL36rocblas_hemvn_kernel_upper_block_sumILi64ElPKfPKPffEviT1_lS5_lT2_lT0_lPT3_i
		.amdhsa_group_segment_fixed_size 0
		.amdhsa_private_segment_fixed_size 0
		.amdhsa_kernarg_size 344
		.amdhsa_user_sgpr_count 6
		.amdhsa_user_sgpr_private_segment_buffer 1
		.amdhsa_user_sgpr_dispatch_ptr 0
		.amdhsa_user_sgpr_queue_ptr 0
		.amdhsa_user_sgpr_kernarg_segment_ptr 1
		.amdhsa_user_sgpr_dispatch_id 0
		.amdhsa_user_sgpr_flat_scratch_init 0
		.amdhsa_user_sgpr_private_segment_size 0
		.amdhsa_wavefront_size32 1
		.amdhsa_uses_dynamic_stack 0
		.amdhsa_system_sgpr_private_segment_wavefront_offset 0
		.amdhsa_system_sgpr_workgroup_id_x 1
		.amdhsa_system_sgpr_workgroup_id_y 0
		.amdhsa_system_sgpr_workgroup_id_z 1
		.amdhsa_system_sgpr_workgroup_info 0
		.amdhsa_system_vgpr_workitem_id 0
		.amdhsa_next_free_vgpr 7
		.amdhsa_next_free_sgpr 20
		.amdhsa_reserve_vcc 1
		.amdhsa_reserve_flat_scratch 0
		.amdhsa_float_round_mode_32 0
		.amdhsa_float_round_mode_16_64 0
		.amdhsa_float_denorm_mode_32 3
		.amdhsa_float_denorm_mode_16_64 3
		.amdhsa_dx10_clamp 1
		.amdhsa_ieee_mode 1
		.amdhsa_fp16_overflow 0
		.amdhsa_workgroup_processor_mode 1
		.amdhsa_memory_ordered 1
		.amdhsa_forward_progress 1
		.amdhsa_shared_vgpr_count 0
		.amdhsa_exception_fp_ieee_invalid_op 0
		.amdhsa_exception_fp_denorm_src 0
		.amdhsa_exception_fp_ieee_div_zero 0
		.amdhsa_exception_fp_ieee_overflow 0
		.amdhsa_exception_fp_ieee_underflow 0
		.amdhsa_exception_fp_ieee_inexact 0
		.amdhsa_exception_int_div_zero 0
	.end_amdhsa_kernel
	.section	.text._ZL36rocblas_hemvn_kernel_upper_block_sumILi64ElPKfPKPffEviT1_lS5_lT2_lT0_lPT3_i,"axG",@progbits,_ZL36rocblas_hemvn_kernel_upper_block_sumILi64ElPKfPKPffEviT1_lS5_lT2_lT0_lPT3_i,comdat
.Lfunc_end136:
	.size	_ZL36rocblas_hemvn_kernel_upper_block_sumILi64ElPKfPKPffEviT1_lS5_lT2_lT0_lPT3_i, .Lfunc_end136-_ZL36rocblas_hemvn_kernel_upper_block_sumILi64ElPKfPKPffEviT1_lS5_lT2_lT0_lPT3_i
                                        ; -- End function
	.set _ZL36rocblas_hemvn_kernel_upper_block_sumILi64ElPKfPKPffEviT1_lS5_lT2_lT0_lPT3_i.num_vgpr, 7
	.set _ZL36rocblas_hemvn_kernel_upper_block_sumILi64ElPKfPKPffEviT1_lS5_lT2_lT0_lPT3_i.num_agpr, 0
	.set _ZL36rocblas_hemvn_kernel_upper_block_sumILi64ElPKfPKPffEviT1_lS5_lT2_lT0_lPT3_i.numbered_sgpr, 20
	.set _ZL36rocblas_hemvn_kernel_upper_block_sumILi64ElPKfPKPffEviT1_lS5_lT2_lT0_lPT3_i.num_named_barrier, 0
	.set _ZL36rocblas_hemvn_kernel_upper_block_sumILi64ElPKfPKPffEviT1_lS5_lT2_lT0_lPT3_i.private_seg_size, 0
	.set _ZL36rocblas_hemvn_kernel_upper_block_sumILi64ElPKfPKPffEviT1_lS5_lT2_lT0_lPT3_i.uses_vcc, 1
	.set _ZL36rocblas_hemvn_kernel_upper_block_sumILi64ElPKfPKPffEviT1_lS5_lT2_lT0_lPT3_i.uses_flat_scratch, 0
	.set _ZL36rocblas_hemvn_kernel_upper_block_sumILi64ElPKfPKPffEviT1_lS5_lT2_lT0_lPT3_i.has_dyn_sized_stack, 0
	.set _ZL36rocblas_hemvn_kernel_upper_block_sumILi64ElPKfPKPffEviT1_lS5_lT2_lT0_lPT3_i.has_recursion, 0
	.set _ZL36rocblas_hemvn_kernel_upper_block_sumILi64ElPKfPKPffEviT1_lS5_lT2_lT0_lPT3_i.has_indirect_call, 0
	.section	.AMDGPU.csdata,"",@progbits
; Kernel info:
; codeLenInByte = 736
; TotalNumSgprs: 22
; NumVgprs: 7
; ScratchSize: 0
; MemoryBound: 0
; FloatMode: 240
; IeeeMode: 1
; LDSByteSize: 0 bytes/workgroup (compile time only)
; SGPRBlocks: 0
; VGPRBlocks: 0
; NumSGPRsForWavesPerEU: 22
; NumVGPRsForWavesPerEU: 7
; Occupancy: 16
; WaveLimiterHint : 1
; COMPUTE_PGM_RSRC2:SCRATCH_EN: 0
; COMPUTE_PGM_RSRC2:USER_SGPR: 6
; COMPUTE_PGM_RSRC2:TRAP_HANDLER: 0
; COMPUTE_PGM_RSRC2:TGID_X_EN: 1
; COMPUTE_PGM_RSRC2:TGID_Y_EN: 0
; COMPUTE_PGM_RSRC2:TGID_Z_EN: 1
; COMPUTE_PGM_RSRC2:TIDIG_COMP_CNT: 0
	.section	.text._ZL26rocblas_hemvn_kernel_upperILb0ELi64ELi4ELi33ELi32ELi16EiPKfPKS1_PfEviT6_lT7_lT5_lS6_lS7_lS5_lT8_i,"axG",@progbits,_ZL26rocblas_hemvn_kernel_upperILb0ELi64ELi4ELi33ELi32ELi16EiPKfPKS1_PfEviT6_lT7_lT5_lS6_lS7_lS5_lT8_i,comdat
	.globl	_ZL26rocblas_hemvn_kernel_upperILb0ELi64ELi4ELi33ELi32ELi16EiPKfPKS1_PfEviT6_lT7_lT5_lS6_lS7_lS5_lT8_i ; -- Begin function _ZL26rocblas_hemvn_kernel_upperILb0ELi64ELi4ELi33ELi32ELi16EiPKfPKS1_PfEviT6_lT7_lT5_lS6_lS7_lS5_lT8_i
	.p2align	8
	.type	_ZL26rocblas_hemvn_kernel_upperILb0ELi64ELi4ELi33ELi32ELi16EiPKfPKS1_PfEviT6_lT7_lT5_lS6_lS7_lS5_lT8_i,@function
_ZL26rocblas_hemvn_kernel_upperILb0ELi64ELi4ELi33ELi32ELi16EiPKfPKS1_PfEviT6_lT7_lT5_lS6_lS7_lS5_lT8_i: ; @_ZL26rocblas_hemvn_kernel_upperILb0ELi64ELi4ELi33ELi32ELi16EiPKfPKS1_PfEviT6_lT7_lT5_lS6_lS7_lS5_lT8_i
; %bb.0:
	s_load_dwordx2 s[2:3], s[4:5], 0x84
	s_add_u32 s0, s4, 0x78
	s_mov_b32 s16, s7
	s_addc_u32 s1, s5, 0
	s_waitcnt lgkmcnt(0)
	s_lshr_b32 s7, s2, 16
	s_and_b32 s2, s2, 0xffff
	s_and_b32 s3, s3, 0xffff
	s_mul_i32 s2, s7, s2
	s_mul_i32 s2, s2, s3
	s_cmpk_lg_i32 s2, 0x100
	s_cbranch_scc1 .LBB137_4
; %bb.1:
	s_clause 0x1
	s_load_dwordx8 s[8:15], s[4:5], 0x8
	s_load_dwordx4 s[20:23], s[4:5], 0x58
	s_mov_b32 s17, 0
	s_waitcnt lgkmcnt(0)
	s_mul_i32 s3, s11, s16
	s_mul_hi_u32 s7, s10, s16
	s_mul_i32 s2, s10, s16
	s_add_i32 s3, s7, s3
	s_mul_i32 s7, s23, s16
	s_lshl_b64 s[2:3], s[2:3], 2
	s_mul_hi_u32 s10, s22, s16
	s_add_u32 s2, s8, s2
	s_addc_u32 s3, s9, s3
	s_add_i32 s9, s10, s7
	s_mul_i32 s8, s22, s16
	s_lshl_b64 s[8:9], s[8:9], 2
	s_add_u32 s8, s20, s8
	s_addc_u32 s9, s21, s9
	s_load_dword s2, s[2:3], 0x0
	s_load_dword s3, s[8:9], 0x0
	s_waitcnt lgkmcnt(0)
	v_cmp_eq_f32_e64 s2, s2, 0
	v_cmp_eq_f32_e64 s3, s3, 1.0
	s_and_b32 s3, s2, s3
	s_and_b32 vcc_lo, exec_lo, s3
	s_cbranch_vccnz .LBB137_4
; %bb.2:
	s_and_b32 vcc_lo, exec_lo, s2
	s_cbranch_vccz .LBB137_5
; %bb.3:
	s_cbranch_execz .LBB137_6
.LBB137_4:
	s_endpgm
.LBB137_5:
.LBB137_6:
	s_load_dwordx4 s[8:11], s[4:5], 0x38
	s_lshl_b64 s[2:3], s[16:17], 3
	s_load_dword s17, s[4:5], 0x48
	s_add_u32 s20, s12, s2
	s_addc_u32 s21, s13, s3
	s_waitcnt lgkmcnt(0)
	s_add_u32 s2, s8, s2
	s_addc_u32 s3, s9, s3
	s_lshl_b64 s[8:9], s[10:11], 2
	s_load_dwordx2 s[2:3], s[2:3], 0x0
	s_load_dword s24, s[4:5], 0x0
	s_load_dword s26, s[0:1], 0x0
	s_waitcnt lgkmcnt(0)
	s_add_u32 s7, s2, s8
	s_addc_u32 s8, s3, s9
	s_lshl_b32 s12, s6, 6
	s_load_dwordx2 s[18:19], s[4:5], 0x68
	s_load_dwordx2 s[2:3], s[20:21], 0x0
	v_add_nc_u32_e32 v18, s12, v0
	s_ashr_i32 s25, s24, 31
	s_add_i32 s1, s26, -1
	s_lshr_b32 s0, s25, 26
	v_mul_lo_u32 v2, s17, v18
	s_add_i32 s0, s24, s0
	s_andn2_b32 s0, s0, 63
	s_sub_i32 s27, s24, s0
	v_cmp_eq_u32_e64 s0, 0, v1
	s_cmp_eq_u32 s6, s1
	v_ashrrev_i32_e32 v3, 31, v2
	v_lshlrev_b64 v[2:3], 2, v[2:3]
	v_add_co_u32 v6, vcc_lo, s7, v2
	v_add_co_ci_u32_e64 v7, null, s8, v3, vcc_lo
	s_cselect_b32 s8, s27, 0
	s_and_saveexec_b32 s1, s0
	s_cbranch_execz .LBB137_10
; %bb.7:
	v_cmp_gt_i32_e32 vcc_lo, s8, v0
	s_cmp_eq_u32 s8, 0
	v_mov_b32_e32 v2, 0
	s_cselect_b32 s7, -1, 0
	s_or_b32 s9, s7, vcc_lo
	s_and_saveexec_b32 s7, s9
	s_cbranch_execz .LBB137_9
; %bb.8:
	flat_load_dword v2, v[6:7]
.LBB137_9:
	s_or_b32 exec_lo, exec_lo, s7
	v_lshlrev_b32_e32 v3, 2, v0
	s_waitcnt vmcnt(0) lgkmcnt(0)
	ds_write_b32 v3, v2 offset:4544
.LBB137_10:
	s_or_b32 exec_lo, exec_lo, s1
	s_load_dword s10, s[4:5], 0x28
	v_lshl_add_u32 v14, v1, 6, v0
	v_and_b32_e32 v2, 31, v0
	s_lshl_b64 s[4:5], s[14:15], 2
	s_waitcnt lgkmcnt(0)
	s_add_u32 s1, s2, s4
	v_lshrrev_b32_e32 v5, 5, v14
	s_addc_u32 s4, s3, s5
	s_ashr_i32 s13, s12, 31
	v_lshlrev_b32_e32 v15, 2, v2
	s_lshl_b64 s[2:3], s[12:13], 2
	s_add_u32 s5, s1, s2
	s_addc_u32 s4, s4, s3
	v_cmp_gt_i32_e64 s1, s8, v2
	v_mad_u64_u32 v[3:4], null, s10, v5, v[2:3]
	s_mul_i32 s2, s10, s12
	s_ashr_i32 s3, s2, 31
	s_lshl_b64 s[2:3], s[2:3], 2
	s_cmp_eq_u32 s8, 0
	v_ashrrev_i32_e32 v4, 31, v3
	s_cselect_b32 s28, -1, 0
	s_cmp_lg_u32 s8, 0
	s_cselect_b32 s13, -1, 0
	v_lshlrev_b64 v[8:9], 2, v[3:4]
	v_add_co_u32 v3, vcc_lo, s5, v8
	v_add_co_ci_u32_e64 v4, null, s4, v9, vcc_lo
	s_and_b32 vcc_lo, exec_lo, s13
	v_add_co_u32 v10, s2, v3, s2
	v_add_co_ci_u32_e64 v11, null, s3, v4, s2
	s_cbranch_vccz .LBB137_20
; %bb.11:
	v_sub_co_u32 v3, vcc_lo, v10, v15
	s_ashr_i32 s9, s8, 31
	v_subrev_co_ci_u32_e64 v4, null, 0, v11, vcc_lo
	s_lshl_b64 s[2:3], s[8:9], 2
	v_mov_b32_e32 v16, 0
	v_add_co_u32 v3, vcc_lo, v3, s2
	v_add_co_ci_u32_e64 v4, null, s3, v4, vcc_lo
	v_mov_b32_e32 v13, 0
	v_add_co_u32 v3, vcc_lo, v3, -4
	v_add_co_ci_u32_e64 v4, null, -1, v4, vcc_lo
	s_mov_b32 s4, exec_lo
	v_cndmask_b32_e64 v3, v3, v10, s1
	v_cndmask_b32_e64 v4, v4, v11, s1
	v_cmpx_gt_i32_e64 s8, v5
	s_cbranch_execz .LBB137_13
; %bb.12:
	flat_load_dword v13, v[3:4]
.LBB137_13:
	s_or_b32 exec_lo, exec_lo, s4
	v_add_nc_u32_e32 v17, 8, v5
	v_mul_u32_u24_e32 v12, 0x84, v5
	v_mad_u32_u24 v19, 0x84, v5, v15
	s_mov_b32 s4, exec_lo
	s_waitcnt vmcnt(0) lgkmcnt(0)
	ds_write_b32 v19, v13
	v_cmpx_gt_i32_e64 s8, v17
	s_cbranch_execz .LBB137_15
; %bb.14:
	s_lshl_b32 s14, s10, 3
	s_ashr_i32 s15, s14, 31
	s_lshl_b64 s[14:15], s[14:15], 2
	v_add_co_u32 v16, vcc_lo, v3, s14
	v_add_co_ci_u32_e64 v17, null, s15, v4, vcc_lo
	flat_load_dword v16, v[16:17]
.LBB137_15:
	s_or_b32 exec_lo, exec_lo, s4
	v_add_nc_u32_e32 v17, 16, v5
	v_add_nc_u32_e32 v12, v12, v15
	v_mov_b32_e32 v13, 0
	v_cmp_gt_i32_e32 vcc_lo, s8, v17
	v_mov_b32_e32 v17, 0
	s_waitcnt vmcnt(0) lgkmcnt(0)
	ds_write_b32 v12, v16 offset:1056
	s_and_saveexec_b32 s4, vcc_lo
	s_cbranch_execz .LBB137_17
; %bb.16:
	s_lshl_b32 s14, s10, 4
	s_ashr_i32 s15, s14, 31
	s_lshl_b64 s[14:15], s[14:15], 2
	v_add_co_u32 v16, vcc_lo, v3, s14
	v_add_co_ci_u32_e64 v17, null, s15, v4, vcc_lo
	flat_load_dword v17, v[16:17]
.LBB137_17:
	s_or_b32 exec_lo, exec_lo, s4
	v_add_nc_u32_e32 v16, 24, v5
	s_mov_b32 s4, exec_lo
	s_waitcnt vmcnt(0) lgkmcnt(0)
	ds_write_b32 v12, v17 offset:2112
	v_cmpx_gt_i32_e64 s8, v16
	s_cbranch_execz .LBB137_19
; %bb.18:
	s_mul_i32 s14, s10, 24
	s_ashr_i32 s15, s14, 31
	s_lshl_b64 s[14:15], s[14:15], 2
	v_add_co_u32 v16, vcc_lo, v3, s14
	v_add_co_ci_u32_e64 v17, null, s15, v4, vcc_lo
	flat_load_dword v13, v[16:17]
.LBB137_19:
	s_or_b32 exec_lo, exec_lo, s4
	v_add_co_u32 v3, vcc_lo, v3, v15
	v_add_co_ci_u32_e64 v4, null, 0, v4, vcc_lo
	s_waitcnt vmcnt(0) lgkmcnt(0)
	ds_write_b32 v12, v13 offset:3168
	v_sub_co_u32 v3, vcc_lo, v3, s2
	v_subrev_co_ci_u32_e64 v4, null, s3, v4, vcc_lo
	v_add_co_u32 v3, vcc_lo, v3, 4
	v_add_co_ci_u32_e64 v4, null, 0, v4, vcc_lo
	v_cndmask_b32_e64 v3, v3, v10, s1
	v_cndmask_b32_e64 v4, v4, v11, s1
	v_mul_u32_u24_e32 v21, 0x84, v5
	s_branch .LBB137_22
.LBB137_20:
                                        ; implicit-def: $vgpr3_vgpr4
	v_mul_u32_u24_e32 v21, 0x84, v5
	s_cbranch_execz .LBB137_22
; %bb.21:
	s_lshl_b32 s2, s10, 3
	s_ashr_i32 s11, s10, 31
	s_ashr_i32 s3, s2, 31
	s_lshl_b64 s[2:3], s[2:3], 2
	v_add_co_u32 v3, vcc_lo, v10, s2
	v_add_co_ci_u32_e64 v4, null, s3, v11, vcc_lo
	s_lshl_b64 s[2:3], s[10:11], 5
	v_add_co_u32 v12, vcc_lo, v3, s2
	v_add_co_ci_u32_e64 v13, null, s3, v4, vcc_lo
	v_add_co_u32 v16, vcc_lo, v12, s2
	v_add_co_ci_u32_e64 v17, null, s3, v13, vcc_lo
	s_clause 0x3
	flat_load_dword v19, v[10:11]
	flat_load_dword v20, v[3:4]
	;; [unrolled: 1-line block ×4, first 2 shown]
	v_mov_b32_e32 v3, v10
	v_lshl_add_u32 v16, v2, 2, v21
	v_mov_b32_e32 v4, v11
	s_waitcnt vmcnt(3) lgkmcnt(3)
	ds_write_b32 v16, v19
	s_waitcnt vmcnt(2) lgkmcnt(3)
	ds_write_b32 v16, v20 offset:1056
	s_waitcnt vmcnt(1) lgkmcnt(3)
	ds_write_b32 v16, v12 offset:2112
	;; [unrolled: 2-line block ×3, first 2 shown]
.LBB137_22:
	v_lshlrev_b32_e32 v16, 2, v5
	v_lshl_or_b32 v10, v2, 7, v15
	s_waitcnt lgkmcnt(0)
	s_barrier
	buffer_gl0_inv
	v_cmp_gt_u32_e64 s2, v16, v2
	v_lshl_add_u32 v12, v16, 2, v10
	v_mad_u32_u24 v10, 0x210, v5, v15
	s_and_saveexec_b32 s1, s2
	s_cbranch_execz .LBB137_24
; %bb.23:
	ds_read_b32 v11, v10
	s_waitcnt lgkmcnt(0)
	ds_write_b32 v12, v11
.LBB137_24:
	s_or_b32 exec_lo, exec_lo, s1
	v_or_b32_e32 v23, 1, v16
	v_cmp_ge_u32_e64 s3, v16, v2
	v_mad_u32_u24 v11, 0x84, v23, v15
	s_and_saveexec_b32 s1, s3
	s_cbranch_execz .LBB137_26
; %bb.25:
	ds_read_b32 v13, v11
	s_waitcnt lgkmcnt(0)
	ds_write_b32 v12, v13 offset:4
.LBB137_26:
	s_or_b32 exec_lo, exec_lo, s1
	v_or_b32_e32 v13, 2, v16
	v_cmp_gt_u32_e64 s4, v13, v2
	s_and_saveexec_b32 s1, s4
	s_cbranch_execz .LBB137_28
; %bb.27:
	v_mad_u32_u24 v13, 0x84, v13, v15
	ds_read_b32 v13, v13
	s_waitcnt lgkmcnt(0)
	ds_write_b32 v12, v13 offset:8
.LBB137_28:
	s_or_b32 exec_lo, exec_lo, s1
	v_or_b32_e32 v17, 3, v16
	s_mov_b32 s1, exec_lo
	v_cmp_gt_u32_e64 s5, v17, v2
	v_mul_u32_u24_e32 v13, 0x84, v17
	v_cmpx_le_u32_e64 v17, v2
	s_xor_b32 s1, exec_lo, s1
; %bb.29:
	v_mul_u32_u24_e32 v13, 0x84, v17
                                        ; implicit-def: $vgpr17
                                        ; implicit-def: $vgpr12
; %bb.30:
	s_andn2_saveexec_b32 s1, s1
	s_cbranch_execz .LBB137_32
; %bb.31:
	v_mad_u32_u24 v17, 0x84, v17, v15
	ds_read_b32 v17, v17
	s_waitcnt lgkmcnt(0)
	ds_write_b32 v12, v17 offset:12
.LBB137_32:
	s_or_b32 exec_lo, exec_lo, s1
	v_lshlrev_b32_e32 v25, 2, v16
	s_waitcnt lgkmcnt(0)
	s_barrier
	buffer_gl0_inv
	ds_read_b32 v12, v10
	ds_read_b128 v[26:29], v25 offset:4544
	ds_read2_b32 v[10:11], v11 offset1:33
	v_add_nc_u32_e32 v20, v15, v13
	v_mul_u32_u24_e32 v17, 33, v2
	v_mov_b32_e32 v32, 0
	v_cmp_gt_u32_e64 s1, 32, v14
	ds_read_b32 v13, v20
	v_lshlrev_b32_e32 v17, 2, v17
	s_waitcnt lgkmcnt(0)
	s_barrier
	buffer_gl0_inv
	v_lshl_add_u32 v19, v5, 2, v17
	v_fma_f32 v12, v12, v26, 0
	v_fmac_f32_e32 v12, v10, v27
	v_fmac_f32_e32 v12, v11, v28
	;; [unrolled: 1-line block ×3, first 2 shown]
	ds_write_b32 v19, v12
	s_waitcnt lgkmcnt(0)
	s_barrier
	buffer_gl0_inv
	s_and_saveexec_b32 s7, s1
	s_cbranch_execz .LBB137_34
; %bb.33:
	ds_read2_b32 v[10:11], v17 offset1:1
	ds_read2_b32 v[12:13], v17 offset0:2 offset1:3
	ds_read2_b32 v[26:27], v17 offset0:4 offset1:5
	;; [unrolled: 1-line block ×3, first 2 shown]
	s_waitcnt lgkmcnt(3)
	v_add_f32_e32 v10, v10, v11
	s_waitcnt lgkmcnt(2)
	v_add_f32_e32 v10, v10, v12
	v_add_f32_e32 v10, v10, v13
	s_waitcnt lgkmcnt(1)
	v_add_f32_e32 v10, v10, v26
	;; [unrolled: 3-line block ×3, first 2 shown]
	v_add_f32_e32 v32, v10, v29
.LBB137_34:
	s_or_b32 exec_lo, exec_lo, s7
	s_lshl_b32 s20, s10, 5
	s_ashr_i32 s21, s20, 31
	s_barrier
	s_lshl_b64 s[14:15], s[20:21], 2
	buffer_gl0_inv
	v_add_co_u32 v10, vcc_lo, v3, s14
	v_add_co_ci_u32_e64 v11, null, s15, v4, vcc_lo
	v_add_co_u32 v3, vcc_lo, 0x80, v10
	v_add_co_ci_u32_e64 v4, null, 0, v11, vcc_lo
	s_and_b32 vcc_lo, exec_lo, s13
	s_cbranch_vccz .LBB137_44
; %bb.35:
	v_sub_co_u32 v12, vcc_lo, v10, v15
	s_ashr_i32 s9, s8, 31
	v_subrev_co_ci_u32_e64 v13, null, 0, v11, vcc_lo
	s_lshl_b64 s[22:23], s[8:9], 2
	v_or_b32_e32 v22, 32, v2
	v_add_co_u32 v12, vcc_lo, v12, s22
	v_add_co_ci_u32_e64 v13, null, s23, v13, vcc_lo
	v_mov_b32_e32 v26, 0
	v_add_co_u32 v12, vcc_lo, v12, -4
	v_add_co_ci_u32_e64 v13, null, -1, v13, vcc_lo
	v_cmp_gt_i32_e32 vcc_lo, s8, v22
	v_mov_b32_e32 v22, 0
	s_sub_i32 s9, s8, 32
	s_mov_b32 s11, exec_lo
	v_cndmask_b32_e32 v13, v13, v4, vcc_lo
	v_cndmask_b32_e32 v12, v12, v3, vcc_lo
	v_cmpx_gt_i32_e64 s9, v5
	s_cbranch_execz .LBB137_37
; %bb.36:
	flat_load_dword v22, v[12:13]
.LBB137_37:
	s_or_b32 exec_lo, exec_lo, s11
	v_add_nc_u32_e32 v24, 8, v5
	v_mad_u32_u24 v27, 0x84, v5, v15
	s_mov_b32 s11, exec_lo
	s_waitcnt vmcnt(0) lgkmcnt(0)
	ds_write_b32 v27, v22
	v_cmpx_gt_i32_e64 s9, v24
	s_cbranch_execz .LBB137_39
; %bb.38:
	s_lshl_b32 s30, s10, 3
	s_ashr_i32 s31, s30, 31
	s_lshl_b64 s[30:31], s[30:31], 2
	v_add_co_u32 v26, s7, v12, s30
	v_add_co_ci_u32_e64 v27, null, s31, v13, s7
	flat_load_dword v26, v[26:27]
.LBB137_39:
	s_or_b32 exec_lo, exec_lo, s11
	v_add_nc_u32_e32 v27, 16, v5
	v_add_nc_u32_e32 v22, v21, v15
	v_mov_b32_e32 v24, 0
	v_cmp_gt_i32_e64 s7, s9, v27
	v_mov_b32_e32 v27, 0
	s_waitcnt vmcnt(0) lgkmcnt(0)
	ds_write_b32 v22, v26 offset:1056
	s_and_saveexec_b32 s11, s7
	s_cbranch_execz .LBB137_41
; %bb.40:
	s_lshl_b32 s30, s10, 4
	s_ashr_i32 s31, s30, 31
	s_lshl_b64 s[30:31], s[30:31], 2
	v_add_co_u32 v26, s7, v12, s30
	v_add_co_ci_u32_e64 v27, null, s31, v13, s7
	flat_load_dword v27, v[26:27]
.LBB137_41:
	s_or_b32 exec_lo, exec_lo, s11
	v_add_nc_u32_e32 v26, 24, v5
	s_waitcnt vmcnt(0) lgkmcnt(0)
	ds_write_b32 v22, v27 offset:2112
	v_cmp_gt_i32_e64 s7, s9, v26
	s_and_saveexec_b32 s9, s7
	s_cbranch_execz .LBB137_43
; %bb.42:
	s_mul_i32 s30, s10, 24
	s_ashr_i32 s31, s30, 31
	s_lshl_b64 s[30:31], s[30:31], 2
	v_add_co_u32 v26, s7, v12, s30
	v_add_co_ci_u32_e64 v27, null, s31, v13, s7
	flat_load_dword v24, v[26:27]
.LBB137_43:
	s_or_b32 exec_lo, exec_lo, s9
	v_add_co_u32 v12, s7, v12, v15
	v_add_co_ci_u32_e64 v13, null, 0, v13, s7
	s_waitcnt vmcnt(0) lgkmcnt(0)
	ds_write_b32 v22, v24 offset:3168
	v_sub_co_u32 v12, s7, v12, s22
	v_subrev_co_ci_u32_e64 v13, null, s23, v13, s7
	v_add_co_u32 v12, s7, 0x84, v12
	v_add_co_ci_u32_e64 v13, null, 0, v13, s7
	v_cndmask_b32_e32 v12, v12, v3, vcc_lo
	v_cndmask_b32_e32 v13, v13, v4, vcc_lo
	v_mul_u32_u24_e32 v24, 0x210, v5
	v_mad_u32_u24 v22, 0x84, v5, v15
	s_branch .LBB137_46
.LBB137_44:
                                        ; implicit-def: $vgpr12_vgpr13
	v_mul_u32_u24_e32 v24, 0x210, v5
	v_mad_u32_u24 v22, 0x84, v5, v15
	s_cbranch_execz .LBB137_46
; %bb.45:
	s_lshl_b32 s22, s10, 3
	s_ashr_i32 s11, s10, 31
	s_ashr_i32 s23, s22, 31
	s_lshl_b64 s[22:23], s[22:23], 2
	v_add_co_u32 v12, vcc_lo, v10, s22
	v_add_co_ci_u32_e64 v13, null, s23, v11, vcc_lo
	s_lshl_b64 s[22:23], s[10:11], 5
	v_add_co_u32 v26, vcc_lo, v12, s22
	v_add_co_ci_u32_e64 v27, null, s23, v13, vcc_lo
	v_add_co_u32 v28, vcc_lo, v26, s22
	v_add_co_ci_u32_e64 v29, null, s23, v27, vcc_lo
	s_clause 0x3
	flat_load_dword v10, v[10:11] offset:128
	flat_load_dword v11, v[12:13] offset:128
	;; [unrolled: 1-line block ×4, first 2 shown]
	v_mov_b32_e32 v13, v4
	v_mov_b32_e32 v12, v3
	s_waitcnt vmcnt(3) lgkmcnt(3)
	ds_write_b32 v22, v10
	s_waitcnt vmcnt(2) lgkmcnt(3)
	ds_write_b32 v22, v11 offset:1056
	s_waitcnt vmcnt(1) lgkmcnt(3)
	ds_write_b32 v22, v26 offset:2112
	;; [unrolled: 2-line block ×3, first 2 shown]
.LBB137_46:
	v_mul_u32_u24_e32 v4, 0x84, v23
	v_add_nc_u32_e32 v23, v15, v24
	v_lshl_add_u32 v3, v16, 2, v17
	s_waitcnt lgkmcnt(0)
	s_barrier
	buffer_gl0_inv
	s_and_saveexec_b32 s7, s2
	s_cbranch_execz .LBB137_50
; %bb.47:
	ds_read_b32 v10, v23
	s_waitcnt lgkmcnt(0)
	ds_write_b32 v3, v10
	s_or_b32 exec_lo, exec_lo, s7
	v_add_nc_u32_e32 v24, v15, v4
	s_and_saveexec_b32 s2, s3
	s_cbranch_execnz .LBB137_51
.LBB137_48:
	s_or_b32 exec_lo, exec_lo, s2
	s_and_saveexec_b32 s2, s4
	s_cbranch_execz .LBB137_52
.LBB137_49:
	ds_read_b32 v4, v24 offset:132
	s_waitcnt lgkmcnt(0)
	ds_write_b32 v3, v4 offset:8
	s_or_b32 exec_lo, exec_lo, s2
	v_add_nc_u32_e32 v25, 0x11c0, v25
	s_and_saveexec_b32 s2, s5
	s_cbranch_execnz .LBB137_53
	s_branch .LBB137_54
.LBB137_50:
	s_or_b32 exec_lo, exec_lo, s7
	v_add_nc_u32_e32 v24, v15, v4
	s_and_saveexec_b32 s2, s3
	s_cbranch_execz .LBB137_48
.LBB137_51:
	ds_read_b32 v4, v24
	s_waitcnt lgkmcnt(0)
	ds_write_b32 v3, v4 offset:4
	s_or_b32 exec_lo, exec_lo, s2
	s_and_saveexec_b32 s2, s4
	s_cbranch_execnz .LBB137_49
.LBB137_52:
	s_or_b32 exec_lo, exec_lo, s2
	v_add_nc_u32_e32 v25, 0x11c0, v25
	s_and_saveexec_b32 s2, s5
	s_cbranch_execz .LBB137_54
.LBB137_53:
	ds_read_b32 v4, v20
	s_waitcnt lgkmcnt(0)
	ds_write_b32 v3, v4 offset:12
.LBB137_54:
	s_or_b32 exec_lo, exec_lo, s2
	s_waitcnt lgkmcnt(0)
	s_barrier
	buffer_gl0_inv
	ds_read_b32 v10, v23
	ds_read_b128 v[26:29], v25 offset:128
	ds_read2_b32 v[3:4], v24 offset1:33
	ds_read_b32 v11, v20
	v_cmp_eq_u32_e64 s2, 1, v5
	s_waitcnt lgkmcnt(0)
	s_barrier
	buffer_gl0_inv
	v_fma_f32 v10, v10, v26, 0
	v_fmac_f32_e32 v10, v3, v27
	v_fmac_f32_e32 v10, v4, v28
	;; [unrolled: 1-line block ×3, first 2 shown]
	ds_write_b32 v19, v10
	s_waitcnt lgkmcnt(0)
	s_barrier
	buffer_gl0_inv
	s_and_saveexec_b32 s3, s2
	s_cbranch_execz .LBB137_56
; %bb.55:
	ds_read2_b32 v[3:4], v17 offset1:1
	ds_read2_b32 v[10:11], v17 offset0:2 offset1:3
	ds_read2_b32 v[26:27], v17 offset0:4 offset1:5
	;; [unrolled: 1-line block ×3, first 2 shown]
	s_waitcnt lgkmcnt(3)
	v_add_f32_e32 v3, v3, v4
	s_waitcnt lgkmcnt(2)
	v_add_f32_e32 v3, v3, v10
	v_add_f32_e32 v3, v3, v11
	s_waitcnt lgkmcnt(1)
	v_add_f32_e32 v3, v3, v26
	;; [unrolled: 3-line block ×3, first 2 shown]
	v_add_f32_e32 v32, v3, v29
.LBB137_56:
	s_or_b32 exec_lo, exec_lo, s3
	v_add_co_u32 v3, vcc_lo, 0xffffff80, v12
	v_add_co_ci_u32_e64 v4, null, -1, v13, vcc_lo
	s_and_b32 vcc_lo, exec_lo, s13
	s_barrier
	buffer_gl0_inv
	s_cbranch_vccz .LBB137_66
; %bb.57:
	v_sub_co_u32 v10, vcc_lo, v3, v15
	s_ashr_i32 s9, s8, 31
	v_subrev_co_ci_u32_e64 v11, null, 0, v4, vcc_lo
	s_lshl_b64 s[4:5], s[8:9], 2
	v_mov_b32_e32 v13, 0
	v_add_co_u32 v10, vcc_lo, v10, s4
	v_add_co_ci_u32_e64 v11, null, s5, v11, vcc_lo
	v_mov_b32_e32 v12, 0
	v_add_co_u32 v10, vcc_lo, v10, -4
	v_add_co_ci_u32_e64 v11, null, -1, v11, vcc_lo
	v_cmp_gt_i32_e32 vcc_lo, s8, v2
	s_sub_i32 s7, s8, 32
	s_mov_b32 s9, exec_lo
	v_cndmask_b32_e32 v11, v11, v4, vcc_lo
	v_cndmask_b32_e32 v10, v10, v3, vcc_lo
	v_cmpx_gt_i32_e64 s7, v5
	s_cbranch_execz .LBB137_59
; %bb.58:
	flat_load_dword v12, v[10:11]
.LBB137_59:
	s_or_b32 exec_lo, exec_lo, s9
	v_add_nc_u32_e32 v2, 8, v5
	s_mov_b32 s9, exec_lo
	s_waitcnt vmcnt(0) lgkmcnt(0)
	ds_write_b32 v22, v12
	v_cmpx_gt_i32_e64 s7, v2
	s_cbranch_execz .LBB137_61
; %bb.60:
	s_lshl_b32 s22, s10, 3
	s_ashr_i32 s23, s22, 31
	s_lshl_b64 s[22:23], s[22:23], 2
	v_add_co_u32 v12, s3, v10, s22
	v_add_co_ci_u32_e64 v13, null, s23, v11, s3
	flat_load_dword v13, v[12:13]
.LBB137_61:
	s_or_b32 exec_lo, exec_lo, s9
	v_add_nc_u32_e32 v12, 16, v5
	v_add_nc_u32_e32 v21, v21, v15
	v_mov_b32_e32 v26, 0
	v_mov_b32_e32 v27, 0
	s_mov_b32 s9, exec_lo
	s_waitcnt vmcnt(0) lgkmcnt(0)
	ds_write_b32 v21, v13 offset:1056
	v_cmpx_gt_i32_e64 s7, v12
	s_cbranch_execz .LBB137_63
; %bb.62:
	s_lshl_b32 s22, s10, 4
	s_ashr_i32 s23, s22, 31
	s_lshl_b64 s[22:23], s[22:23], 2
	v_add_co_u32 v27, s3, v10, s22
	v_add_co_ci_u32_e64 v28, null, s23, v11, s3
	flat_load_dword v27, v[27:28]
.LBB137_63:
	s_or_b32 exec_lo, exec_lo, s9
	v_add_nc_u32_e32 v13, 24, v5
	s_waitcnt vmcnt(0) lgkmcnt(0)
	ds_write_b32 v21, v27 offset:2112
	v_cmp_gt_i32_e64 s3, s7, v13
	s_and_saveexec_b32 s7, s3
	s_cbranch_execz .LBB137_65
; %bb.64:
	s_mul_i32 s22, s10, 24
	s_ashr_i32 s23, s22, 31
	s_lshl_b64 s[22:23], s[22:23], 2
	v_add_co_u32 v26, s3, v10, s22
	v_add_co_ci_u32_e64 v27, null, s23, v11, s3
	flat_load_dword v26, v[26:27]
.LBB137_65:
	s_or_b32 exec_lo, exec_lo, s7
	v_add_co_u32 v10, s3, v10, v15
	v_add_co_ci_u32_e64 v11, null, 0, v11, s3
	s_waitcnt vmcnt(0) lgkmcnt(0)
	ds_write_b32 v21, v26 offset:3168
	v_sub_co_u32 v10, s3, v10, s4
	v_subrev_co_ci_u32_e64 v11, null, s5, v11, s3
	v_add_co_u32 v10, s3, v10, 4
	v_add_co_ci_u32_e64 v11, null, 0, v11, s3
	v_cndmask_b32_e32 v10, v10, v3, vcc_lo
	v_cndmask_b32_e32 v11, v11, v4, vcc_lo
	s_branch .LBB137_68
.LBB137_66:
                                        ; implicit-def: $vgpr10_vgpr11
                                        ; implicit-def: $vgpr2
                                        ; implicit-def: $vgpr12
                                        ; implicit-def: $vgpr13
	s_cbranch_execz .LBB137_68
; %bb.67:
	s_lshl_b32 s4, s10, 3
	s_ashr_i32 s11, s10, 31
	s_ashr_i32 s5, s4, 31
	v_add_nc_u32_e32 v2, 8, v5
	s_lshl_b64 s[4:5], s[4:5], 2
	v_add_co_u32 v10, vcc_lo, v3, s4
	v_add_co_ci_u32_e64 v11, null, s5, v4, vcc_lo
	s_lshl_b64 s[4:5], s[10:11], 5
	v_add_co_u32 v12, vcc_lo, v10, s4
	v_add_co_ci_u32_e64 v13, null, s5, v11, vcc_lo
	v_add_co_u32 v26, vcc_lo, v12, s4
	v_add_co_ci_u32_e64 v27, null, s5, v13, vcc_lo
	s_clause 0x3
	flat_load_dword v15, v[3:4]
	flat_load_dword v21, v[10:11]
	;; [unrolled: 1-line block ×4, first 2 shown]
	v_mov_b32_e32 v11, v4
	v_add_nc_u32_e32 v12, 16, v5
	v_add_nc_u32_e32 v13, 24, v5
	v_mov_b32_e32 v10, v3
	s_waitcnt vmcnt(3) lgkmcnt(3)
	ds_write_b32 v22, v15
	s_waitcnt vmcnt(2) lgkmcnt(3)
	ds_write_b32 v22, v21 offset:1056
	s_waitcnt vmcnt(1) lgkmcnt(3)
	ds_write_b32 v22, v28 offset:2112
	;; [unrolled: 2-line block ×3, first 2 shown]
.LBB137_68:
	v_lshlrev_b32_e32 v2, 2, v2
	v_add_nc_u32_e32 v3, v17, v16
	v_lshlrev_b32_e32 v5, 2, v12
	v_lshlrev_b32_e32 v12, 2, v13
	s_waitcnt lgkmcnt(0)
	v_add_nc_u32_e32 v4, v17, v2
	s_barrier
	buffer_gl0_inv
	ds_read_b32 v13, v16 offset:4544
	ds_read_b32 v21, v3
	ds_read_b32 v22, v4
	;; [unrolled: 1-line block ×3, first 2 shown]
	ds_read_b32 v23, v12 offset:4544
	ds_read_b32 v26, v5 offset:4544
	;; [unrolled: 1-line block ×3, first 2 shown]
	v_add_nc_u32_e32 v2, v17, v5
	v_add_nc_u32_e32 v3, v17, v12
	ds_read_b32 v28, v2
	ds_read_b32 v29, v3
	ds_read_b128 v[2:5], v25 offset:128
	ds_read_b32 v16, v20
	s_waitcnt lgkmcnt(9)
	v_fma_f32 v20, v21, v13, 0
	ds_read2_b32 v[12:13], v24 offset1:33
	s_waitcnt lgkmcnt(0)
	s_barrier
	buffer_gl0_inv
	v_fmac_f32_e32 v20, v22, v27
	v_fmac_f32_e32 v20, v28, v26
	;; [unrolled: 1-line block ×3, first 2 shown]
	ds_write_b32 v19, v20
	s_waitcnt lgkmcnt(0)
	s_barrier
	buffer_gl0_inv
	s_and_saveexec_b32 s3, s2
	s_cbranch_execz .LBB137_70
; %bb.69:
	ds_read2_b32 v[20:21], v17 offset1:1
	ds_read2_b32 v[22:23], v17 offset0:2 offset1:3
	ds_read2_b32 v[24:25], v17 offset0:4 offset1:5
	;; [unrolled: 1-line block ×3, first 2 shown]
	s_waitcnt lgkmcnt(3)
	v_add_f32_e32 v20, v32, v20
	v_add_f32_e32 v20, v20, v21
	s_waitcnt lgkmcnt(2)
	v_add_f32_e32 v20, v20, v22
	v_add_f32_e32 v20, v20, v23
	;; [unrolled: 3-line block ×4, first 2 shown]
.LBB137_70:
	s_or_b32 exec_lo, exec_lo, s3
	v_fma_f32 v2, v15, v2, 0
	s_barrier
	buffer_gl0_inv
	v_fmac_f32_e32 v2, v12, v3
	v_fmac_f32_e32 v2, v13, v4
	;; [unrolled: 1-line block ×3, first 2 shown]
	ds_write_b32 v19, v2
	s_waitcnt lgkmcnt(0)
	s_barrier
	buffer_gl0_inv
	s_and_saveexec_b32 s2, s1
	s_cbranch_execz .LBB137_72
; %bb.71:
	ds_read2_b32 v[2:3], v17 offset1:1
	ds_read2_b32 v[4:5], v17 offset0:2 offset1:3
	ds_read2_b32 v[12:13], v17 offset0:4 offset1:5
	;; [unrolled: 1-line block ×3, first 2 shown]
	s_waitcnt lgkmcnt(3)
	v_add_f32_e32 v2, v32, v2
	v_add_f32_e32 v2, v2, v3
	s_waitcnt lgkmcnt(2)
	v_add_f32_e32 v2, v2, v4
	v_add_f32_e32 v2, v2, v5
	;; [unrolled: 3-line block ×4, first 2 shown]
.LBB137_72:
	s_or_b32 exec_lo, exec_lo, s2
	s_mul_hi_u32 s1, s24, s16
	s_mul_i32 s25, s25, s16
	s_mul_i32 s2, s24, s16
	s_add_i32 s1, s1, s25
	s_mul_hi_u32 s3, s2, s26
	s_mul_i32 s1, s1, s26
	s_mul_i32 s2, s2, s26
	s_add_i32 s3, s3, s1
	s_mul_hi_i32 s5, s24, s6
	s_lshl_b64 s[2:3], s[2:3], 2
	s_mul_i32 s4, s24, s6
	s_add_u32 s1, s18, s2
	s_addc_u32 s9, s19, s3
	s_lshl_b64 s[2:3], s[4:5], 2
	v_lshlrev_b32_e32 v33, 2, v0
	s_add_u32 s7, s1, s2
	s_addc_u32 s9, s9, s3
	s_add_i32 s1, s6, 1
	s_cmp_ge_u32 s1, s26
	s_barrier
	buffer_gl0_inv
	s_cbranch_scc1 .LBB137_129
; %bb.73:
	v_lshlrev_b32_e32 v34, 2, v1
	s_mul_i32 s2, s17, s12
	s_ashr_i32 s11, s10, 31
	s_ashr_i32 s3, s2, 31
	s_lshl_b32 s18, s10, 1
	v_mad_u64_u32 v[2:3], null, s10, v34, v[0:1]
	s_lshl_b64 s[2:3], s[2:3], 2
	s_mul_i32 s22, s10, 3
	v_sub_co_u32 v35, vcc_lo, v6, s2
	s_lshl_b32 s2, s10, 4
	s_mul_i32 s1, s17, s1
	v_subrev_co_ci_u32_e64 v36, null, s3, v7, vcc_lo
	v_add_co_u32 v37, vcc_lo, v10, s14
	v_ashrrev_i32_e32 v3, 31, v2
	s_lshl_b64 s[24:25], s[10:11], 3
	s_add_i32 s29, s26, -2
	s_lshl_b32 s30, s17, 6
	s_ashr_i32 s3, s2, 31
	s_ashr_i32 s19, s18, 31
	;; [unrolled: 1-line block ×3, first 2 shown]
	s_lshl_b64 s[16:17], s[10:11], 2
	s_lshl_b32 s4, s1, 6
	v_add_co_ci_u32_e64 v38, null, s15, v11, vcc_lo
	v_sub_co_u32 v39, vcc_lo, 0, v8
	s_add_u32 s1, s24, s14
	v_sub_co_ci_u32_e64 v40, null, 0, v9, vcc_lo
	s_addc_u32 s5, s25, s15
	v_add_co_u32 v41, vcc_lo, v10, s1
	v_lshlrev_b64 v[4:5], 2, v[2:3]
	v_add_co_ci_u32_e64 v42, null, s5, v11, vcc_lo
	v_add_co_u32 v6, vcc_lo, s20, v2
	v_add_co_ci_u32_e64 v7, null, s21, v3, vcc_lo
	v_sub_co_u32 v43, vcc_lo, v4, v8
	v_sub_co_ci_u32_e64 v44, null, v5, v9, vcc_lo
	v_lshlrev_b64 v[4:5], 2, v[6:7]
	s_lshl_b64 s[12:13], s[2:3], 4
	s_add_u32 s36, s16, s14
	s_addc_u32 s37, s17, s15
	s_lshl_b64 s[18:19], s[18:19], 2
	s_mul_i32 s33, s10, 12
	s_add_u32 s38, s14, s18
	s_mul_hi_i32 s31, s10, 12
	v_add_co_u32 v6, vcc_lo, s33, v4
	s_addc_u32 s39, s15, s19
	s_lshl_b64 s[22:23], s[22:23], 2
	v_add_co_ci_u32_e64 v7, null, s31, v5, vcc_lo
	s_add_u32 s40, s14, s22
	s_addc_u32 s41, s15, s23
	s_lshl_b64 s[34:35], s[2:3], 2
	v_add_co_u32 v45, vcc_lo, v10, v6
	s_add_u32 s42, s1, s34
	s_addc_u32 s43, s5, s35
	v_add_co_ci_u32_e64 v46, null, v11, v7, vcc_lo
	v_add_co_u32 v47, vcc_lo, v10, s36
	s_add_u32 s20, s20, s2
	v_add_co_ci_u32_e64 v48, null, s37, v11, vcc_lo
	s_addc_u32 s21, s21, s3
	v_add_co_u32 v2, vcc_lo, s20, v2
	v_add_co_ci_u32_e64 v3, null, s21, v3, vcc_lo
	v_add_co_u32 v49, vcc_lo, v10, s38
	v_add_co_ci_u32_e64 v50, null, s39, v11, vcc_lo
	v_lshlrev_b64 v[2:3], 2, v[2:3]
	v_add_co_u32 v51, vcc_lo, v10, s40
	v_add_co_ci_u32_e64 v52, null, s41, v11, vcc_lo
	s_add_u32 s20, s36, s34
	v_add_co_u32 v2, vcc_lo, s33, v2
	v_add_co_ci_u32_e64 v3, null, s31, v3, vcc_lo
	v_add_co_u32 v53, vcc_lo, v10, s42
	v_add_co_ci_u32_e64 v54, null, s43, v11, vcc_lo
	v_add_co_u32 v55, vcc_lo, v10, v2
	v_add_co_ci_u32_e64 v56, null, v11, v3, vcc_lo
	s_addc_u32 s21, s37, s35
	v_add_co_u32 v57, vcc_lo, v10, s20
	s_add_u32 s20, s14, s34
	v_add_co_ci_u32_e64 v58, null, s21, v11, vcc_lo
	s_addc_u32 s21, s15, s35
	v_add_co_u32 v59, vcc_lo, v10, s20
	s_add_u32 s34, s20, s18
	v_add_co_ci_u32_e64 v60, null, s21, v11, vcc_lo
	;; [unrolled: 4-line block ×3, first 2 shown]
	s_addc_u32 s35, s21, s23
	s_lshl_b64 s[20:21], s[2:3], 3
	v_add_co_u32 v63, vcc_lo, v10, s34
	s_add_u32 s1, s1, s20
	s_addc_u32 s5, s5, s21
	s_add_u32 s33, s33, s20
	s_addc_u32 s31, s31, s21
	;; [unrolled: 2-line block ×3, first 2 shown]
	v_add_co_ci_u32_e64 v64, null, s35, v11, vcc_lo
	v_add_co_u32 v6, vcc_lo, s33, v4
	s_add_u32 s20, s14, s16
	s_addc_u32 s21, s15, s17
	v_add_co_ci_u32_e64 v7, null, s31, v5, vcc_lo
	s_add_u32 s31, s14, s18
	s_addc_u32 s33, s15, s19
	s_add_u32 s34, s14, s22
	s_mul_i32 s36, s10, 0xc0
	s_addc_u32 s35, s15, s23
	s_mul_hi_i32 s37, s2, 12
	s_add_u32 s24, s36, s24
	s_addc_u32 s25, s37, s25
	s_add_u32 s10, s10, s2
	v_add_co_u32 v65, vcc_lo, v10, s1
	v_mad_u64_u32 v[2:3], null, s10, 12, v[4:5]
	v_add_co_ci_u32_e64 v66, null, s5, v11, vcc_lo
	v_add_co_u32 v67, vcc_lo, v10, v6
	s_addc_u32 s1, s11, s3
	v_add_co_ci_u32_e64 v68, null, v11, v7, vcc_lo
	v_mad_u64_u32 v[6:7], null, s1, 12, v[3:4]
	v_mad_i64_i32 v[7:8], null, s2, 12, v[4:5]
	v_add_co_u32 v69, vcc_lo, v10, s20
	v_add_co_ci_u32_e64 v70, null, s21, v11, vcc_lo
	v_add_co_u32 v3, vcc_lo, s24, v4
	v_add_co_ci_u32_e64 v4, null, s25, v5, vcc_lo
	;; [unrolled: 2-line block ×9, first 2 shown]
	v_add_co_u32 v79, vcc_lo, v10, v2
	v_lshrrev_b32_e32 v2, 2, v14
	v_and_b32_e32 v3, 48, v0
	v_and_b32_e32 v4, 15, v0
	v_add_co_ci_u32_e64 v80, null, v11, v5, vcc_lo
	v_add_co_u32 v81, vcc_lo, v10, v6
	v_add_co_ci_u32_e64 v82, null, v11, v9, vcc_lo
	v_add_co_u32 v83, vcc_lo, v10, v7
	v_and_b32_e32 v2, 0x1ffc, v2
	v_lshlrev_b32_e32 v3, 2, v3
	v_or_b32_e32 v5, 60, v33
	v_mul_u32_u24_e32 v6, 0x10c, v4
	v_and_b32_e32 v7, 0x7ff0, v14
	v_add_co_ci_u32_e64 v84, null, v11, v8, vcc_lo
	v_add_co_u32 v85, vcc_lo, v10, s31
	v_add_co_ci_u32_e64 v86, null, s33, v11, vcc_lo
	v_add_co_u32 v87, vcc_lo, v10, s34
	v_add_co_ci_u32_e64 v88, null, s35, v11, vcc_lo
	v_mad_u32_u24 v89, 0x10c, v4, v2
	v_mad_u32_u24 v90, 0x10c, v4, v3
	;; [unrolled: 1-line block ×3, first 2 shown]
	v_cmp_gt_u32_e64 s1, 64, v14
	v_add_nc_u32_e32 v92, v6, v7
	v_lshl_add_u32 v93, v1, 4, 0x10c0
	v_add_nc_u32_e32 v94, 0x11c0, v33
	v_mad_u32_u24 v95, 0x430, v1, v33
	v_add_nc_u32_e32 v96, 17, v34
	v_add_nc_u32_e32 v97, 18, v34
	;; [unrolled: 1-line block ×12, first 2 shown]
	s_cmp_eq_u32 s29, s6
	s_cselect_b32 s3, s27, 0
	s_and_saveexec_b32 s2, s0
	s_cbranch_execz .LBB137_78
	s_branch .LBB137_75
.LBB137_74:                             ;   in Loop: Header=BB137_78 Depth=1
	s_mov_b32 s6, s2
	s_cmp_eq_u32 s29, s6
	s_cselect_b32 s3, s27, 0
	s_and_saveexec_b32 s2, s0
	s_cbranch_execz .LBB137_78
.LBB137_75:
	v_cmp_gt_i32_e32 vcc_lo, s3, v0
	s_cmp_eq_u32 s3, 0
	v_mov_b32_e32 v2, 0
	s_cselect_b32 s5, -1, 0
	s_or_b32 s5, s5, vcc_lo
	s_and_saveexec_b32 s10, s5
	s_cbranch_execz .LBB137_77
; %bb.76:
	s_ashr_i32 s5, s4, 31
	s_lshl_b64 s[14:15], s[4:5], 2
	v_add_co_u32 v2, vcc_lo, v35, s14
	v_add_co_ci_u32_e64 v3, null, s15, v36, vcc_lo
	flat_load_dword v2, v[2:3]
.LBB137_77:
	s_or_b32 exec_lo, exec_lo, s10
	v_add_nc_u32_e32 v3, 0x10c0, v33
	s_waitcnt vmcnt(0) lgkmcnt(0)
	ds_write_b32 v3, v2
.LBB137_78:                             ; =>This Inner Loop Header: Depth=1
	s_or_b32 exec_lo, exec_lo, s2
	s_cmp_eq_u32 s3, 0
	v_add_co_u32 v2, vcc_lo, v37, v43
	s_cselect_b32 s5, -1, 0
	s_cmp_lg_u32 s3, 0
	v_add_co_ci_u32_e64 v3, null, v38, v44, vcc_lo
	s_cselect_b32 s2, -1, 0
	s_mov_b32 s10, -1
	s_and_b32 vcc_lo, exec_lo, s2
	s_waitcnt lgkmcnt(0)
	s_barrier
	buffer_gl0_inv
                                        ; implicit-def: $vgpr108
                                        ; implicit-def: $vgpr109
                                        ; implicit-def: $vgpr107
                                        ; implicit-def: $vgpr110
	s_cbranch_vccz .LBB137_88
; %bb.79:                               ;   in Loop: Header=BB137_78 Depth=1
	v_mov_b32_e32 v107, 0
	v_mov_b32_e32 v110, 0
	s_mov_b32 s10, exec_lo
	v_cmpx_gt_i32_e64 s3, v34
	s_cbranch_execz .LBB137_81
; %bb.80:                               ;   in Loop: Header=BB137_78 Depth=1
	flat_load_dword v110, v[2:3]
.LBB137_81:                             ;   in Loop: Header=BB137_78 Depth=1
	s_or_b32 exec_lo, exec_lo, s10
	v_or_b32_e32 v4, 1, v34
	s_mov_b32 s10, exec_lo
	v_cmpx_gt_i32_e64 s3, v4
	s_cbranch_execz .LBB137_83
; %bb.82:                               ;   in Loop: Header=BB137_78 Depth=1
	v_add_co_u32 v4, vcc_lo, v47, v43
	v_add_co_ci_u32_e64 v5, null, v48, v44, vcc_lo
	flat_load_dword v107, v[4:5]
.LBB137_83:                             ;   in Loop: Header=BB137_78 Depth=1
	s_or_b32 exec_lo, exec_lo, s10
	v_or_b32_e32 v4, 2, v34
	v_mov_b32_e32 v108, 0
	v_mov_b32_e32 v109, 0
	s_mov_b32 s10, exec_lo
	v_cmpx_gt_i32_e64 s3, v4
	s_cbranch_execz .LBB137_85
; %bb.84:                               ;   in Loop: Header=BB137_78 Depth=1
	v_add_co_u32 v4, vcc_lo, v49, v43
	v_add_co_ci_u32_e64 v5, null, v50, v44, vcc_lo
	flat_load_dword v109, v[4:5]
.LBB137_85:                             ;   in Loop: Header=BB137_78 Depth=1
	s_or_b32 exec_lo, exec_lo, s10
	v_or_b32_e32 v4, 3, v34
	s_mov_b32 s10, exec_lo
	v_cmpx_gt_i32_e64 s3, v4
	s_cbranch_execz .LBB137_87
; %bb.86:                               ;   in Loop: Header=BB137_78 Depth=1
	v_add_co_u32 v4, vcc_lo, v51, v43
	v_add_co_ci_u32_e64 v5, null, v52, v44, vcc_lo
	flat_load_dword v108, v[4:5]
.LBB137_87:                             ;   in Loop: Header=BB137_78 Depth=1
	s_or_b32 exec_lo, exec_lo, s10
	s_mov_b32 s10, 0
.LBB137_88:                             ;   in Loop: Header=BB137_78 Depth=1
	s_and_b32 vcc_lo, exec_lo, s10
	s_cbranch_vccz .LBB137_90
; %bb.89:                               ;   in Loop: Header=BB137_78 Depth=1
	v_add_co_u32 v4, vcc_lo, v47, v43
	v_add_co_ci_u32_e64 v5, null, v48, v44, vcc_lo
	v_add_co_u32 v6, vcc_lo, v41, v43
	v_add_co_ci_u32_e64 v7, null, v42, v44, vcc_lo
	;; [unrolled: 2-line block ×3, first 2 shown]
	s_waitcnt vmcnt(0) lgkmcnt(0)
	flat_load_dword v110, v[2:3]
	flat_load_dword v107, v[4:5]
	;; [unrolled: 1-line block ×4, first 2 shown]
.LBB137_90:                             ;   in Loop: Header=BB137_78 Depth=1
	ds_read_b32 v6, v94
	ds_read_b128 v[2:5], v93
	v_cndmask_b32_e64 v14, 0, 1, s2
                                        ; implicit-def: $vgpr113
                                        ; implicit-def: $vgpr114
                                        ; implicit-def: $vgpr111
                                        ; implicit-def: $vgpr112
	s_waitcnt vmcnt(0) lgkmcnt(1)
	v_mul_f32_e32 v7, v110, v6
	v_mul_f32_e32 v8, v107, v6
	;; [unrolled: 1-line block ×4, first 2 shown]
	ds_write2_b32 v95, v7, v8 offset1:67
	ds_write2_b32 v95, v9, v6 offset0:134 offset1:201
	s_waitcnt lgkmcnt(0)
	s_barrier
	buffer_gl0_inv
	ds_read2_b32 v[22:23], v92 offset1:1
	ds_read2_b32 v[20:21], v92 offset0:2 offset1:3
	v_add_co_u32 v6, vcc_lo, v59, v43
	v_add_co_ci_u32_e64 v7, null, v60, v44, vcc_lo
	s_andn2_b32 vcc_lo, exec_lo, s2
	s_mov_b32 s2, -1
	s_waitcnt lgkmcnt(0)
	s_barrier
	buffer_gl0_inv
	s_cbranch_vccnz .LBB137_100
; %bb.91:                               ;   in Loop: Header=BB137_78 Depth=1
	v_add_nc_u32_e32 v8, 16, v34
	v_mov_b32_e32 v111, 0
	v_mov_b32_e32 v112, 0
	s_mov_b32 s2, exec_lo
	v_cmpx_gt_i32_e64 s3, v8
	s_cbranch_execz .LBB137_93
; %bb.92:                               ;   in Loop: Header=BB137_78 Depth=1
	flat_load_dword v112, v[6:7]
.LBB137_93:                             ;   in Loop: Header=BB137_78 Depth=1
	s_or_b32 exec_lo, exec_lo, s2
	s_mov_b32 s2, exec_lo
	v_cmpx_gt_i32_e64 s3, v96
	s_cbranch_execz .LBB137_95
; %bb.94:                               ;   in Loop: Header=BB137_78 Depth=1
	v_add_co_u32 v8, vcc_lo, v57, v43
	v_add_co_ci_u32_e64 v9, null, v58, v44, vcc_lo
	flat_load_dword v111, v[8:9]
.LBB137_95:                             ;   in Loop: Header=BB137_78 Depth=1
	s_or_b32 exec_lo, exec_lo, s2
	v_mov_b32_e32 v113, 0
	v_mov_b32_e32 v114, 0
	s_mov_b32 s2, exec_lo
	v_cmpx_gt_i32_e64 s3, v97
	s_cbranch_execz .LBB137_97
; %bb.96:                               ;   in Loop: Header=BB137_78 Depth=1
	v_add_co_u32 v8, vcc_lo, v61, v43
	v_add_co_ci_u32_e64 v9, null, v62, v44, vcc_lo
	flat_load_dword v114, v[8:9]
.LBB137_97:                             ;   in Loop: Header=BB137_78 Depth=1
	s_or_b32 exec_lo, exec_lo, s2
	s_mov_b32 s2, exec_lo
	v_cmpx_gt_i32_e64 s3, v98
	s_cbranch_execz .LBB137_99
; %bb.98:                               ;   in Loop: Header=BB137_78 Depth=1
	v_add_co_u32 v8, vcc_lo, v63, v43
	v_add_co_ci_u32_e64 v9, null, v64, v44, vcc_lo
	flat_load_dword v113, v[8:9]
.LBB137_99:                             ;   in Loop: Header=BB137_78 Depth=1
	s_or_b32 exec_lo, exec_lo, s2
	s_mov_b32 s2, 0
.LBB137_100:                            ;   in Loop: Header=BB137_78 Depth=1
	s_and_b32 vcc_lo, exec_lo, s2
	s_cbranch_vccz .LBB137_102
; %bb.101:                              ;   in Loop: Header=BB137_78 Depth=1
	v_add_co_u32 v8, vcc_lo, v57, v43
	v_add_co_ci_u32_e64 v9, null, v58, v44, vcc_lo
	v_add_co_u32 v10, vcc_lo, v53, v43
	v_add_co_ci_u32_e64 v11, null, v54, v44, vcc_lo
	;; [unrolled: 2-line block ×3, first 2 shown]
	s_waitcnt vmcnt(0) lgkmcnt(0)
	flat_load_dword v112, v[6:7]
	flat_load_dword v111, v[8:9]
	;; [unrolled: 1-line block ×4, first 2 shown]
.LBB137_102:                            ;   in Loop: Header=BB137_78 Depth=1
	ds_read_b32 v10, v94
	ds_read_b128 v[6:9], v93 offset:64
	v_cmp_ne_u32_e32 vcc_lo, 1, v14
                                        ; implicit-def: $vgpr117
                                        ; implicit-def: $vgpr118
                                        ; implicit-def: $vgpr115
                                        ; implicit-def: $vgpr116
	s_and_b32 vcc_lo, exec_lo, vcc_lo
	s_waitcnt vmcnt(0) lgkmcnt(1)
	v_mul_f32_e32 v11, v112, v10
	v_mul_f32_e32 v12, v111, v10
	;; [unrolled: 1-line block ×4, first 2 shown]
	ds_write2_b32 v95, v11, v12 offset1:67
	ds_write2_b32 v95, v13, v10 offset0:134 offset1:201
	s_waitcnt lgkmcnt(0)
	s_barrier
	buffer_gl0_inv
	ds_read2_b32 v[26:27], v92 offset1:1
	ds_read2_b32 v[24:25], v92 offset0:2 offset1:3
	v_add_co_u32 v10, s2, v75, v43
	v_add_co_ci_u32_e64 v11, null, v76, v44, s2
	s_mov_b32 s2, -1
	s_waitcnt lgkmcnt(0)
	s_barrier
	buffer_gl0_inv
	s_cbranch_vccnz .LBB137_112
; %bb.103:                              ;   in Loop: Header=BB137_78 Depth=1
	v_mov_b32_e32 v115, 0
	v_mov_b32_e32 v116, 0
	s_mov_b32 s2, exec_lo
	v_cmpx_gt_i32_e64 s3, v99
	s_cbranch_execz .LBB137_105
; %bb.104:                              ;   in Loop: Header=BB137_78 Depth=1
	flat_load_dword v116, v[10:11]
.LBB137_105:                            ;   in Loop: Header=BB137_78 Depth=1
	s_or_b32 exec_lo, exec_lo, s2
	s_mov_b32 s2, exec_lo
	v_cmpx_gt_i32_e64 s3, v100
	s_cbranch_execz .LBB137_107
; %bb.106:                              ;   in Loop: Header=BB137_78 Depth=1
	v_add_co_u32 v12, vcc_lo, v69, v43
	v_add_co_ci_u32_e64 v13, null, v70, v44, vcc_lo
	flat_load_dword v115, v[12:13]
.LBB137_107:                            ;   in Loop: Header=BB137_78 Depth=1
	s_or_b32 exec_lo, exec_lo, s2
	v_mov_b32_e32 v117, 0
	v_mov_b32_e32 v118, 0
	s_mov_b32 s2, exec_lo
	v_cmpx_gt_i32_e64 s3, v101
	s_cbranch_execz .LBB137_109
; %bb.108:                              ;   in Loop: Header=BB137_78 Depth=1
	v_add_co_u32 v12, vcc_lo, v85, v43
	v_add_co_ci_u32_e64 v13, null, v86, v44, vcc_lo
	flat_load_dword v118, v[12:13]
.LBB137_109:                            ;   in Loop: Header=BB137_78 Depth=1
	s_or_b32 exec_lo, exec_lo, s2
	s_mov_b32 s2, exec_lo
	v_cmpx_gt_i32_e64 s3, v102
	s_cbranch_execz .LBB137_111
; %bb.110:                              ;   in Loop: Header=BB137_78 Depth=1
	v_add_co_u32 v12, vcc_lo, v87, v43
	v_add_co_ci_u32_e64 v13, null, v88, v44, vcc_lo
	flat_load_dword v117, v[12:13]
.LBB137_111:                            ;   in Loop: Header=BB137_78 Depth=1
	s_or_b32 exec_lo, exec_lo, s2
	s_mov_b32 s2, 0
.LBB137_112:                            ;   in Loop: Header=BB137_78 Depth=1
	s_and_b32 vcc_lo, exec_lo, s2
	s_cbranch_vccz .LBB137_114
; %bb.113:                              ;   in Loop: Header=BB137_78 Depth=1
	v_add_co_u32 v12, vcc_lo, v69, v43
	v_add_co_ci_u32_e64 v13, null, v70, v44, vcc_lo
	v_add_co_u32 v15, vcc_lo, v65, v43
	v_add_co_ci_u32_e64 v16, null, v66, v44, vcc_lo
	;; [unrolled: 2-line block ×3, first 2 shown]
	s_waitcnt vmcnt(0) lgkmcnt(0)
	flat_load_dword v116, v[10:11]
	flat_load_dword v115, v[12:13]
	;; [unrolled: 1-line block ×4, first 2 shown]
.LBB137_114:                            ;   in Loop: Header=BB137_78 Depth=1
	ds_read_b32 v15, v94
	ds_read_b128 v[10:13], v93 offset:128
	v_cmp_ne_u32_e32 vcc_lo, 1, v14
	v_add_co_u32 v14, s2, v73, v39
                                        ; implicit-def: $vgpr121
                                        ; implicit-def: $vgpr122
                                        ; implicit-def: $vgpr119
                                        ; implicit-def: $vgpr120
	s_and_b32 vcc_lo, exec_lo, vcc_lo
	s_waitcnt vmcnt(0) lgkmcnt(1)
	v_mul_f32_e32 v16, v116, v15
	v_mul_f32_e32 v17, v115, v15
	;; [unrolled: 1-line block ×4, first 2 shown]
	ds_write2_b32 v95, v16, v17 offset1:67
	ds_write2_b32 v95, v28, v15 offset0:134 offset1:201
	s_waitcnt lgkmcnt(0)
	s_barrier
	buffer_gl0_inv
	ds_read2_b32 v[30:31], v92 offset1:1
	ds_read2_b32 v[28:29], v92 offset0:2 offset1:3
	v_add_co_ci_u32_e64 v15, null, v74, v40, s2
	s_mov_b32 s2, -1
	s_waitcnt lgkmcnt(0)
	s_barrier
	buffer_gl0_inv
	s_cbranch_vccnz .LBB137_124
; %bb.115:                              ;   in Loop: Header=BB137_78 Depth=1
	v_mov_b32_e32 v119, 0
	v_mov_b32_e32 v120, 0
	s_mov_b32 s2, exec_lo
	v_cmpx_gt_i32_e64 s3, v103
	s_cbranch_execz .LBB137_117
; %bb.116:                              ;   in Loop: Header=BB137_78 Depth=1
	flat_load_dword v120, v[14:15]
.LBB137_117:                            ;   in Loop: Header=BB137_78 Depth=1
	s_or_b32 exec_lo, exec_lo, s2
	s_mov_b32 s2, exec_lo
	v_cmpx_gt_i32_e64 s3, v104
	s_cbranch_execz .LBB137_119
; %bb.118:                              ;   in Loop: Header=BB137_78 Depth=1
	v_add_co_u32 v16, vcc_lo, v79, v39
	v_add_co_ci_u32_e64 v17, null, v80, v40, vcc_lo
	flat_load_dword v119, v[16:17]
.LBB137_119:                            ;   in Loop: Header=BB137_78 Depth=1
	s_or_b32 exec_lo, exec_lo, s2
	v_mov_b32_e32 v121, 0
	v_mov_b32_e32 v122, 0
	s_mov_b32 s2, exec_lo
	v_cmpx_gt_i32_e64 s3, v105
	s_cbranch_execz .LBB137_121
; %bb.120:                              ;   in Loop: Header=BB137_78 Depth=1
	v_add_co_u32 v16, vcc_lo, v81, v39
	v_add_co_ci_u32_e64 v17, null, v82, v40, vcc_lo
	flat_load_dword v122, v[16:17]
.LBB137_121:                            ;   in Loop: Header=BB137_78 Depth=1
	s_or_b32 exec_lo, exec_lo, s2
	s_mov_b32 s2, exec_lo
	v_cmpx_gt_i32_e64 s3, v106
	s_cbranch_execz .LBB137_123
; %bb.122:                              ;   in Loop: Header=BB137_78 Depth=1
	v_add_co_u32 v16, vcc_lo, v83, v39
	v_add_co_ci_u32_e64 v17, null, v84, v40, vcc_lo
	flat_load_dword v121, v[16:17]
.LBB137_123:                            ;   in Loop: Header=BB137_78 Depth=1
	s_or_b32 exec_lo, exec_lo, s2
	s_mov_b32 s2, 0
.LBB137_124:                            ;   in Loop: Header=BB137_78 Depth=1
	s_and_b32 vcc_lo, exec_lo, s2
	s_cbranch_vccz .LBB137_126
; %bb.125:                              ;   in Loop: Header=BB137_78 Depth=1
	v_add_co_u32 v16, vcc_lo, v79, v39
	v_add_co_ci_u32_e64 v17, null, v80, v40, vcc_lo
	s_waitcnt vmcnt(0) lgkmcnt(0)
	v_add_co_u32 v121, vcc_lo, v77, v39
	v_add_co_ci_u32_e64 v122, null, v78, v40, vcc_lo
	v_add_co_u32 v123, vcc_lo, v71, v39
	v_add_co_ci_u32_e64 v124, null, v72, v40, vcc_lo
	flat_load_dword v120, v[14:15]
	flat_load_dword v119, v[16:17]
	;; [unrolled: 1-line block ×4, first 2 shown]
.LBB137_126:                            ;   in Loop: Header=BB137_78 Depth=1
	ds_read_b32 v123, v94
	ds_read_b128 v[14:17], v93 offset:192
	v_add_f32_e32 v26, 0, v26
	v_add_f32_e32 v22, 0, v22
	;; [unrolled: 1-line block ×3, first 2 shown]
	v_cmp_gt_i32_e32 vcc_lo, s3, v0
	v_add_f32_e32 v26, v26, v27
	v_add_f32_e32 v22, v22, v23
	;; [unrolled: 1-line block ×3, first 2 shown]
	s_or_b32 s2, s5, vcc_lo
	v_add_f32_e32 v24, v26, v24
	v_add_f32_e32 v20, v22, v20
	;; [unrolled: 1-line block ×3, first 2 shown]
	s_and_b32 s3, s1, s2
	v_add_f32_e32 v24, v24, v25
	v_add_f32_e32 v20, v20, v21
	s_waitcnt vmcnt(0) lgkmcnt(1)
	v_mul_f32_e32 v124, v120, v123
	v_mul_f32_e32 v125, v119, v123
	;; [unrolled: 1-line block ×4, first 2 shown]
	ds_write2_b32 v95, v124, v125 offset1:67
	ds_write2_b32 v95, v126, v123 offset0:134 offset1:201
	s_waitcnt lgkmcnt(0)
	s_barrier
	buffer_gl0_inv
	ds_read2_b32 v[123:124], v92 offset1:1
	ds_read2_b32 v[125:126], v92 offset0:2 offset1:3
	s_waitcnt lgkmcnt(0)
	s_barrier
	buffer_gl0_inv
	v_add_f32_e32 v123, 0, v123
	v_add_f32_e32 v23, v123, v124
	;; [unrolled: 1-line block ×5, first 2 shown]
	ds_write2_b32 v89, v20, v24 offset1:16
	ds_write2_b32 v89, v23, v21 offset0:32 offset1:48
	s_waitcnt lgkmcnt(0)
	s_barrier
	buffer_gl0_inv
	s_and_saveexec_b32 s2, s3
	s_cbranch_execz .LBB137_128
; %bb.127:                              ;   in Loop: Header=BB137_78 Depth=1
	ds_read2_b32 v[20:21], v90 offset1:1
	ds_read2_b32 v[22:23], v90 offset0:2 offset1:3
	ds_read2_b32 v[24:25], v90 offset0:4 offset1:5
	;; [unrolled: 1-line block ×3, first 2 shown]
	s_waitcnt lgkmcnt(3)
	v_add_f32_e32 v20, v20, v21
	s_waitcnt lgkmcnt(2)
	v_add_f32_e32 v20, v20, v22
	v_add_f32_e32 v22, v20, v23
	ds_read2_b32 v[20:21], v90 offset0:8 offset1:9
	s_waitcnt lgkmcnt(2)
	v_add_f32_e32 v22, v22, v24
	v_add_f32_e32 v24, v22, v25
	ds_read2_b32 v[22:23], v90 offset0:10 offset1:11
	;; [unrolled: 4-line block ×3, first 2 shown]
	ds_read_b32 v27, v90 offset:56
	s_waitcnt lgkmcnt(3)
	v_add_f32_e32 v20, v26, v20
	v_add_f32_e32 v20, v20, v21
	s_waitcnt lgkmcnt(2)
	v_add_f32_e32 v20, v20, v22
	ds_read_b32 v22, v91
	v_add_f32_e32 v20, v20, v23
	s_waitcnt lgkmcnt(2)
	v_add_f32_e32 v20, v20, v24
	v_add_f32_e32 v21, v20, v25
	v_ashrrev_i32_e32 v20, 31, v19
	s_waitcnt lgkmcnt(1)
	v_add_f32_e32 v23, v21, v27
	v_lshlrev_b64 v[20:21], 2, v[19:20]
	s_waitcnt lgkmcnt(0)
	v_add_f32_e32 v22, v23, v22
	v_add_co_u32 v20, vcc_lo, s7, v20
	v_add_co_ci_u32_e64 v21, null, s9, v21, vcc_lo
	global_store_dword v[20:21], v22, off
.LBB137_128:                            ;   in Loop: Header=BB137_78 Depth=1
	s_or_b32 exec_lo, exec_lo, s2
	v_fmac_f32_e32 v32, v110, v2
	v_add_co_u32 v41, vcc_lo, v41, s12
	v_add_co_ci_u32_e64 v42, null, s13, v42, vcc_lo
	v_fmac_f32_e32 v32, v107, v3
	v_add_co_u32 v45, vcc_lo, v45, s12
	v_add_co_ci_u32_e64 v46, null, s13, v46, vcc_lo
	;; [unrolled: 3-line block ×10, first 2 shown]
	v_add_co_u32 v61, vcc_lo, v61, s12
	v_add_co_ci_u32_e64 v62, null, s13, v62, vcc_lo
	v_add_co_u32 v63, vcc_lo, v63, s12
	v_fmac_f32_e32 v32, v118, v12
	v_add_co_ci_u32_e64 v64, null, s13, v64, vcc_lo
	v_add_co_u32 v65, vcc_lo, v65, s12
	v_add_co_ci_u32_e64 v66, null, s13, v66, vcc_lo
	v_add_co_u32 v67, vcc_lo, v67, s12
	v_fmac_f32_e32 v32, v117, v13
	v_add_co_ci_u32_e64 v68, null, s13, v68, vcc_lo
	v_add_co_u32 v69, vcc_lo, v69, s12
	v_add_co_ci_u32_e64 v70, null, s13, v70, vcc_lo
	v_add_co_u32 v75, vcc_lo, v75, s12
	;; [unrolled: 2-line block ×3, first 2 shown]
	v_fmac_f32_e32 v32, v120, v14
	v_add_co_ci_u32_e64 v86, null, s13, v86, vcc_lo
	v_add_co_u32 v87, vcc_lo, v87, s12
	v_add_co_ci_u32_e64 v88, null, s13, v88, vcc_lo
	v_add_co_u32 v77, vcc_lo, v77, s12
	v_fmac_f32_e32 v32, v119, v15
	v_add_co_ci_u32_e64 v78, null, s13, v78, vcc_lo
	v_add_co_u32 v71, vcc_lo, v71, s12
	v_add_co_ci_u32_e64 v72, null, s13, v72, vcc_lo
	v_add_co_u32 v79, vcc_lo, v79, s12
	;; [unrolled: 2-line block ×3, first 2 shown]
	v_fmac_f32_e32 v32, v122, v16
	v_add_co_ci_u32_e64 v74, null, s13, v74, vcc_lo
	v_add_co_u32 v81, vcc_lo, v81, s12
	v_add_co_ci_u32_e64 v82, null, s13, v82, vcc_lo
	v_add_co_u32 v83, vcc_lo, v83, s12
	v_add_nc_u32_e32 v19, 64, v19
	v_fmac_f32_e32 v32, v121, v17
	v_add_co_ci_u32_e64 v84, null, s13, v84, vcc_lo
	s_add_i32 s3, s6, 2
	s_add_i32 s2, s6, 1
	;; [unrolled: 1-line block ×3, first 2 shown]
	s_cmp_ge_u32 s3, s26
	s_waitcnt_vscnt null, 0x0
	s_barrier
	buffer_gl0_inv
	s_cbranch_scc0 .LBB137_74
.LBB137_129:
	v_cmp_gt_i32_e32 vcc_lo, s8, v0
	v_mad_u32_u24 v1, 0x10c, v1, v33
	s_or_b32 s1, s28, vcc_lo
	ds_write_b32 v1, v32
	s_and_b32 s0, s0, s1
	s_waitcnt lgkmcnt(0)
	s_barrier
	buffer_gl0_inv
	s_and_saveexec_b32 s1, s0
	s_cbranch_execz .LBB137_4
; %bb.130:
	ds_read2_b32 v[0:1], v33 offset1:67
	ds_read2_b32 v[2:3], v33 offset0:134 offset1:201
	v_ashrrev_i32_e32 v19, 31, v18
	s_waitcnt lgkmcnt(1)
	v_add_f32_e32 v0, v0, v1
	s_waitcnt lgkmcnt(0)
	v_add_f32_e32 v2, v0, v2
	v_lshlrev_b64 v[0:1], 2, v[18:19]
	v_add_f32_e32 v2, v2, v3
	v_add_co_u32 v0, vcc_lo, s7, v0
	v_add_co_ci_u32_e64 v1, null, s9, v1, vcc_lo
	global_store_dword v[0:1], v2, off
	s_endpgm
	.section	.rodata,"a",@progbits
	.p2align	6, 0x0
	.amdhsa_kernel _ZL26rocblas_hemvn_kernel_upperILb0ELi64ELi4ELi33ELi32ELi16EiPKfPKS1_PfEviT6_lT7_lT5_lS6_lS7_lS5_lT8_i
		.amdhsa_group_segment_fixed_size 4800
		.amdhsa_private_segment_fixed_size 0
		.amdhsa_kernarg_size 376
		.amdhsa_user_sgpr_count 6
		.amdhsa_user_sgpr_private_segment_buffer 1
		.amdhsa_user_sgpr_dispatch_ptr 0
		.amdhsa_user_sgpr_queue_ptr 0
		.amdhsa_user_sgpr_kernarg_segment_ptr 1
		.amdhsa_user_sgpr_dispatch_id 0
		.amdhsa_user_sgpr_flat_scratch_init 0
		.amdhsa_user_sgpr_private_segment_size 0
		.amdhsa_wavefront_size32 1
		.amdhsa_uses_dynamic_stack 0
		.amdhsa_system_sgpr_private_segment_wavefront_offset 0
		.amdhsa_system_sgpr_workgroup_id_x 1
		.amdhsa_system_sgpr_workgroup_id_y 0
		.amdhsa_system_sgpr_workgroup_id_z 1
		.amdhsa_system_sgpr_workgroup_info 0
		.amdhsa_system_vgpr_workitem_id 1
		.amdhsa_next_free_vgpr 127
		.amdhsa_next_free_sgpr 44
		.amdhsa_reserve_vcc 1
		.amdhsa_reserve_flat_scratch 1
		.amdhsa_float_round_mode_32 0
		.amdhsa_float_round_mode_16_64 0
		.amdhsa_float_denorm_mode_32 3
		.amdhsa_float_denorm_mode_16_64 3
		.amdhsa_dx10_clamp 1
		.amdhsa_ieee_mode 1
		.amdhsa_fp16_overflow 0
		.amdhsa_workgroup_processor_mode 1
		.amdhsa_memory_ordered 1
		.amdhsa_forward_progress 1
		.amdhsa_shared_vgpr_count 0
		.amdhsa_exception_fp_ieee_invalid_op 0
		.amdhsa_exception_fp_denorm_src 0
		.amdhsa_exception_fp_ieee_div_zero 0
		.amdhsa_exception_fp_ieee_overflow 0
		.amdhsa_exception_fp_ieee_underflow 0
		.amdhsa_exception_fp_ieee_inexact 0
		.amdhsa_exception_int_div_zero 0
	.end_amdhsa_kernel
	.section	.text._ZL26rocblas_hemvn_kernel_upperILb0ELi64ELi4ELi33ELi32ELi16EiPKfPKS1_PfEviT6_lT7_lT5_lS6_lS7_lS5_lT8_i,"axG",@progbits,_ZL26rocblas_hemvn_kernel_upperILb0ELi64ELi4ELi33ELi32ELi16EiPKfPKS1_PfEviT6_lT7_lT5_lS6_lS7_lS5_lT8_i,comdat
.Lfunc_end137:
	.size	_ZL26rocblas_hemvn_kernel_upperILb0ELi64ELi4ELi33ELi32ELi16EiPKfPKS1_PfEviT6_lT7_lT5_lS6_lS7_lS5_lT8_i, .Lfunc_end137-_ZL26rocblas_hemvn_kernel_upperILb0ELi64ELi4ELi33ELi32ELi16EiPKfPKS1_PfEviT6_lT7_lT5_lS6_lS7_lS5_lT8_i
                                        ; -- End function
	.set _ZL26rocblas_hemvn_kernel_upperILb0ELi64ELi4ELi33ELi32ELi16EiPKfPKS1_PfEviT6_lT7_lT5_lS6_lS7_lS5_lT8_i.num_vgpr, 127
	.set _ZL26rocblas_hemvn_kernel_upperILb0ELi64ELi4ELi33ELi32ELi16EiPKfPKS1_PfEviT6_lT7_lT5_lS6_lS7_lS5_lT8_i.num_agpr, 0
	.set _ZL26rocblas_hemvn_kernel_upperILb0ELi64ELi4ELi33ELi32ELi16EiPKfPKS1_PfEviT6_lT7_lT5_lS6_lS7_lS5_lT8_i.numbered_sgpr, 44
	.set _ZL26rocblas_hemvn_kernel_upperILb0ELi64ELi4ELi33ELi32ELi16EiPKfPKS1_PfEviT6_lT7_lT5_lS6_lS7_lS5_lT8_i.num_named_barrier, 0
	.set _ZL26rocblas_hemvn_kernel_upperILb0ELi64ELi4ELi33ELi32ELi16EiPKfPKS1_PfEviT6_lT7_lT5_lS6_lS7_lS5_lT8_i.private_seg_size, 0
	.set _ZL26rocblas_hemvn_kernel_upperILb0ELi64ELi4ELi33ELi32ELi16EiPKfPKS1_PfEviT6_lT7_lT5_lS6_lS7_lS5_lT8_i.uses_vcc, 1
	.set _ZL26rocblas_hemvn_kernel_upperILb0ELi64ELi4ELi33ELi32ELi16EiPKfPKS1_PfEviT6_lT7_lT5_lS6_lS7_lS5_lT8_i.uses_flat_scratch, 1
	.set _ZL26rocblas_hemvn_kernel_upperILb0ELi64ELi4ELi33ELi32ELi16EiPKfPKS1_PfEviT6_lT7_lT5_lS6_lS7_lS5_lT8_i.has_dyn_sized_stack, 0
	.set _ZL26rocblas_hemvn_kernel_upperILb0ELi64ELi4ELi33ELi32ELi16EiPKfPKS1_PfEviT6_lT7_lT5_lS6_lS7_lS5_lT8_i.has_recursion, 0
	.set _ZL26rocblas_hemvn_kernel_upperILb0ELi64ELi4ELi33ELi32ELi16EiPKfPKS1_PfEviT6_lT7_lT5_lS6_lS7_lS5_lT8_i.has_indirect_call, 0
	.section	.AMDGPU.csdata,"",@progbits
; Kernel info:
; codeLenInByte = 7844
; TotalNumSgprs: 46
; NumVgprs: 127
; ScratchSize: 0
; MemoryBound: 0
; FloatMode: 240
; IeeeMode: 1
; LDSByteSize: 4800 bytes/workgroup (compile time only)
; SGPRBlocks: 0
; VGPRBlocks: 15
; NumSGPRsForWavesPerEU: 46
; NumVGPRsForWavesPerEU: 127
; Occupancy: 8
; WaveLimiterHint : 1
; COMPUTE_PGM_RSRC2:SCRATCH_EN: 0
; COMPUTE_PGM_RSRC2:USER_SGPR: 6
; COMPUTE_PGM_RSRC2:TRAP_HANDLER: 0
; COMPUTE_PGM_RSRC2:TGID_X_EN: 1
; COMPUTE_PGM_RSRC2:TGID_Y_EN: 0
; COMPUTE_PGM_RSRC2:TGID_Z_EN: 1
; COMPUTE_PGM_RSRC2:TIDIG_COMP_CNT: 1
	.section	.text._ZL36rocblas_hemvn_kernel_upper_block_sumILi64EiPKfPKPffEviT1_lS5_lT2_lT0_lPT3_i,"axG",@progbits,_ZL36rocblas_hemvn_kernel_upper_block_sumILi64EiPKfPKPffEviT1_lS5_lT2_lT0_lPT3_i,comdat
	.globl	_ZL36rocblas_hemvn_kernel_upper_block_sumILi64EiPKfPKPffEviT1_lS5_lT2_lT0_lPT3_i ; -- Begin function _ZL36rocblas_hemvn_kernel_upper_block_sumILi64EiPKfPKPffEviT1_lS5_lT2_lT0_lPT3_i
	.p2align	8
	.type	_ZL36rocblas_hemvn_kernel_upper_block_sumILi64EiPKfPKPffEviT1_lS5_lT2_lT0_lPT3_i,@function
_ZL36rocblas_hemvn_kernel_upper_block_sumILi64EiPKfPKPffEviT1_lS5_lT2_lT0_lPT3_i: ; @_ZL36rocblas_hemvn_kernel_upper_block_sumILi64EiPKfPKPffEviT1_lS5_lT2_lT0_lPT3_i
; %bb.0:
	s_load_dwordx8 s[8:15], s[4:5], 0x8
	s_mov_b32 s2, s7
	s_waitcnt lgkmcnt(0)
	s_mul_i32 s1, s11, s7
	s_mul_hi_u32 s3, s10, s7
	s_mul_i32 s0, s10, s7
	s_add_i32 s1, s3, s1
	s_mul_i32 s3, s15, s7
	s_lshl_b64 s[0:1], s[0:1], 2
	s_mul_hi_u32 s7, s14, s7
	s_add_u32 s0, s8, s0
	s_addc_u32 s1, s9, s1
	s_add_i32 s9, s7, s3
	s_mul_i32 s8, s14, s2
	s_mov_b32 s3, 0
	s_lshl_b64 s[8:9], s[8:9], 2
	s_add_u32 s8, s12, s8
	s_addc_u32 s9, s13, s9
	s_load_dword s11, s[0:1], 0x0
	s_load_dword s12, s[8:9], 0x0
	s_waitcnt lgkmcnt(0)
	v_cmp_eq_f32_e64 s0, s11, 0
	v_cmp_eq_f32_e64 s1, s12, 1.0
	s_and_b32 s0, s0, s1
	s_and_b32 vcc_lo, exec_lo, s0
	s_cbranch_vccnz .LBB138_19
; %bb.1:
	s_load_dwordx4 s[16:19], s[4:5], 0x28
	s_lshl_b64 s[0:1], s[2:3], 3
	s_clause 0x1
	s_load_dword s13, s[4:5], 0x38
	s_load_dword s8, s[4:5], 0x0
	v_lshl_or_b32 v0, s6, 6, v0
	v_cmp_neq_f32_e64 s9, s11, 0
	s_waitcnt lgkmcnt(0)
	s_add_u32 s0, s16, s0
	s_addc_u32 s1, s17, s1
	s_lshl_b64 s[14:15], s[18:19], 2
	s_load_dwordx2 s[0:1], s[0:1], 0x0
	s_waitcnt lgkmcnt(0)
	s_add_u32 s7, s0, s14
	v_cmp_gt_i32_e64 s0, s8, v0
	s_addc_u32 s10, s1, s15
	s_and_b32 vcc_lo, exec_lo, s9
	s_cbranch_vccnz .LBB138_6
; %bb.2:
	s_mov_b32 s1, 0
                                        ; implicit-def: $vgpr4
                                        ; implicit-def: $vgpr2_vgpr3
	s_and_saveexec_b32 s9, s0
	s_cbranch_execz .LBB138_7
; %bb.3:
	v_mul_lo_u32 v2, s13, v0
	v_cmp_eq_f32_e64 s0, s12, 0
	v_mov_b32_e32 v4, 0
	s_and_b32 vcc_lo, exec_lo, s0
	v_ashrrev_i32_e32 v3, 31, v2
	s_cbranch_vccnz .LBB138_5
; %bb.4:
	v_lshlrev_b64 v[4:5], 2, v[2:3]
	v_add_co_u32 v4, vcc_lo, s7, v4
	v_add_co_ci_u32_e64 v5, null, s10, v5, vcc_lo
	flat_load_dword v1, v[4:5]
	s_waitcnt vmcnt(0) lgkmcnt(0)
	v_mul_f32_e32 v4, s12, v1
.LBB138_5:
	s_mov_b32 s3, exec_lo
	s_or_b32 exec_lo, exec_lo, s9
	s_and_b32 vcc_lo, exec_lo, s1
	s_cbranch_vccnz .LBB138_8
	s_branch .LBB138_17
.LBB138_6:
                                        ; implicit-def: $vgpr4
                                        ; implicit-def: $vgpr2_vgpr3
	s_cbranch_execnz .LBB138_8
	s_branch .LBB138_17
.LBB138_7:
	s_or_b32 exec_lo, exec_lo, s9
	s_and_b32 vcc_lo, exec_lo, s1
	s_cbranch_vccz .LBB138_17
.LBB138_8:
	s_mov_b32 s14, exec_lo
                                        ; implicit-def: $vgpr4
                                        ; implicit-def: $vgpr2_vgpr3
	v_cmpx_gt_i32_e64 s8, v0
	s_cbranch_execz .LBB138_16
; %bb.9:
	v_mov_b32_e32 v1, 0
	s_cmp_lt_i32 s6, 0
	s_cbranch_scc1 .LBB138_12
; %bb.10:
	s_clause 0x1
	s_load_dword s15, s[4:5], 0x58
	s_load_dwordx2 s[0:1], s[4:5], 0x48
	s_ashr_i32 s9, s8, 31
	s_mul_hi_u32 s4, s8, s2
	s_mul_i32 s5, s9, s2
	v_mov_b32_e32 v1, 0
	s_mul_i32 s2, s8, s2
	s_add_i32 s4, s4, s5
	v_lshlrev_b64 v[2:3], 2, v[0:1]
	s_waitcnt lgkmcnt(0)
	s_mul_i32 s5, s4, s15
	s_mul_hi_u32 s16, s2, s15
	s_mul_i32 s4, s2, s15
	s_add_i32 s5, s16, s5
	s_lshl_b64 s[4:5], s[4:5], 2
	s_add_u32 s0, s0, s4
	s_addc_u32 s1, s1, s5
	v_add_co_u32 v2, vcc_lo, s0, v2
	v_add_co_ci_u32_e64 v3, null, s1, v3, vcc_lo
	s_add_i32 s2, s6, 1
	s_lshl_b64 s[0:1], s[8:9], 2
.LBB138_11:                             ; =>This Inner Loop Header: Depth=1
	global_load_dword v4, v[2:3], off
	v_add_co_u32 v2, vcc_lo, v2, s0
	v_add_co_ci_u32_e64 v3, null, s1, v3, vcc_lo
	s_add_i32 s2, s2, -1
	s_cmp_eq_u32 s2, 0
	s_waitcnt vmcnt(0)
	v_add_f32_e32 v1, v1, v4
	s_cbranch_scc0 .LBB138_11
.LBB138_12:
	v_mul_lo_u32 v2, s13, v0
	v_cmp_eq_f32_e64 s0, s12, 0
	s_and_b32 vcc_lo, exec_lo, s0
	s_mov_b32 s0, 0
	v_ashrrev_i32_e32 v3, 31, v2
	s_cbranch_vccz .LBB138_20
; %bb.13:
	v_mul_f32_e32 v4, s11, v1
	s_andn2_b32 vcc_lo, exec_lo, s0
	s_cbranch_vccnz .LBB138_15
.LBB138_14:
	v_lshlrev_b64 v[4:5], 2, v[2:3]
	v_add_co_u32 v4, vcc_lo, s7, v4
	v_add_co_ci_u32_e64 v5, null, s10, v5, vcc_lo
	flat_load_dword v0, v[4:5]
	s_waitcnt vmcnt(0) lgkmcnt(0)
	v_mul_f32_e32 v4, s12, v0
	v_fmac_f32_e32 v4, s11, v1
.LBB138_15:
	s_or_b32 s3, s3, exec_lo
.LBB138_16:
	s_or_b32 exec_lo, exec_lo, s14
.LBB138_17:
	s_and_saveexec_b32 s0, s3
	s_cbranch_execz .LBB138_19
; %bb.18:
	v_lshlrev_b64 v[0:1], 2, v[2:3]
	v_add_co_u32 v0, vcc_lo, s7, v0
	v_add_co_ci_u32_e64 v1, null, s10, v1, vcc_lo
	flat_store_dword v[0:1], v4
.LBB138_19:
	s_endpgm
.LBB138_20:
                                        ; implicit-def: $vgpr4
	s_branch .LBB138_14
	.section	.rodata,"a",@progbits
	.p2align	6, 0x0
	.amdhsa_kernel _ZL36rocblas_hemvn_kernel_upper_block_sumILi64EiPKfPKPffEviT1_lS5_lT2_lT0_lPT3_i
		.amdhsa_group_segment_fixed_size 0
		.amdhsa_private_segment_fixed_size 0
		.amdhsa_kernarg_size 344
		.amdhsa_user_sgpr_count 6
		.amdhsa_user_sgpr_private_segment_buffer 1
		.amdhsa_user_sgpr_dispatch_ptr 0
		.amdhsa_user_sgpr_queue_ptr 0
		.amdhsa_user_sgpr_kernarg_segment_ptr 1
		.amdhsa_user_sgpr_dispatch_id 0
		.amdhsa_user_sgpr_flat_scratch_init 0
		.amdhsa_user_sgpr_private_segment_size 0
		.amdhsa_wavefront_size32 1
		.amdhsa_uses_dynamic_stack 0
		.amdhsa_system_sgpr_private_segment_wavefront_offset 0
		.amdhsa_system_sgpr_workgroup_id_x 1
		.amdhsa_system_sgpr_workgroup_id_y 0
		.amdhsa_system_sgpr_workgroup_id_z 1
		.amdhsa_system_sgpr_workgroup_info 0
		.amdhsa_system_vgpr_workitem_id 0
		.amdhsa_next_free_vgpr 6
		.amdhsa_next_free_sgpr 20
		.amdhsa_reserve_vcc 1
		.amdhsa_reserve_flat_scratch 0
		.amdhsa_float_round_mode_32 0
		.amdhsa_float_round_mode_16_64 0
		.amdhsa_float_denorm_mode_32 3
		.amdhsa_float_denorm_mode_16_64 3
		.amdhsa_dx10_clamp 1
		.amdhsa_ieee_mode 1
		.amdhsa_fp16_overflow 0
		.amdhsa_workgroup_processor_mode 1
		.amdhsa_memory_ordered 1
		.amdhsa_forward_progress 1
		.amdhsa_shared_vgpr_count 0
		.amdhsa_exception_fp_ieee_invalid_op 0
		.amdhsa_exception_fp_denorm_src 0
		.amdhsa_exception_fp_ieee_div_zero 0
		.amdhsa_exception_fp_ieee_overflow 0
		.amdhsa_exception_fp_ieee_underflow 0
		.amdhsa_exception_fp_ieee_inexact 0
		.amdhsa_exception_int_div_zero 0
	.end_amdhsa_kernel
	.section	.text._ZL36rocblas_hemvn_kernel_upper_block_sumILi64EiPKfPKPffEviT1_lS5_lT2_lT0_lPT3_i,"axG",@progbits,_ZL36rocblas_hemvn_kernel_upper_block_sumILi64EiPKfPKPffEviT1_lS5_lT2_lT0_lPT3_i,comdat
.Lfunc_end138:
	.size	_ZL36rocblas_hemvn_kernel_upper_block_sumILi64EiPKfPKPffEviT1_lS5_lT2_lT0_lPT3_i, .Lfunc_end138-_ZL36rocblas_hemvn_kernel_upper_block_sumILi64EiPKfPKPffEviT1_lS5_lT2_lT0_lPT3_i
                                        ; -- End function
	.set _ZL36rocblas_hemvn_kernel_upper_block_sumILi64EiPKfPKPffEviT1_lS5_lT2_lT0_lPT3_i.num_vgpr, 6
	.set _ZL36rocblas_hemvn_kernel_upper_block_sumILi64EiPKfPKPffEviT1_lS5_lT2_lT0_lPT3_i.num_agpr, 0
	.set _ZL36rocblas_hemvn_kernel_upper_block_sumILi64EiPKfPKPffEviT1_lS5_lT2_lT0_lPT3_i.numbered_sgpr, 20
	.set _ZL36rocblas_hemvn_kernel_upper_block_sumILi64EiPKfPKPffEviT1_lS5_lT2_lT0_lPT3_i.num_named_barrier, 0
	.set _ZL36rocblas_hemvn_kernel_upper_block_sumILi64EiPKfPKPffEviT1_lS5_lT2_lT0_lPT3_i.private_seg_size, 0
	.set _ZL36rocblas_hemvn_kernel_upper_block_sumILi64EiPKfPKPffEviT1_lS5_lT2_lT0_lPT3_i.uses_vcc, 1
	.set _ZL36rocblas_hemvn_kernel_upper_block_sumILi64EiPKfPKPffEviT1_lS5_lT2_lT0_lPT3_i.uses_flat_scratch, 0
	.set _ZL36rocblas_hemvn_kernel_upper_block_sumILi64EiPKfPKPffEviT1_lS5_lT2_lT0_lPT3_i.has_dyn_sized_stack, 0
	.set _ZL36rocblas_hemvn_kernel_upper_block_sumILi64EiPKfPKPffEviT1_lS5_lT2_lT0_lPT3_i.has_recursion, 0
	.set _ZL36rocblas_hemvn_kernel_upper_block_sumILi64EiPKfPKPffEviT1_lS5_lT2_lT0_lPT3_i.has_indirect_call, 0
	.section	.AMDGPU.csdata,"",@progbits
; Kernel info:
; codeLenInByte = 672
; TotalNumSgprs: 22
; NumVgprs: 6
; ScratchSize: 0
; MemoryBound: 0
; FloatMode: 240
; IeeeMode: 1
; LDSByteSize: 0 bytes/workgroup (compile time only)
; SGPRBlocks: 0
; VGPRBlocks: 0
; NumSGPRsForWavesPerEU: 22
; NumVGPRsForWavesPerEU: 6
; Occupancy: 16
; WaveLimiterHint : 1
; COMPUTE_PGM_RSRC2:SCRATCH_EN: 0
; COMPUTE_PGM_RSRC2:USER_SGPR: 6
; COMPUTE_PGM_RSRC2:TRAP_HANDLER: 0
; COMPUTE_PGM_RSRC2:TGID_X_EN: 1
; COMPUTE_PGM_RSRC2:TGID_Y_EN: 0
; COMPUTE_PGM_RSRC2:TGID_Z_EN: 1
; COMPUTE_PGM_RSRC2:TIDIG_COMP_CNT: 0
	.section	.text._ZL26rocblas_hemvn_kernel_upperILb0ELi64ELi4ELi33ELi32ELi16ElfPKPKfPfEviT6_lT7_lT5_lS6_lS7_lS5_lT8_i,"axG",@progbits,_ZL26rocblas_hemvn_kernel_upperILb0ELi64ELi4ELi33ELi32ELi16ElfPKPKfPfEviT6_lT7_lT5_lS6_lS7_lS5_lT8_i,comdat
	.globl	_ZL26rocblas_hemvn_kernel_upperILb0ELi64ELi4ELi33ELi32ELi16ElfPKPKfPfEviT6_lT7_lT5_lS6_lS7_lS5_lT8_i ; -- Begin function _ZL26rocblas_hemvn_kernel_upperILb0ELi64ELi4ELi33ELi32ELi16ElfPKPKfPfEviT6_lT7_lT5_lS6_lS7_lS5_lT8_i
	.p2align	8
	.type	_ZL26rocblas_hemvn_kernel_upperILb0ELi64ELi4ELi33ELi32ELi16ElfPKPKfPfEviT6_lT7_lT5_lS6_lS7_lS5_lT8_i,@function
_ZL26rocblas_hemvn_kernel_upperILb0ELi64ELi4ELi33ELi32ELi16ElfPKPKfPfEviT6_lT7_lT5_lS6_lS7_lS5_lT8_i: ; @_ZL26rocblas_hemvn_kernel_upperILb0ELi64ELi4ELi33ELi32ELi16ElfPKPKfPfEviT6_lT7_lT5_lS6_lS7_lS5_lT8_i
; %bb.0:
	s_load_dwordx2 s[0:1], s[4:5], 0x7c
	s_add_u32 s8, s4, 0x70
	s_addc_u32 s9, s5, 0
	s_waitcnt lgkmcnt(0)
	s_lshr_b32 s2, s0, 16
	s_and_b32 s0, s0, 0xffff
	s_and_b32 s1, s1, 0xffff
	s_mul_i32 s0, s2, s0
	s_mul_i32 s0, s0, s1
	s_cmpk_lg_i32 s0, 0x100
	s_cbranch_scc1 .LBB139_4
; %bb.1:
	s_clause 0x1
	s_load_dwordx2 s[20:21], s[4:5], 0x0
	s_load_dword s1, s[4:5], 0x50
	s_waitcnt lgkmcnt(0)
	v_cmp_eq_f32_e64 s0, s21, 0
	v_cmp_eq_f32_e64 s1, s1, 1.0
	s_and_b32 s1, s0, s1
	s_and_b32 vcc_lo, exec_lo, s1
	s_cbranch_vccnz .LBB139_4
; %bb.2:
	s_mov_b32 s18, s7
	s_and_b32 vcc_lo, exec_lo, s0
	s_cbranch_vccz .LBB139_5
; %bb.3:
	s_cbranch_execz .LBB139_6
.LBB139_4:
	s_endpgm
.LBB139_5:
.LBB139_6:
	s_clause 0x1
	s_load_dwordx4 s[0:3], s[4:5], 0x10
	s_load_dwordx4 s[24:27], s[4:5], 0x30
	s_mov_b32 s19, 0
	s_clause 0x1
	s_load_dwordx2 s[14:15], s[4:5], 0x20
	s_load_dwordx2 s[10:11], s[4:5], 0x40
	s_lshl_b64 s[12:13], s[18:19], 3
	s_load_dword s19, s[8:9], 0x0
	s_waitcnt lgkmcnt(0)
	s_add_u32 s0, s0, s12
	s_addc_u32 s1, s1, s13
	s_add_u32 s12, s24, s12
	s_addc_u32 s13, s25, s13
	s_lshl_b64 s[16:17], s[26:27], 2
	s_load_dwordx2 s[12:13], s[12:13], 0x0
	s_load_dwordx2 s[8:9], s[0:1], 0x0
	s_waitcnt lgkmcnt(0)
	s_add_u32 s7, s12, s16
	s_addc_u32 s12, s13, s17
	s_lshl_b32 s16, s6, 6
	s_ashr_i32 s27, s20, 31
	v_add_nc_u32_e32 v18, s16, v0
	s_lshr_b32 s0, s27, 26
	s_add_i32 s1, s19, -1
	s_add_i32 s0, s20, s0
	v_ashrrev_i32_e32 v19, 31, v18
	v_mul_lo_u32 v4, s11, v18
	v_mad_u64_u32 v[2:3], null, s10, v18, 0
	s_andn2_b32 s0, s0, 63
	v_mul_lo_u32 v5, s10, v19
	s_sub_i32 s21, s20, s0
	v_cmp_eq_u32_e64 s0, 0, v1
	s_cmp_eq_u32 s6, s1
	v_add3_u32 v3, v3, v5, v4
	v_lshlrev_b64 v[2:3], 2, v[2:3]
	v_add_co_u32 v8, vcc_lo, s7, v2
	v_add_co_ci_u32_e64 v9, null, s12, v3, vcc_lo
	s_cselect_b32 s12, s21, 0
	s_and_saveexec_b32 s1, s0
	s_cbranch_execz .LBB139_10
; %bb.7:
	v_cmp_gt_i32_e32 vcc_lo, s12, v0
	s_cmp_eq_u32 s12, 0
	v_mov_b32_e32 v2, 0
	s_cselect_b32 s7, -1, 0
	s_or_b32 s13, s7, vcc_lo
	s_and_saveexec_b32 s7, s13
	s_cbranch_execz .LBB139_9
; %bb.8:
	flat_load_dword v2, v[8:9]
.LBB139_9:
	s_or_b32 exec_lo, exec_lo, s7
	v_lshlrev_b32_e32 v3, 2, v0
	s_waitcnt vmcnt(0) lgkmcnt(0)
	ds_write_b32 v3, v2 offset:4544
.LBB139_10:
	s_or_b32 exec_lo, exec_lo, s1
	v_lshl_add_u32 v14, v1, 6, v0
	v_and_b32_e32 v2, 31, v0
	v_mov_b32_e32 v3, 0
	s_lshl_b64 s[2:3], s[2:3], 2
	s_mul_hi_u32 s1, s14, s16
	v_lshrrev_b32_e32 v15, 5, v14
	s_add_u32 s13, s8, s2
	s_addc_u32 s3, s9, s3
	s_ashr_i32 s17, s16, 31
	s_mul_i32 s7, s15, s16
	v_mad_u64_u32 v[4:5], null, s14, v15, v[2:3]
	s_lshl_b64 s[8:9], s[16:17], 2
	s_mul_i32 s22, s14, s17
	s_add_u32 s8, s13, s8
	s_addc_u32 s9, s3, s9
	s_add_i32 s1, s1, s22
	s_mul_i32 s2, s14, s16
	v_mad_u64_u32 v[5:6], null, s15, v15, v[5:6]
	s_add_i32 s3, s1, s7
	v_cmp_gt_i32_e64 s1, s12, v2
	s_lshl_b64 s[2:3], s[2:3], 2
	s_cmp_eq_u32 s12, 0
	v_lshlrev_b32_e32 v16, 2, v2
	s_cselect_b32 s26, -1, 0
	v_lshlrev_b64 v[6:7], 2, v[4:5]
	s_cmp_lg_u32 s12, 0
	s_cselect_b32 s28, -1, 0
	v_add_co_u32 v4, vcc_lo, s8, v6
	v_add_co_ci_u32_e64 v5, null, s9, v7, vcc_lo
	s_and_b32 vcc_lo, exec_lo, s28
	v_add_co_u32 v10, s2, v4, s2
	v_add_co_ci_u32_e64 v11, null, s3, v5, s2
	s_cbranch_vccz .LBB139_20
; %bb.11:
	v_sub_co_u32 v4, vcc_lo, v10, v16
	s_ashr_i32 s13, s12, 31
	v_subrev_co_ci_u32_e64 v5, null, 0, v11, vcc_lo
	s_lshl_b64 s[2:3], s[12:13], 2
	s_mov_b32 s7, exec_lo
	v_add_co_u32 v4, vcc_lo, v4, s2
	v_add_co_ci_u32_e64 v5, null, s3, v5, vcc_lo
	v_add_co_u32 v4, vcc_lo, v4, -4
	v_add_co_ci_u32_e64 v5, null, -1, v5, vcc_lo
	v_cndmask_b32_e64 v4, v4, v10, s1
	v_cndmask_b32_e64 v5, v5, v11, s1
	v_cmpx_gt_i32_e64 s12, v15
	s_cbranch_execz .LBB139_13
; %bb.12:
	flat_load_dword v3, v[4:5]
.LBB139_13:
	s_or_b32 exec_lo, exec_lo, s7
	v_lshlrev_b32_e32 v12, 2, v2
	v_add_nc_u32_e32 v13, 8, v15
	v_mul_u32_u24_e32 v17, 0x84, v15
	v_mov_b32_e32 v20, 0
	v_mad_u32_u24 v21, 0x84, v15, v12
	v_cmp_gt_i32_e32 vcc_lo, s12, v13
	v_mov_b32_e32 v13, 0
	s_waitcnt vmcnt(0) lgkmcnt(0)
	ds_write_b32 v21, v3
	s_and_saveexec_b32 s7, vcc_lo
	s_cbranch_execz .LBB139_15
; %bb.14:
	s_lshl_b64 s[8:9], s[14:15], 5
	v_add_co_u32 v20, vcc_lo, v4, s8
	v_add_co_ci_u32_e64 v21, null, s9, v5, vcc_lo
	flat_load_dword v20, v[20:21]
.LBB139_15:
	s_or_b32 exec_lo, exec_lo, s7
	v_add_nc_u32_e32 v3, 16, v15
	v_add_nc_u32_e32 v12, v17, v12
	s_mov_b32 s7, exec_lo
	s_waitcnt vmcnt(0) lgkmcnt(0)
	ds_write_b32 v12, v20 offset:1056
	v_cmpx_gt_i32_e64 s12, v3
	s_cbranch_execz .LBB139_17
; %bb.16:
	s_lshl_b64 s[8:9], s[14:15], 6
	v_add_co_u32 v20, vcc_lo, v4, s8
	v_add_co_ci_u32_e64 v21, null, s9, v5, vcc_lo
	flat_load_dword v13, v[20:21]
.LBB139_17:
	s_or_b32 exec_lo, exec_lo, s7
	v_add_nc_u32_e32 v3, 24, v15
	v_mov_b32_e32 v17, 0
	s_mov_b32 s7, exec_lo
	s_waitcnt vmcnt(0) lgkmcnt(0)
	ds_write_b32 v12, v13 offset:2112
	v_cmpx_gt_i32_e64 s12, v3
	s_cbranch_execz .LBB139_19
; %bb.18:
	v_mad_u64_u32 v[20:21], null, 0x60, s14, v[4:5]
	v_mov_b32_e32 v3, v21
	v_mad_u64_u32 v[21:22], null, 0x60, s15, v[3:4]
	flat_load_dword v17, v[20:21]
.LBB139_19:
	s_or_b32 exec_lo, exec_lo, s7
	v_add_co_u32 v3, vcc_lo, v4, v16
	v_add_co_ci_u32_e64 v4, null, 0, v5, vcc_lo
	s_waitcnt vmcnt(0) lgkmcnt(0)
	ds_write_b32 v12, v17 offset:3168
	v_sub_co_u32 v3, vcc_lo, v3, s2
	v_subrev_co_ci_u32_e64 v4, null, s3, v4, vcc_lo
	v_add_co_u32 v3, vcc_lo, v3, 4
	v_add_co_ci_u32_e64 v4, null, 0, v4, vcc_lo
	v_cndmask_b32_e64 v3, v3, v10, s1
	v_cndmask_b32_e64 v4, v4, v11, s1
	v_mul_u32_u24_e32 v22, 0x84, v15
	s_branch .LBB139_22
.LBB139_20:
                                        ; implicit-def: $vgpr3_vgpr4
	v_mul_u32_u24_e32 v22, 0x84, v15
	s_cbranch_execz .LBB139_22
; %bb.21:
	s_lshl_b64 s[2:3], s[14:15], 5
	v_add_co_u32 v3, vcc_lo, v10, s2
	v_add_co_ci_u32_e64 v4, null, s3, v11, vcc_lo
	v_add_co_u32 v12, vcc_lo, v3, s2
	v_add_co_ci_u32_e64 v13, null, s3, v4, vcc_lo
	;; [unrolled: 2-line block ×3, first 2 shown]
	s_clause 0x3
	flat_load_dword v5, v[10:11]
	flat_load_dword v17, v[3:4]
	;; [unrolled: 1-line block ×4, first 2 shown]
	v_mov_b32_e32 v3, v10
	v_lshl_add_u32 v20, v2, 2, v22
	v_mov_b32_e32 v4, v11
	s_waitcnt vmcnt(3) lgkmcnt(3)
	ds_write_b32 v20, v5
	s_waitcnt vmcnt(2) lgkmcnt(3)
	ds_write_b32 v20, v17 offset:1056
	s_waitcnt vmcnt(1) lgkmcnt(3)
	ds_write_b32 v20, v12 offset:2112
	;; [unrolled: 2-line block ×3, first 2 shown]
.LBB139_22:
	v_lshlrev_b32_e32 v23, 2, v2
	v_lshlrev_b32_e32 v5, 2, v15
	s_waitcnt lgkmcnt(0)
	s_barrier
	buffer_gl0_inv
	v_lshl_or_b32 v10, v2, 7, v23
	v_cmp_gt_u32_e64 s2, v5, v2
	v_lshl_add_u32 v12, v5, 2, v10
	v_mad_u32_u24 v10, 0x210, v15, v23
	s_and_saveexec_b32 s1, s2
	s_cbranch_execz .LBB139_24
; %bb.23:
	ds_read_b32 v11, v10
	s_waitcnt lgkmcnt(0)
	ds_write_b32 v12, v11
.LBB139_24:
	s_or_b32 exec_lo, exec_lo, s1
	v_or_b32_e32 v25, 1, v5
	v_cmp_ge_u32_e64 s3, v5, v2
	v_mad_u32_u24 v11, 0x84, v25, v23
	s_and_saveexec_b32 s1, s3
	s_cbranch_execz .LBB139_26
; %bb.25:
	ds_read_b32 v13, v11
	s_waitcnt lgkmcnt(0)
	ds_write_b32 v12, v13 offset:4
.LBB139_26:
	s_or_b32 exec_lo, exec_lo, s1
	v_or_b32_e32 v13, 2, v5
	v_cmp_gt_u32_e64 s7, v13, v2
	s_and_saveexec_b32 s1, s7
	s_cbranch_execz .LBB139_28
; %bb.27:
	v_mad_u32_u24 v13, 0x84, v13, v23
	ds_read_b32 v13, v13
	s_waitcnt lgkmcnt(0)
	ds_write_b32 v12, v13 offset:8
.LBB139_28:
	s_or_b32 exec_lo, exec_lo, s1
	v_or_b32_e32 v17, 3, v5
	s_mov_b32 s1, exec_lo
	v_cmp_gt_u32_e64 s8, v17, v2
	v_mul_u32_u24_e32 v13, 0x84, v17
	v_cmpx_le_u32_e64 v17, v2
	s_xor_b32 s1, exec_lo, s1
; %bb.29:
	v_mul_u32_u24_e32 v13, 0x84, v17
                                        ; implicit-def: $vgpr17
                                        ; implicit-def: $vgpr12
; %bb.30:
	s_andn2_saveexec_b32 s1, s1
	s_cbranch_execz .LBB139_32
; %bb.31:
	v_mad_u32_u24 v17, 0x84, v17, v23
	ds_read_b32 v17, v17
	s_waitcnt lgkmcnt(0)
	ds_write_b32 v12, v17 offset:12
.LBB139_32:
	s_or_b32 exec_lo, exec_lo, s1
	v_lshlrev_b32_e32 v27, 2, v5
	s_waitcnt lgkmcnt(0)
	s_barrier
	buffer_gl0_inv
	ds_read_b32 v12, v10
	ds_read_b128 v[28:31], v27 offset:4544
	ds_read2_b32 v[10:11], v11 offset1:33
	v_add_nc_u32_e32 v21, v23, v13
	v_mul_u32_u24_e32 v17, 33, v2
	v_mov_b32_e32 v32, 0
	v_cmp_gt_u32_e64 s1, 32, v14
	ds_read_b32 v13, v21
	v_lshlrev_b32_e32 v17, 2, v17
	s_waitcnt lgkmcnt(0)
	s_barrier
	buffer_gl0_inv
	v_lshl_add_u32 v20, v15, 2, v17
	v_fma_f32 v12, v12, v28, 0
	v_fmac_f32_e32 v12, v10, v29
	v_fmac_f32_e32 v12, v11, v30
	;; [unrolled: 1-line block ×3, first 2 shown]
	ds_write_b32 v20, v12
	s_waitcnt lgkmcnt(0)
	s_barrier
	buffer_gl0_inv
	s_and_saveexec_b32 s9, s1
	s_cbranch_execz .LBB139_34
; %bb.33:
	ds_read2_b32 v[10:11], v17 offset1:1
	ds_read2_b32 v[12:13], v17 offset0:2 offset1:3
	ds_read2_b32 v[28:29], v17 offset0:4 offset1:5
	;; [unrolled: 1-line block ×3, first 2 shown]
	s_waitcnt lgkmcnt(3)
	v_add_f32_e32 v10, v10, v11
	s_waitcnt lgkmcnt(2)
	v_add_f32_e32 v10, v10, v12
	v_add_f32_e32 v10, v10, v13
	s_waitcnt lgkmcnt(1)
	v_add_f32_e32 v10, v10, v28
	;; [unrolled: 3-line block ×3, first 2 shown]
	v_add_f32_e32 v32, v10, v31
.LBB139_34:
	s_or_b32 exec_lo, exec_lo, s9
	s_lshl_b64 s[22:23], s[14:15], 7
	v_add_co_u32 v10, vcc_lo, v3, s22
	v_add_co_ci_u32_e64 v11, null, s23, v4, vcc_lo
	s_lshl_b64 s[22:23], s[14:15], 5
	v_add_co_u32 v3, vcc_lo, 0x80, v10
	v_add_co_ci_u32_e64 v4, null, 0, v11, vcc_lo
	s_and_b32 vcc_lo, exec_lo, s28
	s_barrier
	buffer_gl0_inv
	s_cbranch_vccz .LBB139_44
; %bb.35:
	v_sub_co_u32 v12, vcc_lo, v10, v16
	s_ashr_i32 s13, s12, 31
	v_subrev_co_ci_u32_e64 v13, null, 0, v11, vcc_lo
	s_lshl_b64 s[24:25], s[12:13], 2
	v_or_b32_e32 v24, 32, v2
	v_add_co_u32 v12, vcc_lo, v12, s24
	v_add_co_ci_u32_e64 v13, null, s25, v13, vcc_lo
	v_mov_b32_e32 v28, 0
	v_add_co_u32 v12, vcc_lo, v12, -4
	v_add_co_ci_u32_e64 v13, null, -1, v13, vcc_lo
	v_cmp_gt_i32_e32 vcc_lo, s12, v24
	v_mov_b32_e32 v24, 0
	s_sub_i32 s13, s12, 32
	s_mov_b32 s29, exec_lo
	v_cndmask_b32_e32 v13, v13, v4, vcc_lo
	v_cndmask_b32_e32 v12, v12, v3, vcc_lo
	v_cmpx_gt_i32_e64 s13, v15
	s_cbranch_execz .LBB139_37
; %bb.36:
	flat_load_dword v24, v[12:13]
.LBB139_37:
	s_or_b32 exec_lo, exec_lo, s29
	v_add_nc_u32_e32 v26, 8, v15
	v_mad_u32_u24 v29, 0x84, v15, v23
	s_mov_b32 s29, exec_lo
	s_waitcnt vmcnt(0) lgkmcnt(0)
	ds_write_b32 v29, v24
	v_cmpx_gt_i32_e64 s13, v26
	s_cbranch_execz .LBB139_39
; %bb.38:
	v_add_co_u32 v28, s9, v12, s22
	v_add_co_ci_u32_e64 v29, null, s23, v13, s9
	flat_load_dword v28, v[28:29]
.LBB139_39:
	s_or_b32 exec_lo, exec_lo, s29
	v_add_nc_u32_e32 v29, 16, v15
	v_add_nc_u32_e32 v24, v22, v23
	v_mov_b32_e32 v26, 0
	v_cmp_gt_i32_e64 s9, s13, v29
	v_mov_b32_e32 v29, 0
	s_waitcnt vmcnt(0) lgkmcnt(0)
	ds_write_b32 v24, v28 offset:1056
	s_and_saveexec_b32 s29, s9
	s_cbranch_execz .LBB139_41
; %bb.40:
	s_lshl_b64 s[30:31], s[14:15], 6
	v_add_co_u32 v28, s9, v12, s30
	v_add_co_ci_u32_e64 v29, null, s31, v13, s9
	flat_load_dword v29, v[28:29]
.LBB139_41:
	s_or_b32 exec_lo, exec_lo, s29
	v_add_nc_u32_e32 v28, 24, v15
	s_waitcnt vmcnt(0) lgkmcnt(0)
	ds_write_b32 v24, v29 offset:2112
	v_cmp_gt_i32_e64 s9, s13, v28
	s_and_saveexec_b32 s13, s9
	s_cbranch_execz .LBB139_43
; %bb.42:
	v_mad_u64_u32 v[28:29], null, 0x60, s14, v[12:13]
	v_mov_b32_e32 v26, v29
	v_mad_u64_u32 v[29:30], null, 0x60, s15, v[26:27]
	flat_load_dword v26, v[28:29]
.LBB139_43:
	s_or_b32 exec_lo, exec_lo, s13
	v_add_co_u32 v12, s9, v12, v16
	v_add_co_ci_u32_e64 v13, null, 0, v13, s9
	s_waitcnt vmcnt(0) lgkmcnt(0)
	ds_write_b32 v24, v26 offset:3168
	v_sub_co_u32 v12, s9, v12, s24
	v_subrev_co_ci_u32_e64 v13, null, s25, v13, s9
	v_add_co_u32 v12, s9, 0x84, v12
	v_add_co_ci_u32_e64 v13, null, 0, v13, s9
	v_cndmask_b32_e32 v12, v12, v3, vcc_lo
	v_cndmask_b32_e32 v13, v13, v4, vcc_lo
	v_mul_u32_u24_e32 v26, 0x210, v15
	v_mad_u32_u24 v24, 0x84, v15, v23
	s_branch .LBB139_46
.LBB139_44:
                                        ; implicit-def: $vgpr12_vgpr13
	v_mul_u32_u24_e32 v26, 0x210, v15
	v_mad_u32_u24 v24, 0x84, v15, v23
	s_cbranch_execz .LBB139_46
; %bb.45:
	v_add_co_u32 v12, vcc_lo, v10, s22
	v_add_co_ci_u32_e64 v13, null, s23, v11, vcc_lo
	v_add_co_u32 v28, vcc_lo, v12, s22
	v_add_co_ci_u32_e64 v29, null, s23, v13, vcc_lo
	;; [unrolled: 2-line block ×3, first 2 shown]
	s_clause 0x3
	flat_load_dword v10, v[10:11] offset:128
	flat_load_dword v11, v[12:13] offset:128
	;; [unrolled: 1-line block ×4, first 2 shown]
	v_mov_b32_e32 v13, v4
	v_mov_b32_e32 v12, v3
	s_waitcnt vmcnt(3) lgkmcnt(3)
	ds_write_b32 v24, v10
	s_waitcnt vmcnt(2) lgkmcnt(3)
	ds_write_b32 v24, v11 offset:1056
	s_waitcnt vmcnt(1) lgkmcnt(3)
	ds_write_b32 v24, v28 offset:2112
	;; [unrolled: 2-line block ×3, first 2 shown]
.LBB139_46:
	v_mul_u32_u24_e32 v4, 0x84, v25
	v_add_nc_u32_e32 v25, v23, v26
	v_lshl_add_u32 v3, v5, 2, v17
	s_waitcnt lgkmcnt(0)
	s_barrier
	buffer_gl0_inv
	s_and_saveexec_b32 s9, s2
	s_cbranch_execz .LBB139_50
; %bb.47:
	ds_read_b32 v10, v25
	s_waitcnt lgkmcnt(0)
	ds_write_b32 v3, v10
	s_or_b32 exec_lo, exec_lo, s9
	v_add_nc_u32_e32 v26, v23, v4
	s_and_saveexec_b32 s2, s3
	s_cbranch_execnz .LBB139_51
.LBB139_48:
	s_or_b32 exec_lo, exec_lo, s2
	s_and_saveexec_b32 s2, s7
	s_cbranch_execz .LBB139_52
.LBB139_49:
	ds_read_b32 v4, v26 offset:132
	s_waitcnt lgkmcnt(0)
	ds_write_b32 v3, v4 offset:8
	s_or_b32 exec_lo, exec_lo, s2
	v_add_nc_u32_e32 v27, 0x11c0, v27
	s_and_saveexec_b32 s2, s8
	s_cbranch_execnz .LBB139_53
	s_branch .LBB139_54
.LBB139_50:
	s_or_b32 exec_lo, exec_lo, s9
	v_add_nc_u32_e32 v26, v23, v4
	s_and_saveexec_b32 s2, s3
	s_cbranch_execz .LBB139_48
.LBB139_51:
	ds_read_b32 v4, v26
	s_waitcnt lgkmcnt(0)
	ds_write_b32 v3, v4 offset:4
	s_or_b32 exec_lo, exec_lo, s2
	s_and_saveexec_b32 s2, s7
	s_cbranch_execnz .LBB139_49
.LBB139_52:
	s_or_b32 exec_lo, exec_lo, s2
	v_add_nc_u32_e32 v27, 0x11c0, v27
	s_and_saveexec_b32 s2, s8
	s_cbranch_execz .LBB139_54
.LBB139_53:
	ds_read_b32 v4, v21
	s_waitcnt lgkmcnt(0)
	ds_write_b32 v3, v4 offset:12
.LBB139_54:
	s_or_b32 exec_lo, exec_lo, s2
	s_waitcnt lgkmcnt(0)
	s_barrier
	buffer_gl0_inv
	ds_read_b32 v10, v25
	ds_read_b128 v[28:31], v27 offset:128
	ds_read2_b32 v[3:4], v26 offset1:33
	ds_read_b32 v11, v21
	v_cmp_eq_u32_e64 s2, 1, v15
	s_waitcnt lgkmcnt(0)
	s_barrier
	buffer_gl0_inv
	v_fma_f32 v10, v10, v28, 0
	v_fmac_f32_e32 v10, v3, v29
	v_fmac_f32_e32 v10, v4, v30
	;; [unrolled: 1-line block ×3, first 2 shown]
	ds_write_b32 v20, v10
	s_waitcnt lgkmcnt(0)
	s_barrier
	buffer_gl0_inv
	s_and_saveexec_b32 s3, s2
	s_cbranch_execz .LBB139_56
; %bb.55:
	ds_read2_b32 v[3:4], v17 offset1:1
	ds_read2_b32 v[10:11], v17 offset0:2 offset1:3
	ds_read2_b32 v[28:29], v17 offset0:4 offset1:5
	;; [unrolled: 1-line block ×3, first 2 shown]
	s_waitcnt lgkmcnt(3)
	v_add_f32_e32 v3, v3, v4
	s_waitcnt lgkmcnt(2)
	v_add_f32_e32 v3, v3, v10
	v_add_f32_e32 v3, v3, v11
	s_waitcnt lgkmcnt(1)
	v_add_f32_e32 v3, v3, v28
	;; [unrolled: 3-line block ×3, first 2 shown]
	v_add_f32_e32 v32, v3, v31
.LBB139_56:
	s_or_b32 exec_lo, exec_lo, s3
	v_add_co_u32 v3, vcc_lo, 0xffffff80, v12
	v_add_co_ci_u32_e64 v4, null, -1, v13, vcc_lo
	s_and_b32 vcc_lo, exec_lo, s28
	s_barrier
	buffer_gl0_inv
	s_cbranch_vccz .LBB139_66
; %bb.57:
	v_sub_co_u32 v10, vcc_lo, v3, v16
	s_ashr_i32 s13, s12, 31
	v_subrev_co_ci_u32_e64 v11, null, 0, v4, vcc_lo
	s_lshl_b64 s[8:9], s[12:13], 2
	v_mov_b32_e32 v13, 0
	v_add_co_u32 v10, vcc_lo, v10, s8
	v_add_co_ci_u32_e64 v11, null, s9, v11, vcc_lo
	v_mov_b32_e32 v12, 0
	v_add_co_u32 v10, vcc_lo, v10, -4
	v_add_co_ci_u32_e64 v11, null, -1, v11, vcc_lo
	v_cmp_gt_i32_e32 vcc_lo, s12, v2
	s_sub_i32 s7, s12, 32
	s_mov_b32 s13, exec_lo
	v_cndmask_b32_e32 v11, v11, v4, vcc_lo
	v_cndmask_b32_e32 v10, v10, v3, vcc_lo
	v_cmpx_gt_i32_e64 s7, v15
	s_cbranch_execz .LBB139_59
; %bb.58:
	flat_load_dword v12, v[10:11]
.LBB139_59:
	s_or_b32 exec_lo, exec_lo, s13
	v_add_nc_u32_e32 v2, 8, v15
	s_mov_b32 s13, exec_lo
	s_waitcnt vmcnt(0) lgkmcnt(0)
	ds_write_b32 v24, v12
	v_cmpx_gt_i32_e64 s7, v2
	s_cbranch_execz .LBB139_61
; %bb.60:
	v_add_co_u32 v12, s3, v10, s22
	v_add_co_ci_u32_e64 v13, null, s23, v11, s3
	flat_load_dword v13, v[12:13]
.LBB139_61:
	s_or_b32 exec_lo, exec_lo, s13
	v_add_nc_u32_e32 v12, 16, v15
	v_add_nc_u32_e32 v22, v22, v23
	v_mov_b32_e32 v23, 0
	v_mov_b32_e32 v28, 0
	s_mov_b32 s13, exec_lo
	s_waitcnt vmcnt(0) lgkmcnt(0)
	ds_write_b32 v22, v13 offset:1056
	v_cmpx_gt_i32_e64 s7, v12
	s_cbranch_execz .LBB139_63
; %bb.62:
	s_lshl_b64 s[24:25], s[14:15], 6
	v_add_co_u32 v28, s3, v10, s24
	v_add_co_ci_u32_e64 v29, null, s25, v11, s3
	flat_load_dword v28, v[28:29]
.LBB139_63:
	s_or_b32 exec_lo, exec_lo, s13
	v_add_nc_u32_e32 v13, 24, v15
	s_waitcnt vmcnt(0) lgkmcnt(0)
	ds_write_b32 v22, v28 offset:2112
	v_cmp_gt_i32_e64 s3, s7, v13
	s_and_saveexec_b32 s7, s3
	s_cbranch_execz .LBB139_65
; %bb.64:
	v_mad_u64_u32 v[28:29], null, 0x60, s14, v[10:11]
	v_mov_b32_e32 v23, v29
	v_mad_u64_u32 v[29:30], null, 0x60, s15, v[23:24]
	flat_load_dword v23, v[28:29]
.LBB139_65:
	s_or_b32 exec_lo, exec_lo, s7
	v_add_co_u32 v10, s3, v10, v16
	v_add_co_ci_u32_e64 v11, null, 0, v11, s3
	s_waitcnt vmcnt(0) lgkmcnt(0)
	ds_write_b32 v22, v23 offset:3168
	v_sub_co_u32 v10, s3, v10, s8
	v_subrev_co_ci_u32_e64 v11, null, s9, v11, s3
	v_add_co_u32 v10, s3, v10, 4
	v_add_co_ci_u32_e64 v11, null, 0, v11, s3
	v_cndmask_b32_e32 v10, v10, v3, vcc_lo
	v_cndmask_b32_e32 v11, v11, v4, vcc_lo
	s_branch .LBB139_68
.LBB139_66:
                                        ; implicit-def: $vgpr10_vgpr11
                                        ; implicit-def: $vgpr2
                                        ; implicit-def: $vgpr12
                                        ; implicit-def: $vgpr13
	s_cbranch_execz .LBB139_68
; %bb.67:
	v_add_co_u32 v10, vcc_lo, v3, s22
	v_add_co_ci_u32_e64 v11, null, s23, v4, vcc_lo
	v_add_nc_u32_e32 v2, 8, v15
	v_add_co_u32 v12, vcc_lo, v10, s22
	v_add_co_ci_u32_e64 v13, null, s23, v11, vcc_lo
	v_add_co_u32 v22, vcc_lo, v12, s22
	v_add_co_ci_u32_e64 v23, null, s23, v13, vcc_lo
	s_clause 0x3
	flat_load_dword v16, v[3:4]
	flat_load_dword v28, v[10:11]
	;; [unrolled: 1-line block ×4, first 2 shown]
	v_mov_b32_e32 v11, v4
	v_add_nc_u32_e32 v12, 16, v15
	v_add_nc_u32_e32 v13, 24, v15
	v_mov_b32_e32 v10, v3
	s_waitcnt vmcnt(3) lgkmcnt(3)
	ds_write_b32 v24, v16
	s_waitcnt vmcnt(2) lgkmcnt(3)
	ds_write_b32 v24, v28 offset:1056
	s_waitcnt vmcnt(1) lgkmcnt(3)
	ds_write_b32 v24, v29 offset:2112
	;; [unrolled: 2-line block ×3, first 2 shown]
.LBB139_68:
	v_lshlrev_b32_e32 v2, 2, v2
	v_add_nc_u32_e32 v3, v17, v5
	v_lshlrev_b32_e32 v12, 2, v12
	v_lshlrev_b32_e32 v13, 2, v13
	s_waitcnt lgkmcnt(0)
	v_add_nc_u32_e32 v4, v17, v2
	s_barrier
	buffer_gl0_inv
	ds_read_b32 v22, v5 offset:4544
	ds_read_b32 v23, v3
	ds_read_b32 v24, v4
	;; [unrolled: 1-line block ×3, first 2 shown]
	ds_read_b32 v25, v13 offset:4544
	ds_read_b32 v28, v12 offset:4544
	ds_read_b32 v29, v2 offset:4544
	v_add_nc_u32_e32 v2, v17, v12
	v_add_nc_u32_e32 v3, v17, v13
	ds_read_b32 v30, v2
	ds_read_b32 v31, v3
	ds_read_b128 v[2:5], v27 offset:128
	ds_read_b32 v16, v21
	ds_read2_b32 v[12:13], v26 offset1:33
	s_waitcnt lgkmcnt(0)
	s_barrier
	buffer_gl0_inv
	v_fma_f32 v21, v23, v22, 0
	v_fmac_f32_e32 v21, v24, v29
	v_fmac_f32_e32 v21, v30, v28
	;; [unrolled: 1-line block ×3, first 2 shown]
	ds_write_b32 v20, v21
	s_waitcnt lgkmcnt(0)
	s_barrier
	buffer_gl0_inv
	s_and_saveexec_b32 s3, s2
	s_cbranch_execz .LBB139_70
; %bb.69:
	ds_read2_b32 v[21:22], v17 offset1:1
	ds_read2_b32 v[23:24], v17 offset0:2 offset1:3
	ds_read2_b32 v[25:26], v17 offset0:4 offset1:5
	ds_read2_b32 v[27:28], v17 offset0:6 offset1:7
	s_waitcnt lgkmcnt(3)
	v_add_f32_e32 v21, v32, v21
	v_add_f32_e32 v21, v21, v22
	s_waitcnt lgkmcnt(2)
	v_add_f32_e32 v21, v21, v23
	v_add_f32_e32 v21, v21, v24
	s_waitcnt lgkmcnt(1)
	v_add_f32_e32 v21, v21, v25
	v_add_f32_e32 v21, v21, v26
	s_waitcnt lgkmcnt(0)
	v_add_f32_e32 v21, v21, v27
	v_add_f32_e32 v32, v21, v28
.LBB139_70:
	s_or_b32 exec_lo, exec_lo, s3
	v_fma_f32 v2, v15, v2, 0
	s_barrier
	buffer_gl0_inv
	v_fmac_f32_e32 v2, v12, v3
	v_fmac_f32_e32 v2, v13, v4
	;; [unrolled: 1-line block ×3, first 2 shown]
	ds_write_b32 v20, v2
	s_waitcnt lgkmcnt(0)
	s_barrier
	buffer_gl0_inv
	s_and_saveexec_b32 s2, s1
	s_cbranch_execz .LBB139_72
; %bb.71:
	ds_read2_b32 v[2:3], v17 offset1:1
	ds_read2_b32 v[4:5], v17 offset0:2 offset1:3
	ds_read2_b32 v[12:13], v17 offset0:4 offset1:5
	;; [unrolled: 1-line block ×3, first 2 shown]
	s_waitcnt lgkmcnt(3)
	v_add_f32_e32 v2, v32, v2
	v_add_f32_e32 v2, v2, v3
	s_waitcnt lgkmcnt(2)
	v_add_f32_e32 v2, v2, v4
	v_add_f32_e32 v2, v2, v5
	s_waitcnt lgkmcnt(1)
	v_add_f32_e32 v2, v2, v12
	v_add_f32_e32 v2, v2, v13
	s_waitcnt lgkmcnt(0)
	v_add_f32_e32 v2, v2, v15
	v_add_f32_e32 v32, v2, v16
.LBB139_72:
	s_or_b32 exec_lo, exec_lo, s2
	s_load_dwordx2 s[2:3], s[4:5], 0x60
	s_mul_hi_u32 s1, s20, s18
	s_mul_i32 s27, s27, s18
	s_mul_i32 s4, s20, s18
	s_add_i32 s1, s1, s27
	s_mul_hi_u32 s5, s4, s19
	s_mul_i32 s1, s1, s19
	s_mul_i32 s4, s4, s19
	s_add_i32 s5, s5, s1
	s_mul_hi_i32 s9, s20, s6
	s_lshl_b64 s[4:5], s[4:5], 2
	s_mul_i32 s8, s20, s6
	v_lshlrev_b32_e32 v33, 2, v0
	s_waitcnt lgkmcnt(0)
	s_barrier
	buffer_gl0_inv
	s_add_u32 s1, s2, s4
	s_addc_u32 s2, s3, s5
	s_lshl_b64 s[4:5], s[8:9], 2
	s_add_u32 s3, s1, s4
	s_addc_u32 s7, s2, s5
	s_add_i32 s1, s6, 1
	s_cmp_ge_u32 s1, s19
	s_cbranch_scc1 .LBB139_129
; %bb.73:
	v_lshlrev_b32_e32 v34, 2, v1
	s_lshl_b64 s[8:9], s[22:23], 2
	s_mul_i32 s1, s10, s17
	s_mul_hi_u32 s2, s10, s16
	s_mul_i32 s5, s11, s16
	v_mad_u64_u32 v[2:3], null, s14, v34, 0
	s_add_i32 s1, s2, s1
	s_mul_i32 s4, s10, s16
	s_add_i32 s5, s1, s5
	v_lshlrev_b32_e32 v17, 4, v1
	s_lshl_b64 s[4:5], s[4:5], 2
	v_lshrrev_b32_e32 v12, 2, v14
	v_mad_u64_u32 v[3:4], null, s15, v34, v[3:4]
	v_add_co_u32 v4, vcc_lo, v10, s8
	v_add_co_ci_u32_e64 v13, null, s9, v11, vcc_lo
	v_and_b32_e32 v5, 15, v0
	v_sub_co_u32 v4, vcc_lo, v4, v6
	v_lshlrev_b64 v[2:3], 2, v[2:3]
	v_sub_co_ci_u32_e64 v13, null, v13, v7, vcc_lo
	v_sub_co_u32 v38, vcc_lo, v8, s4
	v_subrev_co_ci_u32_e64 v39, null, s5, v9, vcc_lo
	v_add_co_u32 v40, vcc_lo, v4, v2
	v_and_b32_e32 v2, 48, v0
	v_add_nc_u32_e32 v8, 0x88, v17
	v_and_b32_e32 v21, 0x7ff0, v14
	v_and_b32_e32 v4, 0x1ffc, v12
	v_or_b32_e32 v12, 60, v33
	v_lshlrev_b32_e32 v9, 2, v2
	v_cmp_gt_u32_e64 s1, 64, v14
	v_add_nc_u32_e32 v14, 0x8c, v17
	v_add_nc_u32_e32 v15, 0x84, v17
	v_add_co_ci_u32_e64 v41, null, v13, v3, vcc_lo
	v_mul_u32_u24_e32 v20, 0x10c, v5
	v_mad_u64_u32 v[2:3], null, s14, v8, 0
	v_mad_u32_u24 v42, 0x10c, v5, v4
	v_mad_u32_u24 v43, 0x10c, v5, v9
	;; [unrolled: 1-line block ×3, first 2 shown]
	v_mad_u64_u32 v[4:5], null, s14, v14, 0
	v_mad_u64_u32 v[12:13], null, s14, v15, 0
	v_sub_co_u32 v22, vcc_lo, v2, v6
	v_add_nc_u32_e32 v16, 0xc8, v17
	v_add_nc_u32_e32 v28, 0xc0, v17
	v_mad_u64_u32 v[8:9], null, s15, v8, v[3:4]
	v_mov_b32_e32 v3, v5
	v_mov_b32_e32 v2, v13
	v_add_nc_u32_e32 v48, 0x104, v17
	v_add_nc_u32_e32 v49, 0x100, v17
	v_add_nc_u32_e32 v37, 0x10c0, v17
	v_add_nc_u32_e32 v35, 0x11c0, v33
	v_sub_co_ci_u32_e64 v23, null, v8, v7, vcc_lo
	v_mad_u64_u32 v[8:9], null, s15, v14, v[3:4]
	v_mad_u64_u32 v[13:14], null, s14, v16, 0
	;; [unrolled: 1-line block ×3, first 2 shown]
	v_add_nc_u32_e32 v15, 0xcc, v17
	v_sub_co_u32 v24, vcc_lo, v4, v6
	v_sub_co_ci_u32_e64 v25, null, v8, v7, vcc_lo
	v_mad_u64_u32 v[4:5], null, s14, v15, 0
	v_mov_b32_e32 v3, v14
	v_sub_co_u32 v26, vcc_lo, v12, v6
	v_sub_co_ci_u32_e64 v27, null, v2, v7, vcc_lo
	v_add_nc_u32_e32 v12, 0xc4, v17
	v_mad_u64_u32 v[2:3], null, s15, v16, v[3:4]
	v_mov_b32_e32 v3, v5
	v_sub_co_u32 v29, vcc_lo, v13, v6
	v_mad_u64_u32 v[8:9], null, s14, v12, 0
	v_mad_u64_u32 v[14:15], null, s15, v15, v[3:4]
	;; [unrolled: 1-line block ×3, first 2 shown]
	v_sub_co_ci_u32_e64 v30, null, v2, v7, vcc_lo
	v_mov_b32_e32 v2, v9
	v_add_nc_u32_e32 v9, 0x108, v17
	v_sub_co_u32 v31, vcc_lo, v4, v6
	v_mov_b32_e32 v3, v16
	v_sub_co_ci_u32_e64 v65, null, v14, v7, vcc_lo
	v_add_nc_u32_e32 v14, 0x10c, v17
	v_sub_co_u32 v16, vcc_lo, v8, v6
	v_mad_u64_u32 v[4:5], null, s15, v12, v[2:3]
	v_mad_u64_u32 v[12:13], null, s14, v9, 0
	v_mad_u32_u24 v36, 0x430, v1, v33
	v_or_b32_e32 v45, 1, v34
	v_or_b32_e32 v46, 2, v34
	;; [unrolled: 1-line block ×3, first 2 shown]
	v_mad_u64_u32 v[2:3], null, s15, v28, v[3:4]
	v_sub_co_ci_u32_e64 v28, null, v4, v7, vcc_lo
	v_mad_u64_u32 v[4:5], null, s14, v14, 0
	v_mov_b32_e32 v3, v13
	v_sub_co_u32 v68, vcc_lo, v15, v6
	v_sub_co_ci_u32_e64 v69, null, v2, v7, vcc_lo
	v_sub_co_u32 v70, vcc_lo, v12, v6
	v_mad_u64_u32 v[2:3], null, s15, v9, v[3:4]
	v_mov_b32_e32 v3, v5
	v_mad_u64_u32 v[8:9], null, s14, v48, 0
	v_add_nc_u32_e32 v50, 18, v34
	v_add_nc_u32_e32 v51, 19, v34
	v_mad_u64_u32 v[13:14], null, s15, v14, v[3:4]
	v_mad_u64_u32 v[14:15], null, s14, v49, 0
	v_sub_co_ci_u32_e64 v71, null, v2, v7, vcc_lo
	v_mov_b32_e32 v2, v9
	v_add_nc_u32_e32 v9, 0x148, v17
	v_sub_co_u32 v72, vcc_lo, v4, v6
	v_mov_b32_e32 v3, v15
	v_sub_co_ci_u32_e64 v73, null, v13, v7, vcc_lo
	v_mad_u64_u32 v[12:13], null, s14, v9, 0
	v_mad_u64_u32 v[4:5], null, s15, v48, v[2:3]
	v_add_nc_u32_e32 v15, 0x14c, v17
	v_sub_co_u32 v74, vcc_lo, v8, v6
	v_add_nc_u32_e32 v48, 16, v34
	v_add_nc_u32_e32 v52, 32, v34
	;; [unrolled: 1-line block ×3, first 2 shown]
	v_mad_u64_u32 v[2:3], null, s15, v49, v[3:4]
	v_sub_co_ci_u32_e64 v75, null, v4, v7, vcc_lo
	v_mad_u64_u32 v[4:5], null, s14, v15, 0
	v_mov_b32_e32 v3, v13
	v_sub_co_u32 v76, vcc_lo, v14, v6
	v_sub_co_ci_u32_e64 v77, null, v2, v7, vcc_lo
	v_add_nc_u32_e32 v49, 0x144, v17
	v_mad_u64_u32 v[2:3], null, s15, v9, v[3:4]
	v_mov_b32_e32 v3, v5
	v_add_nc_u32_e32 v17, 0x140, v17
	v_mad_u64_u32 v[8:9], null, s14, v49, 0
	v_sub_co_u32 v12, vcc_lo, v12, v6
	v_mad_u64_u32 v[13:14], null, s15, v15, v[3:4]
	v_mad_u64_u32 v[14:15], null, s14, v17, 0
	v_sub_co_ci_u32_e64 v79, null, v2, v7, vcc_lo
	v_mov_b32_e32 v2, v9
	v_sub_co_u32 v9, vcc_lo, v4, v6
	v_sub_co_ci_u32_e64 v13, null, v13, v7, vcc_lo
	v_mov_b32_e32 v3, v15
	v_add_nc_u32_e32 v54, 34, v34
	v_add_nc_u32_e32 v55, 35, v34
	;; [unrolled: 1-line block ×4, first 2 shown]
	v_mad_u64_u32 v[4:5], null, s15, v49, v[2:3]
	v_add_nc_u32_e32 v49, 17, v34
	v_add_nc_u32_e32 v88, v20, v21
	;; [unrolled: 1-line block ×4, first 2 shown]
	s_add_i32 s8, s19, -2
	s_add_i32 s9, s16, 64
	v_mad_u64_u32 v[2:3], null, s15, v17, v[3:4]
	v_sub_co_u32 v3, vcc_lo, v8, v6
	v_sub_co_ci_u32_e64 v4, null, v4, v7, vcc_lo
	v_sub_co_u32 v5, vcc_lo, v14, v6
	v_sub_co_ci_u32_e64 v2, null, v2, v7, vcc_lo
	v_add_co_u32 v56, vcc_lo, v10, v22
	v_add_co_ci_u32_e64 v57, null, v11, v23, vcc_lo
	v_add_co_u32 v58, vcc_lo, v10, v24
	v_add_co_ci_u32_e64 v59, null, v11, v25, vcc_lo
	v_add_co_u32 v60, vcc_lo, v10, v26
	v_add_co_ci_u32_e64 v61, null, v11, v27, vcc_lo
	v_add_co_u32 v62, vcc_lo, v10, v29
	v_add_co_ci_u32_e64 v63, null, v11, v30, vcc_lo
	v_add_co_u32 v64, vcc_lo, v10, v31
	v_add_co_ci_u32_e64 v65, null, v11, v65, vcc_lo
	v_add_co_u32 v66, vcc_lo, v10, v16
	v_add_co_ci_u32_e64 v67, null, v11, v28, vcc_lo
	v_add_co_u32 v68, vcc_lo, v10, v68
	v_add_co_ci_u32_e64 v69, null, v11, v69, vcc_lo
	v_add_co_u32 v70, vcc_lo, v10, v70
	v_add_co_ci_u32_e64 v71, null, v11, v71, vcc_lo
	v_add_co_u32 v72, vcc_lo, v10, v72
	v_add_co_ci_u32_e64 v73, null, v11, v73, vcc_lo
	v_add_co_u32 v74, vcc_lo, v10, v74
	v_add_co_ci_u32_e64 v75, null, v11, v75, vcc_lo
	v_add_co_u32 v76, vcc_lo, v10, v76
	v_add_co_ci_u32_e64 v77, null, v11, v77, vcc_lo
	v_add_co_u32 v78, vcc_lo, v10, v12
	v_add_co_ci_u32_e64 v79, null, v11, v79, vcc_lo
	v_add_co_u32 v80, vcc_lo, v10, v9
	v_add_co_ci_u32_e64 v81, null, v11, v13, vcc_lo
	v_add_co_u32 v82, vcc_lo, v10, v3
	v_add_co_ci_u32_e64 v83, null, v11, v4, vcc_lo
	v_add_co_u32 v84, vcc_lo, v10, v5
	v_add_co_ci_u32_e64 v85, null, v11, v2, vcc_lo
	s_lshl_b64 s[4:5], s[14:15], 8
	s_cmp_eq_u32 s8, s6
	s_cselect_b32 s13, s21, 0
	s_and_saveexec_b32 s2, s0
	s_cbranch_execz .LBB139_78
	s_branch .LBB139_75
.LBB139_74:                             ;   in Loop: Header=BB139_78 Depth=1
	s_mov_b32 s6, s2
	s_cmp_eq_u32 s8, s6
	s_cselect_b32 s13, s21, 0
	s_and_saveexec_b32 s2, s0
	s_cbranch_execz .LBB139_78
.LBB139_75:
	v_cmp_gt_i32_e32 vcc_lo, s13, v0
	s_cmp_eq_u32 s13, 0
	v_mov_b32_e32 v2, 0
	s_cselect_b32 s14, -1, 0
	s_or_b32 s15, s14, vcc_lo
	s_and_saveexec_b32 s14, s15
	s_cbranch_execz .LBB139_77
; %bb.76:
	s_ashr_i32 s15, s9, 31
	s_mul_hi_u32 s16, s10, s9
	s_mul_i32 s15, s10, s15
	s_mul_i32 s17, s11, s9
	s_add_i32 s15, s16, s15
	s_mul_i32 s16, s10, s9
	s_add_i32 s17, s15, s17
	s_lshl_b64 s[16:17], s[16:17], 2
	v_add_co_u32 v2, vcc_lo, v38, s16
	v_add_co_ci_u32_e64 v3, null, s17, v39, vcc_lo
	flat_load_dword v2, v[2:3]
.LBB139_77:
	s_or_b32 exec_lo, exec_lo, s14
	v_add_nc_u32_e32 v3, 0x10c0, v33
	s_waitcnt vmcnt(0) lgkmcnt(0)
	ds_write_b32 v3, v2
.LBB139_78:                             ; =>This Inner Loop Header: Depth=1
	s_or_b32 exec_lo, exec_lo, s2
	s_cmp_eq_u32 s13, 0
	v_add_co_u32 v2, vcc_lo, v40, v33
	s_cselect_b32 s14, -1, 0
	s_cmp_lg_u32 s13, 0
	v_add_co_ci_u32_e64 v3, null, 0, v41, vcc_lo
	s_cselect_b32 s2, -1, 0
	s_mov_b32 s15, -1
	s_and_b32 vcc_lo, exec_lo, s2
	s_waitcnt lgkmcnt(0)
	s_barrier
	buffer_gl0_inv
                                        ; implicit-def: $vgpr92
                                        ; implicit-def: $vgpr93
                                        ; implicit-def: $vgpr91
                                        ; implicit-def: $vgpr94
	s_cbranch_vccz .LBB139_88
; %bb.79:                               ;   in Loop: Header=BB139_78 Depth=1
	v_mov_b32_e32 v91, 0
	v_mov_b32_e32 v94, 0
	s_mov_b32 s15, exec_lo
	v_cmpx_gt_i32_e64 s13, v34
	s_cbranch_execz .LBB139_81
; %bb.80:                               ;   in Loop: Header=BB139_78 Depth=1
	flat_load_dword v94, v[2:3]
.LBB139_81:                             ;   in Loop: Header=BB139_78 Depth=1
	s_or_b32 exec_lo, exec_lo, s15
	s_mov_b32 s15, exec_lo
	v_cmpx_gt_i32_e64 s13, v45
	s_cbranch_execz .LBB139_83
; %bb.82:                               ;   in Loop: Header=BB139_78 Depth=1
	v_add_co_u32 v4, vcc_lo, v60, v33
	v_add_co_ci_u32_e64 v5, null, 0, v61, vcc_lo
	flat_load_dword v91, v[4:5]
.LBB139_83:                             ;   in Loop: Header=BB139_78 Depth=1
	s_or_b32 exec_lo, exec_lo, s15
	v_mov_b32_e32 v92, 0
	v_mov_b32_e32 v93, 0
	s_mov_b32 s15, exec_lo
	v_cmpx_gt_i32_e64 s13, v46
	s_cbranch_execz .LBB139_85
; %bb.84:                               ;   in Loop: Header=BB139_78 Depth=1
	v_add_co_u32 v4, vcc_lo, v56, v33
	v_add_co_ci_u32_e64 v5, null, 0, v57, vcc_lo
	flat_load_dword v93, v[4:5]
.LBB139_85:                             ;   in Loop: Header=BB139_78 Depth=1
	s_or_b32 exec_lo, exec_lo, s15
	s_mov_b32 s15, exec_lo
	v_cmpx_gt_i32_e64 s13, v47
	s_cbranch_execz .LBB139_87
; %bb.86:                               ;   in Loop: Header=BB139_78 Depth=1
	v_add_co_u32 v4, vcc_lo, v58, v33
	v_add_co_ci_u32_e64 v5, null, 0, v59, vcc_lo
	flat_load_dword v92, v[4:5]
.LBB139_87:                             ;   in Loop: Header=BB139_78 Depth=1
	s_or_b32 exec_lo, exec_lo, s15
	s_mov_b32 s15, 0
.LBB139_88:                             ;   in Loop: Header=BB139_78 Depth=1
	s_and_b32 vcc_lo, exec_lo, s15
	s_cbranch_vccz .LBB139_90
; %bb.89:                               ;   in Loop: Header=BB139_78 Depth=1
	v_add_co_u32 v4, vcc_lo, v60, v33
	v_add_co_ci_u32_e64 v5, null, 0, v61, vcc_lo
	v_add_co_u32 v6, vcc_lo, v56, v33
	v_add_co_ci_u32_e64 v7, null, 0, v57, vcc_lo
	;; [unrolled: 2-line block ×3, first 2 shown]
	s_waitcnt vmcnt(0) lgkmcnt(0)
	flat_load_dword v94, v[2:3]
	flat_load_dword v91, v[4:5]
	flat_load_dword v93, v[6:7]
	flat_load_dword v92, v[8:9]
.LBB139_90:                             ;   in Loop: Header=BB139_78 Depth=1
	ds_read_b32 v6, v35
	ds_read_b128 v[2:5], v37
	v_cndmask_b32_e64 v14, 0, 1, s2
                                        ; implicit-def: $vgpr97
                                        ; implicit-def: $vgpr98
                                        ; implicit-def: $vgpr95
                                        ; implicit-def: $vgpr96
	s_waitcnt vmcnt(0) lgkmcnt(1)
	v_mul_f32_e32 v7, v94, v6
	v_mul_f32_e32 v8, v91, v6
	;; [unrolled: 1-line block ×4, first 2 shown]
	ds_write2_b32 v36, v7, v8 offset1:67
	ds_write2_b32 v36, v9, v6 offset0:134 offset1:201
	s_waitcnt lgkmcnt(0)
	s_barrier
	buffer_gl0_inv
	ds_read2_b32 v[22:23], v88 offset1:1
	ds_read2_b32 v[20:21], v88 offset0:2 offset1:3
	v_add_co_u32 v6, vcc_lo, v68, v33
	v_add_co_ci_u32_e64 v7, null, 0, v69, vcc_lo
	s_andn2_b32 vcc_lo, exec_lo, s2
	s_mov_b32 s2, -1
	s_waitcnt lgkmcnt(0)
	s_barrier
	buffer_gl0_inv
	s_cbranch_vccnz .LBB139_100
; %bb.91:                               ;   in Loop: Header=BB139_78 Depth=1
	v_mov_b32_e32 v95, 0
	v_mov_b32_e32 v96, 0
	s_mov_b32 s2, exec_lo
	v_cmpx_gt_i32_e64 s13, v48
	s_cbranch_execz .LBB139_93
; %bb.92:                               ;   in Loop: Header=BB139_78 Depth=1
	flat_load_dword v96, v[6:7]
.LBB139_93:                             ;   in Loop: Header=BB139_78 Depth=1
	s_or_b32 exec_lo, exec_lo, s2
	s_mov_b32 s2, exec_lo
	v_cmpx_gt_i32_e64 s13, v49
	s_cbranch_execz .LBB139_95
; %bb.94:                               ;   in Loop: Header=BB139_78 Depth=1
	v_add_co_u32 v8, vcc_lo, v66, v33
	v_add_co_ci_u32_e64 v9, null, 0, v67, vcc_lo
	flat_load_dword v95, v[8:9]
.LBB139_95:                             ;   in Loop: Header=BB139_78 Depth=1
	s_or_b32 exec_lo, exec_lo, s2
	v_mov_b32_e32 v97, 0
	v_mov_b32_e32 v98, 0
	s_mov_b32 s2, exec_lo
	v_cmpx_gt_i32_e64 s13, v50
	s_cbranch_execz .LBB139_97
; %bb.96:                               ;   in Loop: Header=BB139_78 Depth=1
	v_add_co_u32 v8, vcc_lo, v62, v33
	v_add_co_ci_u32_e64 v9, null, 0, v63, vcc_lo
	flat_load_dword v98, v[8:9]
.LBB139_97:                             ;   in Loop: Header=BB139_78 Depth=1
	s_or_b32 exec_lo, exec_lo, s2
	s_mov_b32 s2, exec_lo
	v_cmpx_gt_i32_e64 s13, v51
	s_cbranch_execz .LBB139_99
; %bb.98:                               ;   in Loop: Header=BB139_78 Depth=1
	v_add_co_u32 v8, vcc_lo, v64, v33
	v_add_co_ci_u32_e64 v9, null, 0, v65, vcc_lo
	flat_load_dword v97, v[8:9]
.LBB139_99:                             ;   in Loop: Header=BB139_78 Depth=1
	s_or_b32 exec_lo, exec_lo, s2
	s_mov_b32 s2, 0
.LBB139_100:                            ;   in Loop: Header=BB139_78 Depth=1
	s_and_b32 vcc_lo, exec_lo, s2
	s_cbranch_vccz .LBB139_102
; %bb.101:                              ;   in Loop: Header=BB139_78 Depth=1
	v_add_co_u32 v8, vcc_lo, v66, v33
	v_add_co_ci_u32_e64 v9, null, 0, v67, vcc_lo
	v_add_co_u32 v10, vcc_lo, v62, v33
	v_add_co_ci_u32_e64 v11, null, 0, v63, vcc_lo
	;; [unrolled: 2-line block ×3, first 2 shown]
	s_waitcnt vmcnt(0) lgkmcnt(0)
	flat_load_dword v96, v[6:7]
	flat_load_dword v95, v[8:9]
	flat_load_dword v98, v[10:11]
	flat_load_dword v97, v[12:13]
.LBB139_102:                            ;   in Loop: Header=BB139_78 Depth=1
	ds_read_b32 v10, v35
	ds_read_b128 v[6:9], v37 offset:64
	v_cmp_ne_u32_e32 vcc_lo, 1, v14
                                        ; implicit-def: $vgpr101
                                        ; implicit-def: $vgpr102
                                        ; implicit-def: $vgpr99
                                        ; implicit-def: $vgpr100
	s_and_b32 vcc_lo, exec_lo, vcc_lo
	s_waitcnt vmcnt(0) lgkmcnt(1)
	v_mul_f32_e32 v11, v96, v10
	v_mul_f32_e32 v12, v95, v10
	v_mul_f32_e32 v13, v98, v10
	v_mul_f32_e32 v10, v97, v10
	ds_write2_b32 v36, v11, v12 offset1:67
	ds_write2_b32 v36, v13, v10 offset0:134 offset1:201
	s_waitcnt lgkmcnt(0)
	s_barrier
	buffer_gl0_inv
	ds_read2_b32 v[26:27], v88 offset1:1
	ds_read2_b32 v[24:25], v88 offset0:2 offset1:3
	v_add_co_u32 v10, s2, v76, v33
	v_add_co_ci_u32_e64 v11, null, 0, v77, s2
	s_mov_b32 s2, -1
	s_waitcnt lgkmcnt(0)
	s_barrier
	buffer_gl0_inv
	s_cbranch_vccnz .LBB139_112
; %bb.103:                              ;   in Loop: Header=BB139_78 Depth=1
	v_mov_b32_e32 v99, 0
	v_mov_b32_e32 v100, 0
	s_mov_b32 s2, exec_lo
	v_cmpx_gt_i32_e64 s13, v52
	s_cbranch_execz .LBB139_105
; %bb.104:                              ;   in Loop: Header=BB139_78 Depth=1
	flat_load_dword v100, v[10:11]
.LBB139_105:                            ;   in Loop: Header=BB139_78 Depth=1
	s_or_b32 exec_lo, exec_lo, s2
	s_mov_b32 s2, exec_lo
	v_cmpx_gt_i32_e64 s13, v53
	s_cbranch_execz .LBB139_107
; %bb.106:                              ;   in Loop: Header=BB139_78 Depth=1
	v_add_co_u32 v12, vcc_lo, v74, v33
	v_add_co_ci_u32_e64 v13, null, 0, v75, vcc_lo
	flat_load_dword v99, v[12:13]
.LBB139_107:                            ;   in Loop: Header=BB139_78 Depth=1
	s_or_b32 exec_lo, exec_lo, s2
	v_mov_b32_e32 v101, 0
	v_mov_b32_e32 v102, 0
	s_mov_b32 s2, exec_lo
	v_cmpx_gt_i32_e64 s13, v54
	s_cbranch_execz .LBB139_109
; %bb.108:                              ;   in Loop: Header=BB139_78 Depth=1
	v_add_co_u32 v12, vcc_lo, v70, v33
	v_add_co_ci_u32_e64 v13, null, 0, v71, vcc_lo
	flat_load_dword v102, v[12:13]
.LBB139_109:                            ;   in Loop: Header=BB139_78 Depth=1
	s_or_b32 exec_lo, exec_lo, s2
	s_mov_b32 s2, exec_lo
	v_cmpx_gt_i32_e64 s13, v55
	s_cbranch_execz .LBB139_111
; %bb.110:                              ;   in Loop: Header=BB139_78 Depth=1
	v_add_co_u32 v12, vcc_lo, v72, v33
	v_add_co_ci_u32_e64 v13, null, 0, v73, vcc_lo
	flat_load_dword v101, v[12:13]
.LBB139_111:                            ;   in Loop: Header=BB139_78 Depth=1
	s_or_b32 exec_lo, exec_lo, s2
	s_mov_b32 s2, 0
.LBB139_112:                            ;   in Loop: Header=BB139_78 Depth=1
	s_and_b32 vcc_lo, exec_lo, s2
	s_cbranch_vccz .LBB139_114
; %bb.113:                              ;   in Loop: Header=BB139_78 Depth=1
	v_add_co_u32 v12, vcc_lo, v74, v33
	v_add_co_ci_u32_e64 v13, null, 0, v75, vcc_lo
	v_add_co_u32 v15, vcc_lo, v70, v33
	v_add_co_ci_u32_e64 v16, null, 0, v71, vcc_lo
	v_add_co_u32 v28, vcc_lo, v72, v33
	v_add_co_ci_u32_e64 v29, null, 0, v73, vcc_lo
	s_waitcnt vmcnt(0) lgkmcnt(0)
	flat_load_dword v100, v[10:11]
	flat_load_dword v99, v[12:13]
	;; [unrolled: 1-line block ×4, first 2 shown]
.LBB139_114:                            ;   in Loop: Header=BB139_78 Depth=1
	ds_read_b32 v15, v35
	ds_read_b128 v[10:13], v37 offset:128
	v_cmp_ne_u32_e32 vcc_lo, 1, v14
	v_add_co_u32 v14, s2, v84, v33
                                        ; implicit-def: $vgpr105
                                        ; implicit-def: $vgpr106
                                        ; implicit-def: $vgpr103
                                        ; implicit-def: $vgpr104
	s_and_b32 vcc_lo, exec_lo, vcc_lo
	s_waitcnt vmcnt(0) lgkmcnt(1)
	v_mul_f32_e32 v16, v100, v15
	v_mul_f32_e32 v17, v99, v15
	;; [unrolled: 1-line block ×4, first 2 shown]
	ds_write2_b32 v36, v16, v17 offset1:67
	ds_write2_b32 v36, v28, v15 offset0:134 offset1:201
	s_waitcnt lgkmcnt(0)
	s_barrier
	buffer_gl0_inv
	ds_read2_b32 v[30:31], v88 offset1:1
	ds_read2_b32 v[28:29], v88 offset0:2 offset1:3
	v_add_co_ci_u32_e64 v15, null, 0, v85, s2
	s_mov_b32 s2, -1
	s_waitcnt lgkmcnt(0)
	s_barrier
	buffer_gl0_inv
	s_cbranch_vccnz .LBB139_124
; %bb.115:                              ;   in Loop: Header=BB139_78 Depth=1
	v_mov_b32_e32 v103, 0
	v_mov_b32_e32 v104, 0
	s_mov_b32 s2, exec_lo
	v_cmpx_gt_i32_e64 s13, v86
	s_cbranch_execz .LBB139_117
; %bb.116:                              ;   in Loop: Header=BB139_78 Depth=1
	flat_load_dword v104, v[14:15]
.LBB139_117:                            ;   in Loop: Header=BB139_78 Depth=1
	s_or_b32 exec_lo, exec_lo, s2
	s_mov_b32 s2, exec_lo
	v_cmpx_gt_i32_e64 s13, v87
	s_cbranch_execz .LBB139_119
; %bb.118:                              ;   in Loop: Header=BB139_78 Depth=1
	v_add_co_u32 v16, vcc_lo, v82, v33
	v_add_co_ci_u32_e64 v17, null, 0, v83, vcc_lo
	flat_load_dword v103, v[16:17]
.LBB139_119:                            ;   in Loop: Header=BB139_78 Depth=1
	s_or_b32 exec_lo, exec_lo, s2
	v_mov_b32_e32 v105, 0
	v_mov_b32_e32 v106, 0
	s_mov_b32 s2, exec_lo
	v_cmpx_gt_i32_e64 s13, v89
	s_cbranch_execz .LBB139_121
; %bb.120:                              ;   in Loop: Header=BB139_78 Depth=1
	v_add_co_u32 v16, vcc_lo, v78, v33
	v_add_co_ci_u32_e64 v17, null, 0, v79, vcc_lo
	flat_load_dword v106, v[16:17]
.LBB139_121:                            ;   in Loop: Header=BB139_78 Depth=1
	s_or_b32 exec_lo, exec_lo, s2
	s_mov_b32 s2, exec_lo
	v_cmpx_gt_i32_e64 s13, v90
	s_cbranch_execz .LBB139_123
; %bb.122:                              ;   in Loop: Header=BB139_78 Depth=1
	v_add_co_u32 v16, vcc_lo, v80, v33
	v_add_co_ci_u32_e64 v17, null, 0, v81, vcc_lo
	flat_load_dword v105, v[16:17]
.LBB139_123:                            ;   in Loop: Header=BB139_78 Depth=1
	s_or_b32 exec_lo, exec_lo, s2
	s_mov_b32 s2, 0
.LBB139_124:                            ;   in Loop: Header=BB139_78 Depth=1
	s_and_b32 vcc_lo, exec_lo, s2
	s_cbranch_vccz .LBB139_126
; %bb.125:                              ;   in Loop: Header=BB139_78 Depth=1
	v_add_co_u32 v16, vcc_lo, v82, v33
	v_add_co_ci_u32_e64 v17, null, 0, v83, vcc_lo
	s_waitcnt vmcnt(0) lgkmcnt(0)
	v_add_co_u32 v105, vcc_lo, v78, v33
	v_add_co_ci_u32_e64 v106, null, 0, v79, vcc_lo
	v_add_co_u32 v107, vcc_lo, v80, v33
	v_add_co_ci_u32_e64 v108, null, 0, v81, vcc_lo
	flat_load_dword v104, v[14:15]
	flat_load_dword v103, v[16:17]
	;; [unrolled: 1-line block ×4, first 2 shown]
.LBB139_126:                            ;   in Loop: Header=BB139_78 Depth=1
	ds_read_b32 v107, v35
	ds_read_b128 v[14:17], v37 offset:192
	v_add_f32_e32 v26, 0, v26
	v_add_f32_e32 v22, 0, v22
	;; [unrolled: 1-line block ×3, first 2 shown]
	v_cmp_gt_i32_e32 vcc_lo, s13, v0
	v_add_f32_e32 v26, v26, v27
	v_add_f32_e32 v22, v22, v23
	;; [unrolled: 1-line block ×3, first 2 shown]
	s_or_b32 s2, s14, vcc_lo
	v_add_f32_e32 v24, v26, v24
	v_add_f32_e32 v20, v22, v20
	;; [unrolled: 1-line block ×3, first 2 shown]
	s_and_b32 s13, s1, s2
	v_add_f32_e32 v24, v24, v25
	v_add_f32_e32 v20, v20, v21
	s_waitcnt vmcnt(0) lgkmcnt(1)
	v_mul_f32_e32 v108, v104, v107
	v_mul_f32_e32 v109, v103, v107
	;; [unrolled: 1-line block ×4, first 2 shown]
	ds_write2_b32 v36, v108, v109 offset1:67
	ds_write2_b32 v36, v110, v107 offset0:134 offset1:201
	s_waitcnt lgkmcnt(0)
	s_barrier
	buffer_gl0_inv
	ds_read2_b32 v[107:108], v88 offset1:1
	ds_read2_b32 v[109:110], v88 offset0:2 offset1:3
	s_waitcnt lgkmcnt(0)
	s_barrier
	buffer_gl0_inv
	v_add_f32_e32 v107, 0, v107
	v_add_f32_e32 v23, v107, v108
	;; [unrolled: 1-line block ×5, first 2 shown]
	ds_write2_b32 v42, v20, v24 offset1:16
	ds_write2_b32 v42, v23, v21 offset0:32 offset1:48
	s_waitcnt lgkmcnt(0)
	s_barrier
	buffer_gl0_inv
	s_and_saveexec_b32 s2, s13
	s_cbranch_execz .LBB139_128
; %bb.127:                              ;   in Loop: Header=BB139_78 Depth=1
	ds_read2_b32 v[20:21], v43 offset1:1
	ds_read2_b32 v[22:23], v43 offset0:2 offset1:3
	ds_read2_b32 v[24:25], v43 offset0:4 offset1:5
	;; [unrolled: 1-line block ×3, first 2 shown]
	s_waitcnt lgkmcnt(3)
	v_add_f32_e32 v20, v20, v21
	s_waitcnt lgkmcnt(2)
	v_add_f32_e32 v20, v20, v22
	v_add_f32_e32 v22, v20, v23
	ds_read2_b32 v[20:21], v43 offset0:8 offset1:9
	s_waitcnt lgkmcnt(2)
	v_add_f32_e32 v22, v22, v24
	v_add_f32_e32 v24, v22, v25
	ds_read2_b32 v[22:23], v43 offset0:10 offset1:11
	;; [unrolled: 4-line block ×3, first 2 shown]
	ds_read_b32 v27, v43 offset:56
	s_waitcnt lgkmcnt(3)
	v_add_f32_e32 v20, v26, v20
	v_add_f32_e32 v20, v20, v21
	s_waitcnt lgkmcnt(2)
	v_add_f32_e32 v20, v20, v22
	ds_read_b32 v22, v44
	v_add_f32_e32 v20, v20, v23
	s_waitcnt lgkmcnt(2)
	v_add_f32_e32 v21, v20, v24
	v_add_nc_u32_e32 v20, s9, v0
	v_add_f32_e32 v23, v21, v25
	v_ashrrev_i32_e32 v21, 31, v20
	s_waitcnt lgkmcnt(1)
	v_add_f32_e32 v23, v23, v27
	v_lshlrev_b64 v[20:21], 2, v[20:21]
	s_waitcnt lgkmcnt(0)
	v_add_f32_e32 v22, v23, v22
	v_add_co_u32 v20, vcc_lo, s3, v20
	v_add_co_ci_u32_e64 v21, null, s7, v21, vcc_lo
	global_store_dword v[20:21], v22, off
.LBB139_128:                            ;   in Loop: Header=BB139_78 Depth=1
	s_or_b32 exec_lo, exec_lo, s2
	v_fmac_f32_e32 v32, v94, v2
	v_add_co_u32 v56, vcc_lo, v56, s4
	v_add_co_ci_u32_e64 v57, null, s5, v57, vcc_lo
	v_fmac_f32_e32 v32, v91, v3
	v_add_co_u32 v58, vcc_lo, v58, s4
	v_add_co_ci_u32_e64 v59, null, s5, v59, vcc_lo
	;; [unrolled: 3-line block ×15, first 2 shown]
	v_add_co_u32 v84, vcc_lo, v84, s4
	v_fmac_f32_e32 v32, v105, v17
	v_add_co_ci_u32_e64 v85, null, s5, v85, vcc_lo
	s_add_i32 s2, s6, 1
	s_add_i32 s6, s6, 2
	;; [unrolled: 1-line block ×3, first 2 shown]
	s_cmp_ge_u32 s6, s19
	s_waitcnt_vscnt null, 0x0
	s_barrier
	buffer_gl0_inv
	s_cbranch_scc0 .LBB139_74
.LBB139_129:
	v_cmp_gt_i32_e32 vcc_lo, s12, v0
	v_mad_u32_u24 v1, 0x10c, v1, v33
	s_or_b32 s1, s26, vcc_lo
	ds_write_b32 v1, v32
	s_and_b32 s0, s0, s1
	s_waitcnt lgkmcnt(0)
	s_barrier
	buffer_gl0_inv
	s_and_saveexec_b32 s1, s0
	s_cbranch_execz .LBB139_4
; %bb.130:
	ds_read2_b32 v[0:1], v33 offset1:67
	ds_read2_b32 v[2:3], v33 offset0:134 offset1:201
	s_waitcnt lgkmcnt(1)
	v_add_f32_e32 v0, v0, v1
	s_waitcnt lgkmcnt(0)
	v_add_f32_e32 v2, v0, v2
	v_lshlrev_b64 v[0:1], 2, v[18:19]
	v_add_f32_e32 v2, v2, v3
	v_add_co_u32 v0, vcc_lo, s3, v0
	v_add_co_ci_u32_e64 v1, null, s7, v1, vcc_lo
	global_store_dword v[0:1], v2, off
	s_endpgm
	.section	.rodata,"a",@progbits
	.p2align	6, 0x0
	.amdhsa_kernel _ZL26rocblas_hemvn_kernel_upperILb0ELi64ELi4ELi33ELi32ELi16ElfPKPKfPfEviT6_lT7_lT5_lS6_lS7_lS5_lT8_i
		.amdhsa_group_segment_fixed_size 4800
		.amdhsa_private_segment_fixed_size 0
		.amdhsa_kernarg_size 368
		.amdhsa_user_sgpr_count 6
		.amdhsa_user_sgpr_private_segment_buffer 1
		.amdhsa_user_sgpr_dispatch_ptr 0
		.amdhsa_user_sgpr_queue_ptr 0
		.amdhsa_user_sgpr_kernarg_segment_ptr 1
		.amdhsa_user_sgpr_dispatch_id 0
		.amdhsa_user_sgpr_flat_scratch_init 0
		.amdhsa_user_sgpr_private_segment_size 0
		.amdhsa_wavefront_size32 1
		.amdhsa_uses_dynamic_stack 0
		.amdhsa_system_sgpr_private_segment_wavefront_offset 0
		.amdhsa_system_sgpr_workgroup_id_x 1
		.amdhsa_system_sgpr_workgroup_id_y 0
		.amdhsa_system_sgpr_workgroup_id_z 1
		.amdhsa_system_sgpr_workgroup_info 0
		.amdhsa_system_vgpr_workitem_id 1
		.amdhsa_next_free_vgpr 111
		.amdhsa_next_free_sgpr 32
		.amdhsa_reserve_vcc 1
		.amdhsa_reserve_flat_scratch 1
		.amdhsa_float_round_mode_32 0
		.amdhsa_float_round_mode_16_64 0
		.amdhsa_float_denorm_mode_32 3
		.amdhsa_float_denorm_mode_16_64 3
		.amdhsa_dx10_clamp 1
		.amdhsa_ieee_mode 1
		.amdhsa_fp16_overflow 0
		.amdhsa_workgroup_processor_mode 1
		.amdhsa_memory_ordered 1
		.amdhsa_forward_progress 1
		.amdhsa_shared_vgpr_count 0
		.amdhsa_exception_fp_ieee_invalid_op 0
		.amdhsa_exception_fp_denorm_src 0
		.amdhsa_exception_fp_ieee_div_zero 0
		.amdhsa_exception_fp_ieee_overflow 0
		.amdhsa_exception_fp_ieee_underflow 0
		.amdhsa_exception_fp_ieee_inexact 0
		.amdhsa_exception_int_div_zero 0
	.end_amdhsa_kernel
	.section	.text._ZL26rocblas_hemvn_kernel_upperILb0ELi64ELi4ELi33ELi32ELi16ElfPKPKfPfEviT6_lT7_lT5_lS6_lS7_lS5_lT8_i,"axG",@progbits,_ZL26rocblas_hemvn_kernel_upperILb0ELi64ELi4ELi33ELi32ELi16ElfPKPKfPfEviT6_lT7_lT5_lS6_lS7_lS5_lT8_i,comdat
.Lfunc_end139:
	.size	_ZL26rocblas_hemvn_kernel_upperILb0ELi64ELi4ELi33ELi32ELi16ElfPKPKfPfEviT6_lT7_lT5_lS6_lS7_lS5_lT8_i, .Lfunc_end139-_ZL26rocblas_hemvn_kernel_upperILb0ELi64ELi4ELi33ELi32ELi16ElfPKPKfPfEviT6_lT7_lT5_lS6_lS7_lS5_lT8_i
                                        ; -- End function
	.set _ZL26rocblas_hemvn_kernel_upperILb0ELi64ELi4ELi33ELi32ELi16ElfPKPKfPfEviT6_lT7_lT5_lS6_lS7_lS5_lT8_i.num_vgpr, 111
	.set _ZL26rocblas_hemvn_kernel_upperILb0ELi64ELi4ELi33ELi32ELi16ElfPKPKfPfEviT6_lT7_lT5_lS6_lS7_lS5_lT8_i.num_agpr, 0
	.set _ZL26rocblas_hemvn_kernel_upperILb0ELi64ELi4ELi33ELi32ELi16ElfPKPKfPfEviT6_lT7_lT5_lS6_lS7_lS5_lT8_i.numbered_sgpr, 32
	.set _ZL26rocblas_hemvn_kernel_upperILb0ELi64ELi4ELi33ELi32ELi16ElfPKPKfPfEviT6_lT7_lT5_lS6_lS7_lS5_lT8_i.num_named_barrier, 0
	.set _ZL26rocblas_hemvn_kernel_upperILb0ELi64ELi4ELi33ELi32ELi16ElfPKPKfPfEviT6_lT7_lT5_lS6_lS7_lS5_lT8_i.private_seg_size, 0
	.set _ZL26rocblas_hemvn_kernel_upperILb0ELi64ELi4ELi33ELi32ELi16ElfPKPKfPfEviT6_lT7_lT5_lS6_lS7_lS5_lT8_i.uses_vcc, 1
	.set _ZL26rocblas_hemvn_kernel_upperILb0ELi64ELi4ELi33ELi32ELi16ElfPKPKfPfEviT6_lT7_lT5_lS6_lS7_lS5_lT8_i.uses_flat_scratch, 1
	.set _ZL26rocblas_hemvn_kernel_upperILb0ELi64ELi4ELi33ELi32ELi16ElfPKPKfPfEviT6_lT7_lT5_lS6_lS7_lS5_lT8_i.has_dyn_sized_stack, 0
	.set _ZL26rocblas_hemvn_kernel_upperILb0ELi64ELi4ELi33ELi32ELi16ElfPKPKfPfEviT6_lT7_lT5_lS6_lS7_lS5_lT8_i.has_recursion, 0
	.set _ZL26rocblas_hemvn_kernel_upperILb0ELi64ELi4ELi33ELi32ELi16ElfPKPKfPfEviT6_lT7_lT5_lS6_lS7_lS5_lT8_i.has_indirect_call, 0
	.section	.AMDGPU.csdata,"",@progbits
; Kernel info:
; codeLenInByte = 7740
; TotalNumSgprs: 34
; NumVgprs: 111
; ScratchSize: 0
; MemoryBound: 0
; FloatMode: 240
; IeeeMode: 1
; LDSByteSize: 4800 bytes/workgroup (compile time only)
; SGPRBlocks: 0
; VGPRBlocks: 13
; NumSGPRsForWavesPerEU: 34
; NumVGPRsForWavesPerEU: 111
; Occupancy: 9
; WaveLimiterHint : 1
; COMPUTE_PGM_RSRC2:SCRATCH_EN: 0
; COMPUTE_PGM_RSRC2:USER_SGPR: 6
; COMPUTE_PGM_RSRC2:TRAP_HANDLER: 0
; COMPUTE_PGM_RSRC2:TGID_X_EN: 1
; COMPUTE_PGM_RSRC2:TGID_Y_EN: 0
; COMPUTE_PGM_RSRC2:TGID_Z_EN: 1
; COMPUTE_PGM_RSRC2:TIDIG_COMP_CNT: 1
	.section	.text._ZL36rocblas_hemvn_kernel_upper_block_sumILi64ElfPKPffEviT1_lS3_lT2_lT0_lPT3_i,"axG",@progbits,_ZL36rocblas_hemvn_kernel_upper_block_sumILi64ElfPKPffEviT1_lS3_lT2_lT0_lPT3_i,comdat
	.globl	_ZL36rocblas_hemvn_kernel_upper_block_sumILi64ElfPKPffEviT1_lS3_lT2_lT0_lPT3_i ; -- Begin function _ZL36rocblas_hemvn_kernel_upper_block_sumILi64ElfPKPffEviT1_lS3_lT2_lT0_lPT3_i
	.p2align	8
	.type	_ZL36rocblas_hemvn_kernel_upper_block_sumILi64ElfPKPffEviT1_lS3_lT2_lT0_lPT3_i,@function
_ZL36rocblas_hemvn_kernel_upper_block_sumILi64ElfPKPffEviT1_lS3_lT2_lT0_lPT3_i: ; @_ZL36rocblas_hemvn_kernel_upper_block_sumILi64ElfPKPffEviT1_lS3_lT2_lT0_lPT3_i
; %bb.0:
	s_clause 0x1
	s_load_dwordx2 s[10:11], s[4:5], 0x0
	s_load_dword s13, s[4:5], 0x10
	s_mov_b32 s9, 0
	s_waitcnt lgkmcnt(0)
	v_cmp_eq_f32_e64 s0, s11, 0
	v_cmp_eq_f32_e64 s1, s13, 1.0
	s_and_b32 s0, s0, s1
	s_and_b32 vcc_lo, exec_lo, s0
	s_cbranch_vccnz .LBB140_19
; %bb.1:
	s_clause 0x1
	s_load_dwordx2 s[14:15], s[4:5], 0x20
	s_load_dwordx4 s[0:3], s[4:5], 0x28
	s_mov_b32 s8, s7
	v_lshl_or_b32 v0, s6, 6, v0
	s_lshl_b64 s[16:17], s[8:9], 3
	s_waitcnt lgkmcnt(0)
	s_add_u32 s14, s14, s16
	s_addc_u32 s15, s15, s17
	v_cmp_neq_f32_e64 s16, s11, 0
	s_load_dwordx2 s[14:15], s[14:15], 0x0
	s_lshl_b64 s[0:1], s[0:1], 2
	s_waitcnt lgkmcnt(0)
	s_add_u32 s7, s14, s0
	v_cmp_gt_i32_e64 s0, s10, v0
	s_addc_u32 s12, s15, s1
	s_and_b32 vcc_lo, exec_lo, s16
	s_cbranch_vccnz .LBB140_6
; %bb.2:
	s_mov_b32 s1, 0
                                        ; implicit-def: $vgpr3
                                        ; implicit-def: $vgpr1_vgpr2
	s_and_saveexec_b32 s14, s0
	s_cbranch_execz .LBB140_7
; %bb.3:
	v_ashrrev_i32_e32 v3, 31, v0
	v_mul_lo_u32 v4, s3, v0
	v_mad_u64_u32 v[1:2], null, s2, v0, 0
	v_cmp_eq_f32_e64 s0, s13, 0
	v_mul_lo_u32 v5, s2, v3
	v_mov_b32_e32 v3, 0
	s_and_b32 vcc_lo, exec_lo, s0
	v_add3_u32 v2, v2, v5, v4
	s_cbranch_vccnz .LBB140_5
; %bb.4:
	v_lshlrev_b64 v[3:4], 2, v[1:2]
	v_add_co_u32 v3, vcc_lo, s7, v3
	v_add_co_ci_u32_e64 v4, null, s12, v4, vcc_lo
	flat_load_dword v3, v[3:4]
	s_waitcnt vmcnt(0) lgkmcnt(0)
	v_mul_f32_e32 v3, s13, v3
.LBB140_5:
	s_mov_b32 s9, exec_lo
	s_or_b32 exec_lo, exec_lo, s14
	s_and_b32 vcc_lo, exec_lo, s1
	s_cbranch_vccnz .LBB140_8
	s_branch .LBB140_17
.LBB140_6:
                                        ; implicit-def: $vgpr3
                                        ; implicit-def: $vgpr1_vgpr2
	s_cbranch_execnz .LBB140_8
	s_branch .LBB140_17
.LBB140_7:
	s_or_b32 exec_lo, exec_lo, s14
	s_and_b32 vcc_lo, exec_lo, s1
	s_cbranch_vccz .LBB140_17
.LBB140_8:
	s_mov_b32 s14, exec_lo
                                        ; implicit-def: $vgpr3
                                        ; implicit-def: $vgpr1_vgpr2
	v_cmpx_gt_i32_e64 s10, v0
	s_cbranch_execz .LBB140_16
; %bb.9:
	v_ashrrev_i32_e32 v1, 31, v0
	v_mov_b32_e32 v4, 0
	s_cmp_lt_i32 s6, 0
	s_cbranch_scc1 .LBB140_12
; %bb.10:
	s_clause 0x1
	s_load_dword s15, s[4:5], 0x50
	s_load_dwordx2 s[0:1], s[4:5], 0x40
	s_ashr_i32 s17, s10, 31
	s_mul_hi_u32 s4, s10, s8
	s_mul_i32 s5, s17, s8
	v_lshlrev_b64 v[2:3], 2, v[0:1]
	s_add_i32 s4, s4, s5
	s_mul_i32 s5, s10, s8
	v_mov_b32_e32 v4, 0
	s_waitcnt lgkmcnt(0)
	s_mul_i32 s8, s4, s15
	s_mul_hi_u32 s16, s5, s15
	s_mul_i32 s4, s5, s15
	s_add_i32 s5, s16, s8
	s_mov_b32 s16, s10
	s_lshl_b64 s[4:5], s[4:5], 2
	s_add_u32 s0, s0, s4
	s_addc_u32 s1, s1, s5
	v_add_co_u32 v2, vcc_lo, s0, v2
	v_add_co_ci_u32_e64 v3, null, s1, v3, vcc_lo
	s_add_i32 s4, s6, 1
	s_lshl_b64 s[0:1], s[16:17], 2
.LBB140_11:                             ; =>This Inner Loop Header: Depth=1
	global_load_dword v5, v[2:3], off
	v_add_co_u32 v2, vcc_lo, v2, s0
	v_add_co_ci_u32_e64 v3, null, s1, v3, vcc_lo
	s_add_i32 s4, s4, -1
	s_cmp_eq_u32 s4, 0
	s_waitcnt vmcnt(0)
	v_add_f32_e32 v4, v4, v5
	s_cbranch_scc0 .LBB140_11
.LBB140_12:
	v_mul_lo_u32 v5, s3, v0
	v_mul_lo_u32 v6, s2, v1
	v_cmp_eq_f32_e64 s0, s13, 0
	s_and_b32 vcc_lo, exec_lo, s0
	s_mov_b32 s0, 0
	s_cbranch_vccz .LBB140_20
; %bb.13:
	v_mad_u64_u32 v[1:2], null, s2, v0, 0
	v_mul_f32_e32 v3, s11, v4
	v_add3_u32 v2, v2, v6, v5
	s_andn2_b32 vcc_lo, exec_lo, s0
	s_cbranch_vccnz .LBB140_15
.LBB140_14:
	v_mad_u64_u32 v[1:2], null, s2, v0, 0
	v_add3_u32 v2, v2, v6, v5
	v_lshlrev_b64 v[5:6], 2, v[1:2]
	v_add_co_u32 v5, vcc_lo, s7, v5
	v_add_co_ci_u32_e64 v6, null, s12, v6, vcc_lo
	flat_load_dword v0, v[5:6]
	s_waitcnt vmcnt(0) lgkmcnt(0)
	v_mul_f32_e32 v3, s13, v0
	v_fmac_f32_e32 v3, s11, v4
.LBB140_15:
	s_or_b32 s9, s9, exec_lo
.LBB140_16:
	s_or_b32 exec_lo, exec_lo, s14
.LBB140_17:
	s_and_saveexec_b32 s0, s9
	s_cbranch_execz .LBB140_19
; %bb.18:
	v_lshlrev_b64 v[0:1], 2, v[1:2]
	v_add_co_u32 v0, vcc_lo, s7, v0
	v_add_co_ci_u32_e64 v1, null, s12, v1, vcc_lo
	flat_store_dword v[0:1], v3
.LBB140_19:
	s_endpgm
.LBB140_20:
                                        ; implicit-def: $vgpr3
                                        ; implicit-def: $vgpr1_vgpr2
	s_branch .LBB140_14
	.section	.rodata,"a",@progbits
	.p2align	6, 0x0
	.amdhsa_kernel _ZL36rocblas_hemvn_kernel_upper_block_sumILi64ElfPKPffEviT1_lS3_lT2_lT0_lPT3_i
		.amdhsa_group_segment_fixed_size 0
		.amdhsa_private_segment_fixed_size 0
		.amdhsa_kernarg_size 336
		.amdhsa_user_sgpr_count 6
		.amdhsa_user_sgpr_private_segment_buffer 1
		.amdhsa_user_sgpr_dispatch_ptr 0
		.amdhsa_user_sgpr_queue_ptr 0
		.amdhsa_user_sgpr_kernarg_segment_ptr 1
		.amdhsa_user_sgpr_dispatch_id 0
		.amdhsa_user_sgpr_flat_scratch_init 0
		.amdhsa_user_sgpr_private_segment_size 0
		.amdhsa_wavefront_size32 1
		.amdhsa_uses_dynamic_stack 0
		.amdhsa_system_sgpr_private_segment_wavefront_offset 0
		.amdhsa_system_sgpr_workgroup_id_x 1
		.amdhsa_system_sgpr_workgroup_id_y 0
		.amdhsa_system_sgpr_workgroup_id_z 1
		.amdhsa_system_sgpr_workgroup_info 0
		.amdhsa_system_vgpr_workitem_id 0
		.amdhsa_next_free_vgpr 7
		.amdhsa_next_free_sgpr 18
		.amdhsa_reserve_vcc 1
		.amdhsa_reserve_flat_scratch 0
		.amdhsa_float_round_mode_32 0
		.amdhsa_float_round_mode_16_64 0
		.amdhsa_float_denorm_mode_32 3
		.amdhsa_float_denorm_mode_16_64 3
		.amdhsa_dx10_clamp 1
		.amdhsa_ieee_mode 1
		.amdhsa_fp16_overflow 0
		.amdhsa_workgroup_processor_mode 1
		.amdhsa_memory_ordered 1
		.amdhsa_forward_progress 1
		.amdhsa_shared_vgpr_count 0
		.amdhsa_exception_fp_ieee_invalid_op 0
		.amdhsa_exception_fp_denorm_src 0
		.amdhsa_exception_fp_ieee_div_zero 0
		.amdhsa_exception_fp_ieee_overflow 0
		.amdhsa_exception_fp_ieee_underflow 0
		.amdhsa_exception_fp_ieee_inexact 0
		.amdhsa_exception_int_div_zero 0
	.end_amdhsa_kernel
	.section	.text._ZL36rocblas_hemvn_kernel_upper_block_sumILi64ElfPKPffEviT1_lS3_lT2_lT0_lPT3_i,"axG",@progbits,_ZL36rocblas_hemvn_kernel_upper_block_sumILi64ElfPKPffEviT1_lS3_lT2_lT0_lPT3_i,comdat
.Lfunc_end140:
	.size	_ZL36rocblas_hemvn_kernel_upper_block_sumILi64ElfPKPffEviT1_lS3_lT2_lT0_lPT3_i, .Lfunc_end140-_ZL36rocblas_hemvn_kernel_upper_block_sumILi64ElfPKPffEviT1_lS3_lT2_lT0_lPT3_i
                                        ; -- End function
	.set _ZL36rocblas_hemvn_kernel_upper_block_sumILi64ElfPKPffEviT1_lS3_lT2_lT0_lPT3_i.num_vgpr, 7
	.set _ZL36rocblas_hemvn_kernel_upper_block_sumILi64ElfPKPffEviT1_lS3_lT2_lT0_lPT3_i.num_agpr, 0
	.set _ZL36rocblas_hemvn_kernel_upper_block_sumILi64ElfPKPffEviT1_lS3_lT2_lT0_lPT3_i.numbered_sgpr, 18
	.set _ZL36rocblas_hemvn_kernel_upper_block_sumILi64ElfPKPffEviT1_lS3_lT2_lT0_lPT3_i.num_named_barrier, 0
	.set _ZL36rocblas_hemvn_kernel_upper_block_sumILi64ElfPKPffEviT1_lS3_lT2_lT0_lPT3_i.private_seg_size, 0
	.set _ZL36rocblas_hemvn_kernel_upper_block_sumILi64ElfPKPffEviT1_lS3_lT2_lT0_lPT3_i.uses_vcc, 1
	.set _ZL36rocblas_hemvn_kernel_upper_block_sumILi64ElfPKPffEviT1_lS3_lT2_lT0_lPT3_i.uses_flat_scratch, 0
	.set _ZL36rocblas_hemvn_kernel_upper_block_sumILi64ElfPKPffEviT1_lS3_lT2_lT0_lPT3_i.has_dyn_sized_stack, 0
	.set _ZL36rocblas_hemvn_kernel_upper_block_sumILi64ElfPKPffEviT1_lS3_lT2_lT0_lPT3_i.has_recursion, 0
	.set _ZL36rocblas_hemvn_kernel_upper_block_sumILi64ElfPKPffEviT1_lS3_lT2_lT0_lPT3_i.has_indirect_call, 0
	.section	.AMDGPU.csdata,"",@progbits
; Kernel info:
; codeLenInByte = 668
; TotalNumSgprs: 20
; NumVgprs: 7
; ScratchSize: 0
; MemoryBound: 0
; FloatMode: 240
; IeeeMode: 1
; LDSByteSize: 0 bytes/workgroup (compile time only)
; SGPRBlocks: 0
; VGPRBlocks: 0
; NumSGPRsForWavesPerEU: 20
; NumVGPRsForWavesPerEU: 7
; Occupancy: 16
; WaveLimiterHint : 1
; COMPUTE_PGM_RSRC2:SCRATCH_EN: 0
; COMPUTE_PGM_RSRC2:USER_SGPR: 6
; COMPUTE_PGM_RSRC2:TRAP_HANDLER: 0
; COMPUTE_PGM_RSRC2:TGID_X_EN: 1
; COMPUTE_PGM_RSRC2:TGID_Y_EN: 0
; COMPUTE_PGM_RSRC2:TGID_Z_EN: 1
; COMPUTE_PGM_RSRC2:TIDIG_COMP_CNT: 0
	.section	.text._ZL26rocblas_hemvn_kernel_upperILb0ELi64ELi4ELi33ELi32ELi16EifPKPKfPfEviT6_lT7_lT5_lS6_lS7_lS5_lT8_i,"axG",@progbits,_ZL26rocblas_hemvn_kernel_upperILb0ELi64ELi4ELi33ELi32ELi16EifPKPKfPfEviT6_lT7_lT5_lS6_lS7_lS5_lT8_i,comdat
	.globl	_ZL26rocblas_hemvn_kernel_upperILb0ELi64ELi4ELi33ELi32ELi16EifPKPKfPfEviT6_lT7_lT5_lS6_lS7_lS5_lT8_i ; -- Begin function _ZL26rocblas_hemvn_kernel_upperILb0ELi64ELi4ELi33ELi32ELi16EifPKPKfPfEviT6_lT7_lT5_lS6_lS7_lS5_lT8_i
	.p2align	8
	.type	_ZL26rocblas_hemvn_kernel_upperILb0ELi64ELi4ELi33ELi32ELi16EifPKPKfPfEviT6_lT7_lT5_lS6_lS7_lS5_lT8_i,@function
_ZL26rocblas_hemvn_kernel_upperILb0ELi64ELi4ELi33ELi32ELi16EifPKPKfPfEviT6_lT7_lT5_lS6_lS7_lS5_lT8_i: ; @_ZL26rocblas_hemvn_kernel_upperILb0ELi64ELi4ELi33ELi32ELi16EifPKPKfPfEviT6_lT7_lT5_lS6_lS7_lS5_lT8_i
; %bb.0:
	s_load_dwordx2 s[0:1], s[4:5], 0x7c
	s_add_u32 s8, s4, 0x70
	s_addc_u32 s9, s5, 0
	s_waitcnt lgkmcnt(0)
	s_lshr_b32 s2, s0, 16
	s_and_b32 s0, s0, 0xffff
	s_and_b32 s1, s1, 0xffff
	s_mul_i32 s0, s2, s0
	s_mul_i32 s0, s0, s1
	s_cmpk_lg_i32 s0, 0x100
	s_cbranch_scc1 .LBB141_4
; %bb.1:
	s_clause 0x1
	s_load_dwordx2 s[16:17], s[4:5], 0x0
	s_load_dword s1, s[4:5], 0x50
	s_waitcnt lgkmcnt(0)
	v_cmp_eq_f32_e64 s0, s17, 0
	v_cmp_eq_f32_e64 s1, s1, 1.0
	s_and_b32 s1, s0, s1
	s_and_b32 vcc_lo, exec_lo, s1
	s_cbranch_vccnz .LBB141_4
; %bb.2:
	s_mov_b32 s14, s7
	s_and_b32 vcc_lo, exec_lo, s0
	s_cbranch_vccz .LBB141_5
; %bb.3:
	s_cbranch_execz .LBB141_6
.LBB141_4:
	s_endpgm
.LBB141_5:
.LBB141_6:
	s_clause 0x1
	s_load_dwordx4 s[0:3], s[4:5], 0x10
	s_load_dwordx4 s[20:23], s[4:5], 0x30
	s_mov_b32 s15, 0
	s_lshl_b64 s[10:11], s[14:15], 3
	s_waitcnt lgkmcnt(0)
	s_add_u32 s0, s0, s10
	s_addc_u32 s1, s1, s11
	s_add_u32 s10, s20, s10
	s_addc_u32 s11, s21, s11
	s_lshl_b64 s[12:13], s[22:23], 2
	s_load_dwordx2 s[10:11], s[10:11], 0x0
	s_load_dword s15, s[4:5], 0x40
	s_load_dword s26, s[8:9], 0x0
	s_load_dwordx2 s[8:9], s[0:1], 0x0
	s_waitcnt lgkmcnt(0)
	s_add_u32 s7, s10, s12
	s_addc_u32 s10, s11, s13
	s_lshl_b32 s18, s6, 6
	s_ashr_i32 s17, s16, 31
	v_add_nc_u32_e32 v18, s18, v0
	s_lshr_b32 s0, s17, 26
	s_add_i32 s1, s26, -1
	s_add_i32 s0, s16, s0
	v_mul_lo_u32 v2, s15, v18
	s_andn2_b32 s0, s0, 63
	s_sub_i32 s27, s16, s0
	v_cmp_eq_u32_e64 s0, 0, v1
	s_cmp_eq_u32 s6, s1
	v_ashrrev_i32_e32 v3, 31, v2
	v_lshlrev_b64 v[2:3], 2, v[2:3]
	v_add_co_u32 v6, vcc_lo, s7, v2
	v_add_co_ci_u32_e64 v7, null, s10, v3, vcc_lo
	s_cselect_b32 s10, s27, 0
	s_and_saveexec_b32 s1, s0
	s_cbranch_execz .LBB141_10
; %bb.7:
	v_cmp_gt_i32_e32 vcc_lo, s10, v0
	s_cmp_eq_u32 s10, 0
	v_mov_b32_e32 v2, 0
	s_cselect_b32 s7, -1, 0
	s_or_b32 s11, s7, vcc_lo
	s_and_saveexec_b32 s7, s11
	s_cbranch_execz .LBB141_9
; %bb.8:
	flat_load_dword v2, v[6:7]
.LBB141_9:
	s_or_b32 exec_lo, exec_lo, s7
	v_lshlrev_b32_e32 v3, 2, v0
	s_waitcnt vmcnt(0) lgkmcnt(0)
	ds_write_b32 v3, v2 offset:4544
.LBB141_10:
	s_or_b32 exec_lo, exec_lo, s1
	s_load_dword s12, s[4:5], 0x20
	v_lshl_add_u32 v14, v1, 6, v0
	v_and_b32_e32 v2, 31, v0
	s_lshl_b64 s[2:3], s[2:3], 2
	s_add_u32 s1, s8, s2
	v_lshrrev_b32_e32 v5, 5, v14
	s_addc_u32 s7, s9, s3
	s_ashr_i32 s19, s18, 31
	v_lshlrev_b32_e32 v15, 2, v2
	s_lshl_b64 s[2:3], s[18:19], 2
	s_add_u32 s8, s1, s2
	s_addc_u32 s7, s7, s3
	v_cmp_gt_i32_e64 s1, s10, v2
	s_waitcnt lgkmcnt(0)
	v_mad_u64_u32 v[3:4], null, s12, v5, v[2:3]
	s_mul_i32 s2, s12, s18
	s_ashr_i32 s3, s2, 31
	s_lshl_b64 s[2:3], s[2:3], 2
	s_cmp_eq_u32 s10, 0
	v_ashrrev_i32_e32 v4, 31, v3
	s_cselect_b32 s28, -1, 0
	s_cmp_lg_u32 s10, 0
	s_cselect_b32 s19, -1, 0
	v_lshlrev_b64 v[8:9], 2, v[3:4]
	v_add_co_u32 v3, vcc_lo, s8, v8
	v_add_co_ci_u32_e64 v4, null, s7, v9, vcc_lo
	s_and_b32 vcc_lo, exec_lo, s19
	v_add_co_u32 v10, s2, v3, s2
	v_add_co_ci_u32_e64 v11, null, s3, v4, s2
	s_cbranch_vccz .LBB141_20
; %bb.11:
	v_sub_co_u32 v3, vcc_lo, v10, v15
	s_ashr_i32 s11, s10, 31
	v_subrev_co_ci_u32_e64 v4, null, 0, v11, vcc_lo
	s_lshl_b64 s[2:3], s[10:11], 2
	v_mov_b32_e32 v16, 0
	v_add_co_u32 v3, vcc_lo, v3, s2
	v_add_co_ci_u32_e64 v4, null, s3, v4, vcc_lo
	v_mov_b32_e32 v13, 0
	v_add_co_u32 v3, vcc_lo, v3, -4
	v_add_co_ci_u32_e64 v4, null, -1, v4, vcc_lo
	s_mov_b32 s7, exec_lo
	v_cndmask_b32_e64 v3, v3, v10, s1
	v_cndmask_b32_e64 v4, v4, v11, s1
	v_cmpx_gt_i32_e64 s10, v5
	s_cbranch_execz .LBB141_13
; %bb.12:
	flat_load_dword v13, v[3:4]
.LBB141_13:
	s_or_b32 exec_lo, exec_lo, s7
	v_add_nc_u32_e32 v17, 8, v5
	v_mul_u32_u24_e32 v12, 0x84, v5
	v_mad_u32_u24 v19, 0x84, v5, v15
	s_mov_b32 s7, exec_lo
	s_waitcnt vmcnt(0) lgkmcnt(0)
	ds_write_b32 v19, v13
	v_cmpx_gt_i32_e64 s10, v17
	s_cbranch_execz .LBB141_15
; %bb.14:
	s_lshl_b32 s8, s12, 3
	s_ashr_i32 s9, s8, 31
	s_lshl_b64 s[8:9], s[8:9], 2
	v_add_co_u32 v16, vcc_lo, v3, s8
	v_add_co_ci_u32_e64 v17, null, s9, v4, vcc_lo
	flat_load_dword v16, v[16:17]
.LBB141_15:
	s_or_b32 exec_lo, exec_lo, s7
	v_add_nc_u32_e32 v17, 16, v5
	v_add_nc_u32_e32 v12, v12, v15
	v_mov_b32_e32 v13, 0
	v_cmp_gt_i32_e32 vcc_lo, s10, v17
	v_mov_b32_e32 v17, 0
	s_waitcnt vmcnt(0) lgkmcnt(0)
	ds_write_b32 v12, v16 offset:1056
	s_and_saveexec_b32 s7, vcc_lo
	s_cbranch_execz .LBB141_17
; %bb.16:
	s_lshl_b32 s8, s12, 4
	s_ashr_i32 s9, s8, 31
	s_lshl_b64 s[8:9], s[8:9], 2
	v_add_co_u32 v16, vcc_lo, v3, s8
	v_add_co_ci_u32_e64 v17, null, s9, v4, vcc_lo
	flat_load_dword v17, v[16:17]
.LBB141_17:
	s_or_b32 exec_lo, exec_lo, s7
	v_add_nc_u32_e32 v16, 24, v5
	s_mov_b32 s7, exec_lo
	s_waitcnt vmcnt(0) lgkmcnt(0)
	ds_write_b32 v12, v17 offset:2112
	v_cmpx_gt_i32_e64 s10, v16
	s_cbranch_execz .LBB141_19
; %bb.18:
	s_mul_i32 s8, s12, 24
	s_ashr_i32 s9, s8, 31
	s_lshl_b64 s[8:9], s[8:9], 2
	v_add_co_u32 v16, vcc_lo, v3, s8
	v_add_co_ci_u32_e64 v17, null, s9, v4, vcc_lo
	flat_load_dword v13, v[16:17]
.LBB141_19:
	s_or_b32 exec_lo, exec_lo, s7
	v_add_co_u32 v3, vcc_lo, v3, v15
	v_add_co_ci_u32_e64 v4, null, 0, v4, vcc_lo
	s_waitcnt vmcnt(0) lgkmcnt(0)
	ds_write_b32 v12, v13 offset:3168
	v_sub_co_u32 v3, vcc_lo, v3, s2
	v_subrev_co_ci_u32_e64 v4, null, s3, v4, vcc_lo
	v_add_co_u32 v3, vcc_lo, v3, 4
	v_add_co_ci_u32_e64 v4, null, 0, v4, vcc_lo
	v_cndmask_b32_e64 v3, v3, v10, s1
	v_cndmask_b32_e64 v4, v4, v11, s1
	v_mul_u32_u24_e32 v21, 0x84, v5
	s_branch .LBB141_22
.LBB141_20:
                                        ; implicit-def: $vgpr3_vgpr4
	v_mul_u32_u24_e32 v21, 0x84, v5
	s_cbranch_execz .LBB141_22
; %bb.21:
	s_lshl_b32 s2, s12, 3
	s_ashr_i32 s13, s12, 31
	s_ashr_i32 s3, s2, 31
	s_lshl_b64 s[2:3], s[2:3], 2
	v_add_co_u32 v3, vcc_lo, v10, s2
	v_add_co_ci_u32_e64 v4, null, s3, v11, vcc_lo
	s_lshl_b64 s[2:3], s[12:13], 5
	v_add_co_u32 v12, vcc_lo, v3, s2
	v_add_co_ci_u32_e64 v13, null, s3, v4, vcc_lo
	v_add_co_u32 v16, vcc_lo, v12, s2
	v_add_co_ci_u32_e64 v17, null, s3, v13, vcc_lo
	s_clause 0x3
	flat_load_dword v19, v[10:11]
	flat_load_dword v20, v[3:4]
	;; [unrolled: 1-line block ×4, first 2 shown]
	v_mov_b32_e32 v3, v10
	v_lshl_add_u32 v16, v2, 2, v21
	v_mov_b32_e32 v4, v11
	s_waitcnt vmcnt(3) lgkmcnt(3)
	ds_write_b32 v16, v19
	s_waitcnt vmcnt(2) lgkmcnt(3)
	ds_write_b32 v16, v20 offset:1056
	s_waitcnt vmcnt(1) lgkmcnt(3)
	ds_write_b32 v16, v12 offset:2112
	s_waitcnt vmcnt(0) lgkmcnt(3)
	ds_write_b32 v16, v13 offset:3168
.LBB141_22:
	v_lshlrev_b32_e32 v16, 2, v5
	v_lshl_or_b32 v10, v2, 7, v15
	s_waitcnt lgkmcnt(0)
	s_barrier
	buffer_gl0_inv
	v_cmp_gt_u32_e64 s2, v16, v2
	v_lshl_add_u32 v12, v16, 2, v10
	v_mad_u32_u24 v10, 0x210, v5, v15
	s_and_saveexec_b32 s1, s2
	s_cbranch_execz .LBB141_24
; %bb.23:
	ds_read_b32 v11, v10
	s_waitcnt lgkmcnt(0)
	ds_write_b32 v12, v11
.LBB141_24:
	s_or_b32 exec_lo, exec_lo, s1
	v_or_b32_e32 v23, 1, v16
	v_cmp_ge_u32_e64 s3, v16, v2
	v_mad_u32_u24 v11, 0x84, v23, v15
	s_and_saveexec_b32 s1, s3
	s_cbranch_execz .LBB141_26
; %bb.25:
	ds_read_b32 v13, v11
	s_waitcnt lgkmcnt(0)
	ds_write_b32 v12, v13 offset:4
.LBB141_26:
	s_or_b32 exec_lo, exec_lo, s1
	v_or_b32_e32 v13, 2, v16
	v_cmp_gt_u32_e64 s7, v13, v2
	s_and_saveexec_b32 s1, s7
	s_cbranch_execz .LBB141_28
; %bb.27:
	v_mad_u32_u24 v13, 0x84, v13, v15
	ds_read_b32 v13, v13
	s_waitcnt lgkmcnt(0)
	ds_write_b32 v12, v13 offset:8
.LBB141_28:
	s_or_b32 exec_lo, exec_lo, s1
	v_or_b32_e32 v17, 3, v16
	s_mov_b32 s1, exec_lo
	v_cmp_gt_u32_e64 s8, v17, v2
	v_mul_u32_u24_e32 v13, 0x84, v17
	v_cmpx_le_u32_e64 v17, v2
	s_xor_b32 s1, exec_lo, s1
; %bb.29:
	v_mul_u32_u24_e32 v13, 0x84, v17
                                        ; implicit-def: $vgpr17
                                        ; implicit-def: $vgpr12
; %bb.30:
	s_andn2_saveexec_b32 s1, s1
	s_cbranch_execz .LBB141_32
; %bb.31:
	v_mad_u32_u24 v17, 0x84, v17, v15
	ds_read_b32 v17, v17
	s_waitcnt lgkmcnt(0)
	ds_write_b32 v12, v17 offset:12
.LBB141_32:
	s_or_b32 exec_lo, exec_lo, s1
	v_lshlrev_b32_e32 v25, 2, v16
	s_waitcnt lgkmcnt(0)
	s_barrier
	buffer_gl0_inv
	ds_read_b32 v12, v10
	ds_read_b128 v[26:29], v25 offset:4544
	ds_read2_b32 v[10:11], v11 offset1:33
	v_add_nc_u32_e32 v20, v15, v13
	v_mul_u32_u24_e32 v17, 33, v2
	v_mov_b32_e32 v32, 0
	v_cmp_gt_u32_e64 s1, 32, v14
	ds_read_b32 v13, v20
	v_lshlrev_b32_e32 v17, 2, v17
	s_waitcnt lgkmcnt(0)
	s_barrier
	buffer_gl0_inv
	v_lshl_add_u32 v19, v5, 2, v17
	v_fma_f32 v12, v12, v26, 0
	v_fmac_f32_e32 v12, v10, v27
	v_fmac_f32_e32 v12, v11, v28
	;; [unrolled: 1-line block ×3, first 2 shown]
	ds_write_b32 v19, v12
	s_waitcnt lgkmcnt(0)
	s_barrier
	buffer_gl0_inv
	s_and_saveexec_b32 s9, s1
	s_cbranch_execz .LBB141_34
; %bb.33:
	ds_read2_b32 v[10:11], v17 offset1:1
	ds_read2_b32 v[12:13], v17 offset0:2 offset1:3
	ds_read2_b32 v[26:27], v17 offset0:4 offset1:5
	;; [unrolled: 1-line block ×3, first 2 shown]
	s_waitcnt lgkmcnt(3)
	v_add_f32_e32 v10, v10, v11
	s_waitcnt lgkmcnt(2)
	v_add_f32_e32 v10, v10, v12
	v_add_f32_e32 v10, v10, v13
	s_waitcnt lgkmcnt(1)
	v_add_f32_e32 v10, v10, v26
	;; [unrolled: 3-line block ×3, first 2 shown]
	v_add_f32_e32 v32, v10, v29
.LBB141_34:
	s_or_b32 exec_lo, exec_lo, s9
	s_lshl_b32 s22, s12, 5
	s_ashr_i32 s23, s22, 31
	s_barrier
	s_lshl_b64 s[20:21], s[22:23], 2
	buffer_gl0_inv
	v_add_co_u32 v10, vcc_lo, v3, s20
	v_add_co_ci_u32_e64 v11, null, s21, v4, vcc_lo
	v_add_co_u32 v3, vcc_lo, 0x80, v10
	v_add_co_ci_u32_e64 v4, null, 0, v11, vcc_lo
	s_and_b32 vcc_lo, exec_lo, s19
	s_cbranch_vccz .LBB141_44
; %bb.35:
	v_sub_co_u32 v12, vcc_lo, v10, v15
	s_ashr_i32 s11, s10, 31
	v_subrev_co_ci_u32_e64 v13, null, 0, v11, vcc_lo
	s_lshl_b64 s[24:25], s[10:11], 2
	v_or_b32_e32 v22, 32, v2
	v_add_co_u32 v12, vcc_lo, v12, s24
	v_add_co_ci_u32_e64 v13, null, s25, v13, vcc_lo
	v_mov_b32_e32 v26, 0
	v_add_co_u32 v12, vcc_lo, v12, -4
	v_add_co_ci_u32_e64 v13, null, -1, v13, vcc_lo
	v_cmp_gt_i32_e32 vcc_lo, s10, v22
	v_mov_b32_e32 v22, 0
	s_sub_i32 s11, s10, 32
	s_mov_b32 s13, exec_lo
	v_cndmask_b32_e32 v13, v13, v4, vcc_lo
	v_cndmask_b32_e32 v12, v12, v3, vcc_lo
	v_cmpx_gt_i32_e64 s11, v5
	s_cbranch_execz .LBB141_37
; %bb.36:
	flat_load_dword v22, v[12:13]
.LBB141_37:
	s_or_b32 exec_lo, exec_lo, s13
	v_add_nc_u32_e32 v24, 8, v5
	v_mad_u32_u24 v27, 0x84, v5, v15
	s_mov_b32 s13, exec_lo
	s_waitcnt vmcnt(0) lgkmcnt(0)
	ds_write_b32 v27, v22
	v_cmpx_gt_i32_e64 s11, v24
	s_cbranch_execz .LBB141_39
; %bb.38:
	s_lshl_b32 s30, s12, 3
	s_ashr_i32 s31, s30, 31
	s_lshl_b64 s[30:31], s[30:31], 2
	v_add_co_u32 v26, s9, v12, s30
	v_add_co_ci_u32_e64 v27, null, s31, v13, s9
	flat_load_dword v26, v[26:27]
.LBB141_39:
	s_or_b32 exec_lo, exec_lo, s13
	v_add_nc_u32_e32 v27, 16, v5
	v_add_nc_u32_e32 v22, v21, v15
	v_mov_b32_e32 v24, 0
	v_cmp_gt_i32_e64 s9, s11, v27
	v_mov_b32_e32 v27, 0
	s_waitcnt vmcnt(0) lgkmcnt(0)
	ds_write_b32 v22, v26 offset:1056
	s_and_saveexec_b32 s13, s9
	s_cbranch_execz .LBB141_41
; %bb.40:
	s_lshl_b32 s30, s12, 4
	s_ashr_i32 s31, s30, 31
	s_lshl_b64 s[30:31], s[30:31], 2
	v_add_co_u32 v26, s9, v12, s30
	v_add_co_ci_u32_e64 v27, null, s31, v13, s9
	flat_load_dword v27, v[26:27]
.LBB141_41:
	s_or_b32 exec_lo, exec_lo, s13
	v_add_nc_u32_e32 v26, 24, v5
	s_waitcnt vmcnt(0) lgkmcnt(0)
	ds_write_b32 v22, v27 offset:2112
	v_cmp_gt_i32_e64 s9, s11, v26
	s_and_saveexec_b32 s11, s9
	s_cbranch_execz .LBB141_43
; %bb.42:
	s_mul_i32 s30, s12, 24
	s_ashr_i32 s31, s30, 31
	s_lshl_b64 s[30:31], s[30:31], 2
	v_add_co_u32 v26, s9, v12, s30
	v_add_co_ci_u32_e64 v27, null, s31, v13, s9
	flat_load_dword v24, v[26:27]
.LBB141_43:
	s_or_b32 exec_lo, exec_lo, s11
	v_add_co_u32 v12, s9, v12, v15
	v_add_co_ci_u32_e64 v13, null, 0, v13, s9
	s_waitcnt vmcnt(0) lgkmcnt(0)
	ds_write_b32 v22, v24 offset:3168
	v_sub_co_u32 v12, s9, v12, s24
	v_subrev_co_ci_u32_e64 v13, null, s25, v13, s9
	v_add_co_u32 v12, s9, 0x84, v12
	v_add_co_ci_u32_e64 v13, null, 0, v13, s9
	v_cndmask_b32_e32 v12, v12, v3, vcc_lo
	v_cndmask_b32_e32 v13, v13, v4, vcc_lo
	v_mul_u32_u24_e32 v24, 0x210, v5
	v_mad_u32_u24 v22, 0x84, v5, v15
	s_branch .LBB141_46
.LBB141_44:
                                        ; implicit-def: $vgpr12_vgpr13
	v_mul_u32_u24_e32 v24, 0x210, v5
	v_mad_u32_u24 v22, 0x84, v5, v15
	s_cbranch_execz .LBB141_46
; %bb.45:
	s_lshl_b32 s24, s12, 3
	s_ashr_i32 s13, s12, 31
	s_ashr_i32 s25, s24, 31
	s_lshl_b64 s[24:25], s[24:25], 2
	v_add_co_u32 v12, vcc_lo, v10, s24
	v_add_co_ci_u32_e64 v13, null, s25, v11, vcc_lo
	s_lshl_b64 s[24:25], s[12:13], 5
	v_add_co_u32 v26, vcc_lo, v12, s24
	v_add_co_ci_u32_e64 v27, null, s25, v13, vcc_lo
	v_add_co_u32 v28, vcc_lo, v26, s24
	v_add_co_ci_u32_e64 v29, null, s25, v27, vcc_lo
	s_clause 0x3
	flat_load_dword v10, v[10:11] offset:128
	flat_load_dword v11, v[12:13] offset:128
	;; [unrolled: 1-line block ×4, first 2 shown]
	v_mov_b32_e32 v13, v4
	v_mov_b32_e32 v12, v3
	s_waitcnt vmcnt(3) lgkmcnt(3)
	ds_write_b32 v22, v10
	s_waitcnt vmcnt(2) lgkmcnt(3)
	ds_write_b32 v22, v11 offset:1056
	s_waitcnt vmcnt(1) lgkmcnt(3)
	ds_write_b32 v22, v26 offset:2112
	s_waitcnt vmcnt(0) lgkmcnt(3)
	ds_write_b32 v22, v27 offset:3168
.LBB141_46:
	v_mul_u32_u24_e32 v4, 0x84, v23
	v_add_nc_u32_e32 v23, v15, v24
	v_lshl_add_u32 v3, v16, 2, v17
	s_waitcnt lgkmcnt(0)
	s_barrier
	buffer_gl0_inv
	s_and_saveexec_b32 s9, s2
	s_cbranch_execz .LBB141_50
; %bb.47:
	ds_read_b32 v10, v23
	s_waitcnt lgkmcnt(0)
	ds_write_b32 v3, v10
	s_or_b32 exec_lo, exec_lo, s9
	v_add_nc_u32_e32 v24, v15, v4
	s_and_saveexec_b32 s2, s3
	s_cbranch_execnz .LBB141_51
.LBB141_48:
	s_or_b32 exec_lo, exec_lo, s2
	s_and_saveexec_b32 s2, s7
	s_cbranch_execz .LBB141_52
.LBB141_49:
	ds_read_b32 v4, v24 offset:132
	s_waitcnt lgkmcnt(0)
	ds_write_b32 v3, v4 offset:8
	s_or_b32 exec_lo, exec_lo, s2
	v_add_nc_u32_e32 v25, 0x11c0, v25
	s_and_saveexec_b32 s2, s8
	s_cbranch_execnz .LBB141_53
	s_branch .LBB141_54
.LBB141_50:
	s_or_b32 exec_lo, exec_lo, s9
	v_add_nc_u32_e32 v24, v15, v4
	s_and_saveexec_b32 s2, s3
	s_cbranch_execz .LBB141_48
.LBB141_51:
	ds_read_b32 v4, v24
	s_waitcnt lgkmcnt(0)
	ds_write_b32 v3, v4 offset:4
	s_or_b32 exec_lo, exec_lo, s2
	s_and_saveexec_b32 s2, s7
	s_cbranch_execnz .LBB141_49
.LBB141_52:
	s_or_b32 exec_lo, exec_lo, s2
	v_add_nc_u32_e32 v25, 0x11c0, v25
	s_and_saveexec_b32 s2, s8
	s_cbranch_execz .LBB141_54
.LBB141_53:
	ds_read_b32 v4, v20
	s_waitcnt lgkmcnt(0)
	ds_write_b32 v3, v4 offset:12
.LBB141_54:
	s_or_b32 exec_lo, exec_lo, s2
	s_waitcnt lgkmcnt(0)
	s_barrier
	buffer_gl0_inv
	ds_read_b32 v10, v23
	ds_read_b128 v[26:29], v25 offset:128
	ds_read2_b32 v[3:4], v24 offset1:33
	ds_read_b32 v11, v20
	v_cmp_eq_u32_e64 s2, 1, v5
	s_waitcnt lgkmcnt(0)
	s_barrier
	buffer_gl0_inv
	v_fma_f32 v10, v10, v26, 0
	v_fmac_f32_e32 v10, v3, v27
	v_fmac_f32_e32 v10, v4, v28
	;; [unrolled: 1-line block ×3, first 2 shown]
	ds_write_b32 v19, v10
	s_waitcnt lgkmcnt(0)
	s_barrier
	buffer_gl0_inv
	s_and_saveexec_b32 s3, s2
	s_cbranch_execz .LBB141_56
; %bb.55:
	ds_read2_b32 v[3:4], v17 offset1:1
	ds_read2_b32 v[10:11], v17 offset0:2 offset1:3
	ds_read2_b32 v[26:27], v17 offset0:4 offset1:5
	;; [unrolled: 1-line block ×3, first 2 shown]
	s_waitcnt lgkmcnt(3)
	v_add_f32_e32 v3, v3, v4
	s_waitcnt lgkmcnt(2)
	v_add_f32_e32 v3, v3, v10
	v_add_f32_e32 v3, v3, v11
	s_waitcnt lgkmcnt(1)
	v_add_f32_e32 v3, v3, v26
	;; [unrolled: 3-line block ×3, first 2 shown]
	v_add_f32_e32 v32, v3, v29
.LBB141_56:
	s_or_b32 exec_lo, exec_lo, s3
	v_add_co_u32 v3, vcc_lo, 0xffffff80, v12
	v_add_co_ci_u32_e64 v4, null, -1, v13, vcc_lo
	s_and_b32 vcc_lo, exec_lo, s19
	s_barrier
	buffer_gl0_inv
	s_cbranch_vccz .LBB141_66
; %bb.57:
	v_sub_co_u32 v10, vcc_lo, v3, v15
	s_ashr_i32 s11, s10, 31
	v_subrev_co_ci_u32_e64 v11, null, 0, v4, vcc_lo
	s_lshl_b64 s[8:9], s[10:11], 2
	v_mov_b32_e32 v13, 0
	v_add_co_u32 v10, vcc_lo, v10, s8
	v_add_co_ci_u32_e64 v11, null, s9, v11, vcc_lo
	v_mov_b32_e32 v12, 0
	v_add_co_u32 v10, vcc_lo, v10, -4
	v_add_co_ci_u32_e64 v11, null, -1, v11, vcc_lo
	v_cmp_gt_i32_e32 vcc_lo, s10, v2
	s_sub_i32 s7, s10, 32
	s_mov_b32 s11, exec_lo
	v_cndmask_b32_e32 v11, v11, v4, vcc_lo
	v_cndmask_b32_e32 v10, v10, v3, vcc_lo
	v_cmpx_gt_i32_e64 s7, v5
	s_cbranch_execz .LBB141_59
; %bb.58:
	flat_load_dword v12, v[10:11]
.LBB141_59:
	s_or_b32 exec_lo, exec_lo, s11
	v_add_nc_u32_e32 v2, 8, v5
	s_mov_b32 s11, exec_lo
	s_waitcnt vmcnt(0) lgkmcnt(0)
	ds_write_b32 v22, v12
	v_cmpx_gt_i32_e64 s7, v2
	s_cbranch_execz .LBB141_61
; %bb.60:
	s_lshl_b32 s24, s12, 3
	s_ashr_i32 s25, s24, 31
	s_lshl_b64 s[24:25], s[24:25], 2
	v_add_co_u32 v12, s3, v10, s24
	v_add_co_ci_u32_e64 v13, null, s25, v11, s3
	flat_load_dword v13, v[12:13]
.LBB141_61:
	s_or_b32 exec_lo, exec_lo, s11
	v_add_nc_u32_e32 v12, 16, v5
	v_add_nc_u32_e32 v21, v21, v15
	v_mov_b32_e32 v26, 0
	v_mov_b32_e32 v27, 0
	s_mov_b32 s11, exec_lo
	s_waitcnt vmcnt(0) lgkmcnt(0)
	ds_write_b32 v21, v13 offset:1056
	v_cmpx_gt_i32_e64 s7, v12
	s_cbranch_execz .LBB141_63
; %bb.62:
	s_lshl_b32 s24, s12, 4
	s_ashr_i32 s25, s24, 31
	s_lshl_b64 s[24:25], s[24:25], 2
	v_add_co_u32 v27, s3, v10, s24
	v_add_co_ci_u32_e64 v28, null, s25, v11, s3
	flat_load_dword v27, v[27:28]
.LBB141_63:
	s_or_b32 exec_lo, exec_lo, s11
	v_add_nc_u32_e32 v13, 24, v5
	s_waitcnt vmcnt(0) lgkmcnt(0)
	ds_write_b32 v21, v27 offset:2112
	v_cmp_gt_i32_e64 s3, s7, v13
	s_and_saveexec_b32 s7, s3
	s_cbranch_execz .LBB141_65
; %bb.64:
	s_mul_i32 s24, s12, 24
	s_ashr_i32 s25, s24, 31
	s_lshl_b64 s[24:25], s[24:25], 2
	v_add_co_u32 v26, s3, v10, s24
	v_add_co_ci_u32_e64 v27, null, s25, v11, s3
	flat_load_dword v26, v[26:27]
.LBB141_65:
	s_or_b32 exec_lo, exec_lo, s7
	v_add_co_u32 v10, s3, v10, v15
	v_add_co_ci_u32_e64 v11, null, 0, v11, s3
	s_waitcnt vmcnt(0) lgkmcnt(0)
	ds_write_b32 v21, v26 offset:3168
	v_sub_co_u32 v10, s3, v10, s8
	v_subrev_co_ci_u32_e64 v11, null, s9, v11, s3
	v_add_co_u32 v10, s3, v10, 4
	v_add_co_ci_u32_e64 v11, null, 0, v11, s3
	v_cndmask_b32_e32 v10, v10, v3, vcc_lo
	v_cndmask_b32_e32 v11, v11, v4, vcc_lo
	s_branch .LBB141_68
.LBB141_66:
                                        ; implicit-def: $vgpr10_vgpr11
                                        ; implicit-def: $vgpr2
                                        ; implicit-def: $vgpr12
                                        ; implicit-def: $vgpr13
	s_cbranch_execz .LBB141_68
; %bb.67:
	s_lshl_b32 s8, s12, 3
	s_ashr_i32 s13, s12, 31
	s_ashr_i32 s9, s8, 31
	v_add_nc_u32_e32 v2, 8, v5
	s_lshl_b64 s[8:9], s[8:9], 2
	v_add_co_u32 v10, vcc_lo, v3, s8
	v_add_co_ci_u32_e64 v11, null, s9, v4, vcc_lo
	s_lshl_b64 s[8:9], s[12:13], 5
	v_add_co_u32 v12, vcc_lo, v10, s8
	v_add_co_ci_u32_e64 v13, null, s9, v11, vcc_lo
	v_add_co_u32 v26, vcc_lo, v12, s8
	v_add_co_ci_u32_e64 v27, null, s9, v13, vcc_lo
	s_clause 0x3
	flat_load_dword v15, v[3:4]
	flat_load_dword v21, v[10:11]
	;; [unrolled: 1-line block ×4, first 2 shown]
	v_mov_b32_e32 v11, v4
	v_add_nc_u32_e32 v12, 16, v5
	v_add_nc_u32_e32 v13, 24, v5
	v_mov_b32_e32 v10, v3
	s_waitcnt vmcnt(3) lgkmcnt(3)
	ds_write_b32 v22, v15
	s_waitcnt vmcnt(2) lgkmcnt(3)
	ds_write_b32 v22, v21 offset:1056
	s_waitcnt vmcnt(1) lgkmcnt(3)
	ds_write_b32 v22, v28 offset:2112
	;; [unrolled: 2-line block ×3, first 2 shown]
.LBB141_68:
	v_lshlrev_b32_e32 v2, 2, v2
	v_add_nc_u32_e32 v3, v17, v16
	v_lshlrev_b32_e32 v5, 2, v12
	v_lshlrev_b32_e32 v12, 2, v13
	s_waitcnt lgkmcnt(0)
	v_add_nc_u32_e32 v4, v17, v2
	s_barrier
	buffer_gl0_inv
	ds_read_b32 v13, v16 offset:4544
	ds_read_b32 v21, v3
	ds_read_b32 v22, v4
	;; [unrolled: 1-line block ×3, first 2 shown]
	ds_read_b32 v23, v12 offset:4544
	ds_read_b32 v26, v5 offset:4544
	;; [unrolled: 1-line block ×3, first 2 shown]
	v_add_nc_u32_e32 v2, v17, v5
	v_add_nc_u32_e32 v3, v17, v12
	ds_read_b32 v28, v2
	ds_read_b32 v29, v3
	ds_read_b128 v[2:5], v25 offset:128
	ds_read_b32 v16, v20
	s_waitcnt lgkmcnt(9)
	v_fma_f32 v20, v21, v13, 0
	ds_read2_b32 v[12:13], v24 offset1:33
	s_waitcnt lgkmcnt(0)
	s_barrier
	buffer_gl0_inv
	v_fmac_f32_e32 v20, v22, v27
	v_fmac_f32_e32 v20, v28, v26
	;; [unrolled: 1-line block ×3, first 2 shown]
	ds_write_b32 v19, v20
	s_waitcnt lgkmcnt(0)
	s_barrier
	buffer_gl0_inv
	s_and_saveexec_b32 s3, s2
	s_cbranch_execz .LBB141_70
; %bb.69:
	ds_read2_b32 v[20:21], v17 offset1:1
	ds_read2_b32 v[22:23], v17 offset0:2 offset1:3
	ds_read2_b32 v[24:25], v17 offset0:4 offset1:5
	;; [unrolled: 1-line block ×3, first 2 shown]
	s_waitcnt lgkmcnt(3)
	v_add_f32_e32 v20, v32, v20
	v_add_f32_e32 v20, v20, v21
	s_waitcnt lgkmcnt(2)
	v_add_f32_e32 v20, v20, v22
	v_add_f32_e32 v20, v20, v23
	s_waitcnt lgkmcnt(1)
	v_add_f32_e32 v20, v20, v24
	v_add_f32_e32 v20, v20, v25
	s_waitcnt lgkmcnt(0)
	v_add_f32_e32 v20, v20, v26
	v_add_f32_e32 v32, v20, v27
.LBB141_70:
	s_or_b32 exec_lo, exec_lo, s3
	v_fma_f32 v2, v15, v2, 0
	s_barrier
	buffer_gl0_inv
	v_fmac_f32_e32 v2, v12, v3
	v_fmac_f32_e32 v2, v13, v4
	;; [unrolled: 1-line block ×3, first 2 shown]
	ds_write_b32 v19, v2
	s_waitcnt lgkmcnt(0)
	s_barrier
	buffer_gl0_inv
	s_and_saveexec_b32 s2, s1
	s_cbranch_execz .LBB141_72
; %bb.71:
	ds_read2_b32 v[2:3], v17 offset1:1
	ds_read2_b32 v[4:5], v17 offset0:2 offset1:3
	ds_read2_b32 v[12:13], v17 offset0:4 offset1:5
	;; [unrolled: 1-line block ×3, first 2 shown]
	s_waitcnt lgkmcnt(3)
	v_add_f32_e32 v2, v32, v2
	v_add_f32_e32 v2, v2, v3
	s_waitcnt lgkmcnt(2)
	v_add_f32_e32 v2, v2, v4
	v_add_f32_e32 v2, v2, v5
	;; [unrolled: 3-line block ×4, first 2 shown]
.LBB141_72:
	s_or_b32 exec_lo, exec_lo, s2
	s_load_dwordx2 s[2:3], s[4:5], 0x60
	s_mul_hi_u32 s1, s16, s14
	s_mul_i32 s17, s17, s14
	s_mul_i32 s4, s16, s14
	s_add_i32 s1, s1, s17
	s_mul_hi_u32 s5, s4, s26
	s_mul_i32 s1, s1, s26
	s_mul_i32 s4, s4, s26
	s_add_i32 s5, s5, s1
	s_mul_hi_i32 s9, s16, s6
	s_lshl_b64 s[4:5], s[4:5], 2
	s_mul_i32 s8, s16, s6
	v_lshlrev_b32_e32 v33, 2, v0
	s_waitcnt lgkmcnt(0)
	s_barrier
	buffer_gl0_inv
	s_add_u32 s1, s2, s4
	s_addc_u32 s4, s3, s5
	s_lshl_b64 s[2:3], s[8:9], 2
	s_add_u32 s7, s1, s2
	s_addc_u32 s11, s4, s3
	s_add_i32 s1, s6, 1
	s_cmp_ge_u32 s1, s26
	s_cbranch_scc1 .LBB141_129
; %bb.73:
	v_lshlrev_b32_e32 v34, 2, v1
	s_mul_i32 s2, s15, s18
	s_ashr_i32 s13, s12, 31
	s_ashr_i32 s3, s2, 31
	s_lshl_b32 s16, s12, 1
	v_mad_u64_u32 v[2:3], null, s12, v34, v[0:1]
	s_lshl_b64 s[2:3], s[2:3], 2
	s_mul_i32 s18, s12, 3
	v_sub_co_u32 v35, vcc_lo, v6, s2
	s_lshl_b32 s2, s12, 4
	s_mul_i32 s1, s15, s1
	v_subrev_co_ci_u32_e64 v36, null, s3, v7, vcc_lo
	v_add_co_u32 v37, vcc_lo, v10, s20
	v_ashrrev_i32_e32 v3, 31, v2
	s_lshl_b64 s[24:25], s[12:13], 3
	s_add_i32 s29, s26, -2
	s_lshl_b32 s30, s15, 6
	s_ashr_i32 s3, s2, 31
	s_ashr_i32 s17, s16, 31
	;; [unrolled: 1-line block ×3, first 2 shown]
	s_lshl_b64 s[14:15], s[12:13], 2
	s_lshl_b32 s4, s1, 6
	v_add_co_ci_u32_e64 v38, null, s21, v11, vcc_lo
	v_sub_co_u32 v39, vcc_lo, 0, v8
	s_add_u32 s1, s24, s20
	v_sub_co_ci_u32_e64 v40, null, 0, v9, vcc_lo
	s_addc_u32 s5, s25, s21
	v_add_co_u32 v41, vcc_lo, v10, s1
	v_lshlrev_b64 v[4:5], 2, v[2:3]
	v_add_co_ci_u32_e64 v42, null, s5, v11, vcc_lo
	v_add_co_u32 v6, vcc_lo, s22, v2
	v_add_co_ci_u32_e64 v7, null, s23, v3, vcc_lo
	v_sub_co_u32 v43, vcc_lo, v4, v8
	v_sub_co_ci_u32_e64 v44, null, v5, v9, vcc_lo
	v_lshlrev_b64 v[4:5], 2, v[6:7]
	s_lshl_b64 s[8:9], s[2:3], 4
	s_add_u32 s36, s14, s20
	s_addc_u32 s37, s15, s21
	s_lshl_b64 s[16:17], s[16:17], 2
	s_mul_i32 s33, s12, 12
	s_add_u32 s38, s20, s16
	s_mul_hi_i32 s31, s12, 12
	v_add_co_u32 v6, vcc_lo, s33, v4
	s_addc_u32 s39, s21, s17
	s_lshl_b64 s[18:19], s[18:19], 2
	v_add_co_ci_u32_e64 v7, null, s31, v5, vcc_lo
	s_add_u32 s40, s20, s18
	s_addc_u32 s41, s21, s19
	s_lshl_b64 s[34:35], s[2:3], 2
	v_add_co_u32 v45, vcc_lo, v10, v6
	s_add_u32 s42, s1, s34
	s_addc_u32 s43, s5, s35
	v_add_co_ci_u32_e64 v46, null, v11, v7, vcc_lo
	v_add_co_u32 v47, vcc_lo, v10, s36
	s_add_u32 s22, s22, s2
	v_add_co_ci_u32_e64 v48, null, s37, v11, vcc_lo
	s_addc_u32 s23, s23, s3
	v_add_co_u32 v2, vcc_lo, s22, v2
	v_add_co_ci_u32_e64 v3, null, s23, v3, vcc_lo
	v_add_co_u32 v49, vcc_lo, v10, s38
	v_add_co_ci_u32_e64 v50, null, s39, v11, vcc_lo
	v_lshlrev_b64 v[2:3], 2, v[2:3]
	v_add_co_u32 v51, vcc_lo, v10, s40
	v_add_co_ci_u32_e64 v52, null, s41, v11, vcc_lo
	s_add_u32 s22, s36, s34
	v_add_co_u32 v2, vcc_lo, s33, v2
	v_add_co_ci_u32_e64 v3, null, s31, v3, vcc_lo
	v_add_co_u32 v53, vcc_lo, v10, s42
	v_add_co_ci_u32_e64 v54, null, s43, v11, vcc_lo
	;; [unrolled: 2-line block ×3, first 2 shown]
	s_addc_u32 s23, s37, s35
	v_add_co_u32 v57, vcc_lo, v10, s22
	s_add_u32 s22, s20, s34
	v_add_co_ci_u32_e64 v58, null, s23, v11, vcc_lo
	s_addc_u32 s23, s21, s35
	v_add_co_u32 v59, vcc_lo, v10, s22
	s_add_u32 s34, s22, s16
	v_add_co_ci_u32_e64 v60, null, s23, v11, vcc_lo
	;; [unrolled: 4-line block ×3, first 2 shown]
	s_addc_u32 s35, s23, s19
	s_lshl_b64 s[22:23], s[2:3], 3
	v_add_co_u32 v63, vcc_lo, v10, s34
	s_add_u32 s1, s1, s22
	s_addc_u32 s5, s5, s23
	s_add_u32 s33, s33, s22
	s_addc_u32 s31, s31, s23
	;; [unrolled: 2-line block ×3, first 2 shown]
	v_add_co_ci_u32_e64 v64, null, s35, v11, vcc_lo
	v_add_co_u32 v6, vcc_lo, s33, v4
	s_add_u32 s22, s20, s14
	s_addc_u32 s23, s21, s15
	v_add_co_ci_u32_e64 v7, null, s31, v5, vcc_lo
	s_add_u32 s31, s20, s16
	s_addc_u32 s33, s21, s17
	s_add_u32 s34, s20, s18
	s_mul_i32 s36, s12, 0xc0
	s_addc_u32 s35, s21, s19
	s_mul_hi_i32 s37, s2, 12
	s_add_u32 s24, s36, s24
	s_addc_u32 s25, s37, s25
	s_add_u32 s12, s12, s2
	v_add_co_u32 v65, vcc_lo, v10, s1
	v_mad_u64_u32 v[2:3], null, s12, 12, v[4:5]
	v_add_co_ci_u32_e64 v66, null, s5, v11, vcc_lo
	v_add_co_u32 v67, vcc_lo, v10, v6
	s_addc_u32 s1, s13, s3
	v_add_co_ci_u32_e64 v68, null, v11, v7, vcc_lo
	v_mad_u64_u32 v[6:7], null, s1, 12, v[3:4]
	v_mad_i64_i32 v[7:8], null, s2, 12, v[4:5]
	v_add_co_u32 v69, vcc_lo, v10, s22
	v_add_co_ci_u32_e64 v70, null, s23, v11, vcc_lo
	v_add_co_u32 v3, vcc_lo, s24, v4
	v_add_co_ci_u32_e64 v4, null, s25, v5, vcc_lo
	;; [unrolled: 2-line block ×9, first 2 shown]
	v_add_co_u32 v79, vcc_lo, v10, v2
	v_lshrrev_b32_e32 v2, 2, v14
	v_and_b32_e32 v3, 48, v0
	v_and_b32_e32 v4, 15, v0
	v_add_co_ci_u32_e64 v80, null, v11, v5, vcc_lo
	v_add_co_u32 v81, vcc_lo, v10, v6
	v_add_co_ci_u32_e64 v82, null, v11, v9, vcc_lo
	v_add_co_u32 v83, vcc_lo, v10, v7
	v_and_b32_e32 v2, 0x1ffc, v2
	v_lshlrev_b32_e32 v3, 2, v3
	v_or_b32_e32 v5, 60, v33
	v_mul_u32_u24_e32 v6, 0x10c, v4
	v_and_b32_e32 v7, 0x7ff0, v14
	v_add_co_ci_u32_e64 v84, null, v11, v8, vcc_lo
	v_add_co_u32 v85, vcc_lo, v10, s31
	v_add_co_ci_u32_e64 v86, null, s33, v11, vcc_lo
	v_add_co_u32 v87, vcc_lo, v10, s34
	v_add_co_ci_u32_e64 v88, null, s35, v11, vcc_lo
	v_mad_u32_u24 v89, 0x10c, v4, v2
	v_mad_u32_u24 v90, 0x10c, v4, v3
	;; [unrolled: 1-line block ×3, first 2 shown]
	v_cmp_gt_u32_e64 s1, 64, v14
	v_add_nc_u32_e32 v92, v6, v7
	v_lshl_add_u32 v93, v1, 4, 0x10c0
	v_add_nc_u32_e32 v94, 0x11c0, v33
	v_mad_u32_u24 v95, 0x430, v1, v33
	v_add_nc_u32_e32 v96, 17, v34
	v_add_nc_u32_e32 v97, 18, v34
	v_add_nc_u32_e32 v98, 19, v34
	v_add_nc_u32_e32 v99, 32, v34
	v_add_nc_u32_e32 v100, 33, v34
	v_add_nc_u32_e32 v101, 34, v34
	v_add_nc_u32_e32 v102, 35, v34
	v_add_nc_u32_e32 v103, 48, v34
	v_add_nc_u32_e32 v104, 49, v34
	v_add_nc_u32_e32 v105, 50, v34
	v_add_nc_u32_e32 v106, 51, v34
	v_add_nc_u32_e32 v19, 64, v18
	s_cmp_eq_u32 s29, s6
	s_cselect_b32 s3, s27, 0
	s_and_saveexec_b32 s2, s0
	s_cbranch_execz .LBB141_78
	s_branch .LBB141_75
.LBB141_74:                             ;   in Loop: Header=BB141_78 Depth=1
	s_mov_b32 s6, s2
	s_cmp_eq_u32 s29, s6
	s_cselect_b32 s3, s27, 0
	s_and_saveexec_b32 s2, s0
	s_cbranch_execz .LBB141_78
.LBB141_75:
	v_cmp_gt_i32_e32 vcc_lo, s3, v0
	s_cmp_eq_u32 s3, 0
	v_mov_b32_e32 v2, 0
	s_cselect_b32 s5, -1, 0
	s_or_b32 s5, s5, vcc_lo
	s_and_saveexec_b32 s12, s5
	s_cbranch_execz .LBB141_77
; %bb.76:
	s_ashr_i32 s5, s4, 31
	s_lshl_b64 s[14:15], s[4:5], 2
	v_add_co_u32 v2, vcc_lo, v35, s14
	v_add_co_ci_u32_e64 v3, null, s15, v36, vcc_lo
	flat_load_dword v2, v[2:3]
.LBB141_77:
	s_or_b32 exec_lo, exec_lo, s12
	v_add_nc_u32_e32 v3, 0x10c0, v33
	s_waitcnt vmcnt(0) lgkmcnt(0)
	ds_write_b32 v3, v2
.LBB141_78:                             ; =>This Inner Loop Header: Depth=1
	s_or_b32 exec_lo, exec_lo, s2
	s_cmp_eq_u32 s3, 0
	v_add_co_u32 v2, vcc_lo, v37, v43
	s_cselect_b32 s5, -1, 0
	s_cmp_lg_u32 s3, 0
	v_add_co_ci_u32_e64 v3, null, v38, v44, vcc_lo
	s_cselect_b32 s2, -1, 0
	s_mov_b32 s12, -1
	s_and_b32 vcc_lo, exec_lo, s2
	s_waitcnt lgkmcnt(0)
	s_barrier
	buffer_gl0_inv
                                        ; implicit-def: $vgpr108
                                        ; implicit-def: $vgpr109
                                        ; implicit-def: $vgpr107
                                        ; implicit-def: $vgpr110
	s_cbranch_vccz .LBB141_88
; %bb.79:                               ;   in Loop: Header=BB141_78 Depth=1
	v_mov_b32_e32 v107, 0
	v_mov_b32_e32 v110, 0
	s_mov_b32 s12, exec_lo
	v_cmpx_gt_i32_e64 s3, v34
	s_cbranch_execz .LBB141_81
; %bb.80:                               ;   in Loop: Header=BB141_78 Depth=1
	flat_load_dword v110, v[2:3]
.LBB141_81:                             ;   in Loop: Header=BB141_78 Depth=1
	s_or_b32 exec_lo, exec_lo, s12
	v_or_b32_e32 v4, 1, v34
	s_mov_b32 s12, exec_lo
	v_cmpx_gt_i32_e64 s3, v4
	s_cbranch_execz .LBB141_83
; %bb.82:                               ;   in Loop: Header=BB141_78 Depth=1
	v_add_co_u32 v4, vcc_lo, v47, v43
	v_add_co_ci_u32_e64 v5, null, v48, v44, vcc_lo
	flat_load_dword v107, v[4:5]
.LBB141_83:                             ;   in Loop: Header=BB141_78 Depth=1
	s_or_b32 exec_lo, exec_lo, s12
	v_or_b32_e32 v4, 2, v34
	v_mov_b32_e32 v108, 0
	v_mov_b32_e32 v109, 0
	s_mov_b32 s12, exec_lo
	v_cmpx_gt_i32_e64 s3, v4
	s_cbranch_execz .LBB141_85
; %bb.84:                               ;   in Loop: Header=BB141_78 Depth=1
	v_add_co_u32 v4, vcc_lo, v49, v43
	v_add_co_ci_u32_e64 v5, null, v50, v44, vcc_lo
	flat_load_dword v109, v[4:5]
.LBB141_85:                             ;   in Loop: Header=BB141_78 Depth=1
	s_or_b32 exec_lo, exec_lo, s12
	v_or_b32_e32 v4, 3, v34
	s_mov_b32 s12, exec_lo
	v_cmpx_gt_i32_e64 s3, v4
	s_cbranch_execz .LBB141_87
; %bb.86:                               ;   in Loop: Header=BB141_78 Depth=1
	v_add_co_u32 v4, vcc_lo, v51, v43
	v_add_co_ci_u32_e64 v5, null, v52, v44, vcc_lo
	flat_load_dword v108, v[4:5]
.LBB141_87:                             ;   in Loop: Header=BB141_78 Depth=1
	s_or_b32 exec_lo, exec_lo, s12
	s_mov_b32 s12, 0
.LBB141_88:                             ;   in Loop: Header=BB141_78 Depth=1
	s_and_b32 vcc_lo, exec_lo, s12
	s_cbranch_vccz .LBB141_90
; %bb.89:                               ;   in Loop: Header=BB141_78 Depth=1
	v_add_co_u32 v4, vcc_lo, v47, v43
	v_add_co_ci_u32_e64 v5, null, v48, v44, vcc_lo
	v_add_co_u32 v6, vcc_lo, v41, v43
	v_add_co_ci_u32_e64 v7, null, v42, v44, vcc_lo
	;; [unrolled: 2-line block ×3, first 2 shown]
	s_waitcnt vmcnt(0) lgkmcnt(0)
	flat_load_dword v110, v[2:3]
	flat_load_dword v107, v[4:5]
	;; [unrolled: 1-line block ×4, first 2 shown]
.LBB141_90:                             ;   in Loop: Header=BB141_78 Depth=1
	ds_read_b32 v6, v94
	ds_read_b128 v[2:5], v93
	v_cndmask_b32_e64 v14, 0, 1, s2
                                        ; implicit-def: $vgpr113
                                        ; implicit-def: $vgpr114
                                        ; implicit-def: $vgpr111
                                        ; implicit-def: $vgpr112
	s_waitcnt vmcnt(0) lgkmcnt(1)
	v_mul_f32_e32 v7, v110, v6
	v_mul_f32_e32 v8, v107, v6
	v_mul_f32_e32 v9, v109, v6
	v_mul_f32_e32 v6, v108, v6
	ds_write2_b32 v95, v7, v8 offset1:67
	ds_write2_b32 v95, v9, v6 offset0:134 offset1:201
	s_waitcnt lgkmcnt(0)
	s_barrier
	buffer_gl0_inv
	ds_read2_b32 v[22:23], v92 offset1:1
	ds_read2_b32 v[20:21], v92 offset0:2 offset1:3
	v_add_co_u32 v6, vcc_lo, v59, v43
	v_add_co_ci_u32_e64 v7, null, v60, v44, vcc_lo
	s_andn2_b32 vcc_lo, exec_lo, s2
	s_mov_b32 s2, -1
	s_waitcnt lgkmcnt(0)
	s_barrier
	buffer_gl0_inv
	s_cbranch_vccnz .LBB141_100
; %bb.91:                               ;   in Loop: Header=BB141_78 Depth=1
	v_add_nc_u32_e32 v8, 16, v34
	v_mov_b32_e32 v111, 0
	v_mov_b32_e32 v112, 0
	s_mov_b32 s2, exec_lo
	v_cmpx_gt_i32_e64 s3, v8
	s_cbranch_execz .LBB141_93
; %bb.92:                               ;   in Loop: Header=BB141_78 Depth=1
	flat_load_dword v112, v[6:7]
.LBB141_93:                             ;   in Loop: Header=BB141_78 Depth=1
	s_or_b32 exec_lo, exec_lo, s2
	s_mov_b32 s2, exec_lo
	v_cmpx_gt_i32_e64 s3, v96
	s_cbranch_execz .LBB141_95
; %bb.94:                               ;   in Loop: Header=BB141_78 Depth=1
	v_add_co_u32 v8, vcc_lo, v57, v43
	v_add_co_ci_u32_e64 v9, null, v58, v44, vcc_lo
	flat_load_dword v111, v[8:9]
.LBB141_95:                             ;   in Loop: Header=BB141_78 Depth=1
	s_or_b32 exec_lo, exec_lo, s2
	v_mov_b32_e32 v113, 0
	v_mov_b32_e32 v114, 0
	s_mov_b32 s2, exec_lo
	v_cmpx_gt_i32_e64 s3, v97
	s_cbranch_execz .LBB141_97
; %bb.96:                               ;   in Loop: Header=BB141_78 Depth=1
	v_add_co_u32 v8, vcc_lo, v61, v43
	v_add_co_ci_u32_e64 v9, null, v62, v44, vcc_lo
	flat_load_dword v114, v[8:9]
.LBB141_97:                             ;   in Loop: Header=BB141_78 Depth=1
	s_or_b32 exec_lo, exec_lo, s2
	s_mov_b32 s2, exec_lo
	v_cmpx_gt_i32_e64 s3, v98
	s_cbranch_execz .LBB141_99
; %bb.98:                               ;   in Loop: Header=BB141_78 Depth=1
	v_add_co_u32 v8, vcc_lo, v63, v43
	v_add_co_ci_u32_e64 v9, null, v64, v44, vcc_lo
	flat_load_dword v113, v[8:9]
.LBB141_99:                             ;   in Loop: Header=BB141_78 Depth=1
	s_or_b32 exec_lo, exec_lo, s2
	s_mov_b32 s2, 0
.LBB141_100:                            ;   in Loop: Header=BB141_78 Depth=1
	s_and_b32 vcc_lo, exec_lo, s2
	s_cbranch_vccz .LBB141_102
; %bb.101:                              ;   in Loop: Header=BB141_78 Depth=1
	v_add_co_u32 v8, vcc_lo, v57, v43
	v_add_co_ci_u32_e64 v9, null, v58, v44, vcc_lo
	v_add_co_u32 v10, vcc_lo, v53, v43
	v_add_co_ci_u32_e64 v11, null, v54, v44, vcc_lo
	;; [unrolled: 2-line block ×3, first 2 shown]
	s_waitcnt vmcnt(0) lgkmcnt(0)
	flat_load_dword v112, v[6:7]
	flat_load_dword v111, v[8:9]
	;; [unrolled: 1-line block ×4, first 2 shown]
.LBB141_102:                            ;   in Loop: Header=BB141_78 Depth=1
	ds_read_b32 v10, v94
	ds_read_b128 v[6:9], v93 offset:64
	v_cmp_ne_u32_e32 vcc_lo, 1, v14
                                        ; implicit-def: $vgpr117
                                        ; implicit-def: $vgpr118
                                        ; implicit-def: $vgpr115
                                        ; implicit-def: $vgpr116
	s_and_b32 vcc_lo, exec_lo, vcc_lo
	s_waitcnt vmcnt(0) lgkmcnt(1)
	v_mul_f32_e32 v11, v112, v10
	v_mul_f32_e32 v12, v111, v10
	;; [unrolled: 1-line block ×4, first 2 shown]
	ds_write2_b32 v95, v11, v12 offset1:67
	ds_write2_b32 v95, v13, v10 offset0:134 offset1:201
	s_waitcnt lgkmcnt(0)
	s_barrier
	buffer_gl0_inv
	ds_read2_b32 v[26:27], v92 offset1:1
	ds_read2_b32 v[24:25], v92 offset0:2 offset1:3
	v_add_co_u32 v10, s2, v75, v43
	v_add_co_ci_u32_e64 v11, null, v76, v44, s2
	s_mov_b32 s2, -1
	s_waitcnt lgkmcnt(0)
	s_barrier
	buffer_gl0_inv
	s_cbranch_vccnz .LBB141_112
; %bb.103:                              ;   in Loop: Header=BB141_78 Depth=1
	v_mov_b32_e32 v115, 0
	v_mov_b32_e32 v116, 0
	s_mov_b32 s2, exec_lo
	v_cmpx_gt_i32_e64 s3, v99
	s_cbranch_execz .LBB141_105
; %bb.104:                              ;   in Loop: Header=BB141_78 Depth=1
	flat_load_dword v116, v[10:11]
.LBB141_105:                            ;   in Loop: Header=BB141_78 Depth=1
	s_or_b32 exec_lo, exec_lo, s2
	s_mov_b32 s2, exec_lo
	v_cmpx_gt_i32_e64 s3, v100
	s_cbranch_execz .LBB141_107
; %bb.106:                              ;   in Loop: Header=BB141_78 Depth=1
	v_add_co_u32 v12, vcc_lo, v69, v43
	v_add_co_ci_u32_e64 v13, null, v70, v44, vcc_lo
	flat_load_dword v115, v[12:13]
.LBB141_107:                            ;   in Loop: Header=BB141_78 Depth=1
	s_or_b32 exec_lo, exec_lo, s2
	v_mov_b32_e32 v117, 0
	v_mov_b32_e32 v118, 0
	s_mov_b32 s2, exec_lo
	v_cmpx_gt_i32_e64 s3, v101
	s_cbranch_execz .LBB141_109
; %bb.108:                              ;   in Loop: Header=BB141_78 Depth=1
	v_add_co_u32 v12, vcc_lo, v85, v43
	v_add_co_ci_u32_e64 v13, null, v86, v44, vcc_lo
	flat_load_dword v118, v[12:13]
.LBB141_109:                            ;   in Loop: Header=BB141_78 Depth=1
	s_or_b32 exec_lo, exec_lo, s2
	s_mov_b32 s2, exec_lo
	v_cmpx_gt_i32_e64 s3, v102
	s_cbranch_execz .LBB141_111
; %bb.110:                              ;   in Loop: Header=BB141_78 Depth=1
	v_add_co_u32 v12, vcc_lo, v87, v43
	v_add_co_ci_u32_e64 v13, null, v88, v44, vcc_lo
	flat_load_dword v117, v[12:13]
.LBB141_111:                            ;   in Loop: Header=BB141_78 Depth=1
	s_or_b32 exec_lo, exec_lo, s2
	s_mov_b32 s2, 0
.LBB141_112:                            ;   in Loop: Header=BB141_78 Depth=1
	s_and_b32 vcc_lo, exec_lo, s2
	s_cbranch_vccz .LBB141_114
; %bb.113:                              ;   in Loop: Header=BB141_78 Depth=1
	v_add_co_u32 v12, vcc_lo, v69, v43
	v_add_co_ci_u32_e64 v13, null, v70, v44, vcc_lo
	v_add_co_u32 v15, vcc_lo, v65, v43
	v_add_co_ci_u32_e64 v16, null, v66, v44, vcc_lo
	;; [unrolled: 2-line block ×3, first 2 shown]
	s_waitcnt vmcnt(0) lgkmcnt(0)
	flat_load_dword v116, v[10:11]
	flat_load_dword v115, v[12:13]
	;; [unrolled: 1-line block ×4, first 2 shown]
.LBB141_114:                            ;   in Loop: Header=BB141_78 Depth=1
	ds_read_b32 v15, v94
	ds_read_b128 v[10:13], v93 offset:128
	v_cmp_ne_u32_e32 vcc_lo, 1, v14
	v_add_co_u32 v14, s2, v73, v39
                                        ; implicit-def: $vgpr121
                                        ; implicit-def: $vgpr122
                                        ; implicit-def: $vgpr119
                                        ; implicit-def: $vgpr120
	s_and_b32 vcc_lo, exec_lo, vcc_lo
	s_waitcnt vmcnt(0) lgkmcnt(1)
	v_mul_f32_e32 v16, v116, v15
	v_mul_f32_e32 v17, v115, v15
	;; [unrolled: 1-line block ×4, first 2 shown]
	ds_write2_b32 v95, v16, v17 offset1:67
	ds_write2_b32 v95, v28, v15 offset0:134 offset1:201
	s_waitcnt lgkmcnt(0)
	s_barrier
	buffer_gl0_inv
	ds_read2_b32 v[30:31], v92 offset1:1
	ds_read2_b32 v[28:29], v92 offset0:2 offset1:3
	v_add_co_ci_u32_e64 v15, null, v74, v40, s2
	s_mov_b32 s2, -1
	s_waitcnt lgkmcnt(0)
	s_barrier
	buffer_gl0_inv
	s_cbranch_vccnz .LBB141_124
; %bb.115:                              ;   in Loop: Header=BB141_78 Depth=1
	v_mov_b32_e32 v119, 0
	v_mov_b32_e32 v120, 0
	s_mov_b32 s2, exec_lo
	v_cmpx_gt_i32_e64 s3, v103
	s_cbranch_execz .LBB141_117
; %bb.116:                              ;   in Loop: Header=BB141_78 Depth=1
	flat_load_dword v120, v[14:15]
.LBB141_117:                            ;   in Loop: Header=BB141_78 Depth=1
	s_or_b32 exec_lo, exec_lo, s2
	s_mov_b32 s2, exec_lo
	v_cmpx_gt_i32_e64 s3, v104
	s_cbranch_execz .LBB141_119
; %bb.118:                              ;   in Loop: Header=BB141_78 Depth=1
	v_add_co_u32 v16, vcc_lo, v79, v39
	v_add_co_ci_u32_e64 v17, null, v80, v40, vcc_lo
	flat_load_dword v119, v[16:17]
.LBB141_119:                            ;   in Loop: Header=BB141_78 Depth=1
	s_or_b32 exec_lo, exec_lo, s2
	v_mov_b32_e32 v121, 0
	v_mov_b32_e32 v122, 0
	s_mov_b32 s2, exec_lo
	v_cmpx_gt_i32_e64 s3, v105
	s_cbranch_execz .LBB141_121
; %bb.120:                              ;   in Loop: Header=BB141_78 Depth=1
	v_add_co_u32 v16, vcc_lo, v81, v39
	v_add_co_ci_u32_e64 v17, null, v82, v40, vcc_lo
	flat_load_dword v122, v[16:17]
.LBB141_121:                            ;   in Loop: Header=BB141_78 Depth=1
	s_or_b32 exec_lo, exec_lo, s2
	s_mov_b32 s2, exec_lo
	v_cmpx_gt_i32_e64 s3, v106
	s_cbranch_execz .LBB141_123
; %bb.122:                              ;   in Loop: Header=BB141_78 Depth=1
	v_add_co_u32 v16, vcc_lo, v83, v39
	v_add_co_ci_u32_e64 v17, null, v84, v40, vcc_lo
	flat_load_dword v121, v[16:17]
.LBB141_123:                            ;   in Loop: Header=BB141_78 Depth=1
	s_or_b32 exec_lo, exec_lo, s2
	s_mov_b32 s2, 0
.LBB141_124:                            ;   in Loop: Header=BB141_78 Depth=1
	s_and_b32 vcc_lo, exec_lo, s2
	s_cbranch_vccz .LBB141_126
; %bb.125:                              ;   in Loop: Header=BB141_78 Depth=1
	v_add_co_u32 v16, vcc_lo, v79, v39
	v_add_co_ci_u32_e64 v17, null, v80, v40, vcc_lo
	s_waitcnt vmcnt(0) lgkmcnt(0)
	v_add_co_u32 v121, vcc_lo, v77, v39
	v_add_co_ci_u32_e64 v122, null, v78, v40, vcc_lo
	v_add_co_u32 v123, vcc_lo, v71, v39
	v_add_co_ci_u32_e64 v124, null, v72, v40, vcc_lo
	flat_load_dword v120, v[14:15]
	flat_load_dword v119, v[16:17]
	;; [unrolled: 1-line block ×4, first 2 shown]
.LBB141_126:                            ;   in Loop: Header=BB141_78 Depth=1
	ds_read_b32 v123, v94
	ds_read_b128 v[14:17], v93 offset:192
	v_add_f32_e32 v26, 0, v26
	v_add_f32_e32 v22, 0, v22
	;; [unrolled: 1-line block ×3, first 2 shown]
	v_cmp_gt_i32_e32 vcc_lo, s3, v0
	v_add_f32_e32 v26, v26, v27
	v_add_f32_e32 v22, v22, v23
	;; [unrolled: 1-line block ×3, first 2 shown]
	s_or_b32 s2, s5, vcc_lo
	v_add_f32_e32 v24, v26, v24
	v_add_f32_e32 v20, v22, v20
	;; [unrolled: 1-line block ×3, first 2 shown]
	s_and_b32 s3, s1, s2
	v_add_f32_e32 v24, v24, v25
	v_add_f32_e32 v20, v20, v21
	s_waitcnt vmcnt(0) lgkmcnt(1)
	v_mul_f32_e32 v124, v120, v123
	v_mul_f32_e32 v125, v119, v123
	;; [unrolled: 1-line block ×4, first 2 shown]
	ds_write2_b32 v95, v124, v125 offset1:67
	ds_write2_b32 v95, v126, v123 offset0:134 offset1:201
	s_waitcnt lgkmcnt(0)
	s_barrier
	buffer_gl0_inv
	ds_read2_b32 v[123:124], v92 offset1:1
	ds_read2_b32 v[125:126], v92 offset0:2 offset1:3
	s_waitcnt lgkmcnt(0)
	s_barrier
	buffer_gl0_inv
	v_add_f32_e32 v123, 0, v123
	v_add_f32_e32 v23, v123, v124
	;; [unrolled: 1-line block ×5, first 2 shown]
	ds_write2_b32 v89, v20, v24 offset1:16
	ds_write2_b32 v89, v23, v21 offset0:32 offset1:48
	s_waitcnt lgkmcnt(0)
	s_barrier
	buffer_gl0_inv
	s_and_saveexec_b32 s2, s3
	s_cbranch_execz .LBB141_128
; %bb.127:                              ;   in Loop: Header=BB141_78 Depth=1
	ds_read2_b32 v[20:21], v90 offset1:1
	ds_read2_b32 v[22:23], v90 offset0:2 offset1:3
	ds_read2_b32 v[24:25], v90 offset0:4 offset1:5
	;; [unrolled: 1-line block ×3, first 2 shown]
	s_waitcnt lgkmcnt(3)
	v_add_f32_e32 v20, v20, v21
	s_waitcnt lgkmcnt(2)
	v_add_f32_e32 v20, v20, v22
	v_add_f32_e32 v22, v20, v23
	ds_read2_b32 v[20:21], v90 offset0:8 offset1:9
	s_waitcnt lgkmcnt(2)
	v_add_f32_e32 v22, v22, v24
	v_add_f32_e32 v24, v22, v25
	ds_read2_b32 v[22:23], v90 offset0:10 offset1:11
	;; [unrolled: 4-line block ×3, first 2 shown]
	ds_read_b32 v27, v90 offset:56
	s_waitcnt lgkmcnt(3)
	v_add_f32_e32 v20, v26, v20
	v_add_f32_e32 v20, v20, v21
	s_waitcnt lgkmcnt(2)
	v_add_f32_e32 v20, v20, v22
	ds_read_b32 v22, v91
	v_add_f32_e32 v20, v20, v23
	s_waitcnt lgkmcnt(2)
	v_add_f32_e32 v20, v20, v24
	v_add_f32_e32 v21, v20, v25
	v_ashrrev_i32_e32 v20, 31, v19
	s_waitcnt lgkmcnt(1)
	v_add_f32_e32 v23, v21, v27
	v_lshlrev_b64 v[20:21], 2, v[19:20]
	s_waitcnt lgkmcnt(0)
	v_add_f32_e32 v22, v23, v22
	v_add_co_u32 v20, vcc_lo, s7, v20
	v_add_co_ci_u32_e64 v21, null, s11, v21, vcc_lo
	global_store_dword v[20:21], v22, off
.LBB141_128:                            ;   in Loop: Header=BB141_78 Depth=1
	s_or_b32 exec_lo, exec_lo, s2
	v_fmac_f32_e32 v32, v110, v2
	v_add_co_u32 v41, vcc_lo, v41, s8
	v_add_co_ci_u32_e64 v42, null, s9, v42, vcc_lo
	v_fmac_f32_e32 v32, v107, v3
	v_add_co_u32 v45, vcc_lo, v45, s8
	v_add_co_ci_u32_e64 v46, null, s9, v46, vcc_lo
	;; [unrolled: 3-line block ×10, first 2 shown]
	v_add_co_u32 v61, vcc_lo, v61, s8
	v_add_co_ci_u32_e64 v62, null, s9, v62, vcc_lo
	v_add_co_u32 v63, vcc_lo, v63, s8
	v_fmac_f32_e32 v32, v118, v12
	v_add_co_ci_u32_e64 v64, null, s9, v64, vcc_lo
	v_add_co_u32 v65, vcc_lo, v65, s8
	v_add_co_ci_u32_e64 v66, null, s9, v66, vcc_lo
	v_add_co_u32 v67, vcc_lo, v67, s8
	v_fmac_f32_e32 v32, v117, v13
	v_add_co_ci_u32_e64 v68, null, s9, v68, vcc_lo
	v_add_co_u32 v69, vcc_lo, v69, s8
	v_add_co_ci_u32_e64 v70, null, s9, v70, vcc_lo
	v_add_co_u32 v75, vcc_lo, v75, s8
	;; [unrolled: 2-line block ×3, first 2 shown]
	v_fmac_f32_e32 v32, v120, v14
	v_add_co_ci_u32_e64 v86, null, s9, v86, vcc_lo
	v_add_co_u32 v87, vcc_lo, v87, s8
	v_add_co_ci_u32_e64 v88, null, s9, v88, vcc_lo
	v_add_co_u32 v77, vcc_lo, v77, s8
	v_fmac_f32_e32 v32, v119, v15
	v_add_co_ci_u32_e64 v78, null, s9, v78, vcc_lo
	v_add_co_u32 v71, vcc_lo, v71, s8
	v_add_co_ci_u32_e64 v72, null, s9, v72, vcc_lo
	v_add_co_u32 v79, vcc_lo, v79, s8
	;; [unrolled: 2-line block ×3, first 2 shown]
	v_fmac_f32_e32 v32, v122, v16
	v_add_co_ci_u32_e64 v74, null, s9, v74, vcc_lo
	v_add_co_u32 v81, vcc_lo, v81, s8
	v_add_co_ci_u32_e64 v82, null, s9, v82, vcc_lo
	v_add_co_u32 v83, vcc_lo, v83, s8
	v_add_nc_u32_e32 v19, 64, v19
	v_fmac_f32_e32 v32, v121, v17
	v_add_co_ci_u32_e64 v84, null, s9, v84, vcc_lo
	s_add_i32 s3, s6, 2
	s_add_i32 s2, s6, 1
	;; [unrolled: 1-line block ×3, first 2 shown]
	s_cmp_ge_u32 s3, s26
	s_waitcnt_vscnt null, 0x0
	s_barrier
	buffer_gl0_inv
	s_cbranch_scc0 .LBB141_74
.LBB141_129:
	v_cmp_gt_i32_e32 vcc_lo, s10, v0
	v_mad_u32_u24 v1, 0x10c, v1, v33
	s_or_b32 s1, s28, vcc_lo
	ds_write_b32 v1, v32
	s_and_b32 s0, s0, s1
	s_waitcnt lgkmcnt(0)
	s_barrier
	buffer_gl0_inv
	s_and_saveexec_b32 s1, s0
	s_cbranch_execz .LBB141_4
; %bb.130:
	ds_read2_b32 v[0:1], v33 offset1:67
	ds_read2_b32 v[2:3], v33 offset0:134 offset1:201
	v_ashrrev_i32_e32 v19, 31, v18
	s_waitcnt lgkmcnt(1)
	v_add_f32_e32 v0, v0, v1
	s_waitcnt lgkmcnt(0)
	v_add_f32_e32 v2, v0, v2
	v_lshlrev_b64 v[0:1], 2, v[18:19]
	v_add_f32_e32 v2, v2, v3
	v_add_co_u32 v0, vcc_lo, s7, v0
	v_add_co_ci_u32_e64 v1, null, s11, v1, vcc_lo
	global_store_dword v[0:1], v2, off
	s_endpgm
	.section	.rodata,"a",@progbits
	.p2align	6, 0x0
	.amdhsa_kernel _ZL26rocblas_hemvn_kernel_upperILb0ELi64ELi4ELi33ELi32ELi16EifPKPKfPfEviT6_lT7_lT5_lS6_lS7_lS5_lT8_i
		.amdhsa_group_segment_fixed_size 4800
		.amdhsa_private_segment_fixed_size 0
		.amdhsa_kernarg_size 368
		.amdhsa_user_sgpr_count 6
		.amdhsa_user_sgpr_private_segment_buffer 1
		.amdhsa_user_sgpr_dispatch_ptr 0
		.amdhsa_user_sgpr_queue_ptr 0
		.amdhsa_user_sgpr_kernarg_segment_ptr 1
		.amdhsa_user_sgpr_dispatch_id 0
		.amdhsa_user_sgpr_flat_scratch_init 0
		.amdhsa_user_sgpr_private_segment_size 0
		.amdhsa_wavefront_size32 1
		.amdhsa_uses_dynamic_stack 0
		.amdhsa_system_sgpr_private_segment_wavefront_offset 0
		.amdhsa_system_sgpr_workgroup_id_x 1
		.amdhsa_system_sgpr_workgroup_id_y 0
		.amdhsa_system_sgpr_workgroup_id_z 1
		.amdhsa_system_sgpr_workgroup_info 0
		.amdhsa_system_vgpr_workitem_id 1
		.amdhsa_next_free_vgpr 127
		.amdhsa_next_free_sgpr 44
		.amdhsa_reserve_vcc 1
		.amdhsa_reserve_flat_scratch 1
		.amdhsa_float_round_mode_32 0
		.amdhsa_float_round_mode_16_64 0
		.amdhsa_float_denorm_mode_32 3
		.amdhsa_float_denorm_mode_16_64 3
		.amdhsa_dx10_clamp 1
		.amdhsa_ieee_mode 1
		.amdhsa_fp16_overflow 0
		.amdhsa_workgroup_processor_mode 1
		.amdhsa_memory_ordered 1
		.amdhsa_forward_progress 1
		.amdhsa_shared_vgpr_count 0
		.amdhsa_exception_fp_ieee_invalid_op 0
		.amdhsa_exception_fp_denorm_src 0
		.amdhsa_exception_fp_ieee_div_zero 0
		.amdhsa_exception_fp_ieee_overflow 0
		.amdhsa_exception_fp_ieee_underflow 0
		.amdhsa_exception_fp_ieee_inexact 0
		.amdhsa_exception_int_div_zero 0
	.end_amdhsa_kernel
	.section	.text._ZL26rocblas_hemvn_kernel_upperILb0ELi64ELi4ELi33ELi32ELi16EifPKPKfPfEviT6_lT7_lT5_lS6_lS7_lS5_lT8_i,"axG",@progbits,_ZL26rocblas_hemvn_kernel_upperILb0ELi64ELi4ELi33ELi32ELi16EifPKPKfPfEviT6_lT7_lT5_lS6_lS7_lS5_lT8_i,comdat
.Lfunc_end141:
	.size	_ZL26rocblas_hemvn_kernel_upperILb0ELi64ELi4ELi33ELi32ELi16EifPKPKfPfEviT6_lT7_lT5_lS6_lS7_lS5_lT8_i, .Lfunc_end141-_ZL26rocblas_hemvn_kernel_upperILb0ELi64ELi4ELi33ELi32ELi16EifPKPKfPfEviT6_lT7_lT5_lS6_lS7_lS5_lT8_i
                                        ; -- End function
	.set _ZL26rocblas_hemvn_kernel_upperILb0ELi64ELi4ELi33ELi32ELi16EifPKPKfPfEviT6_lT7_lT5_lS6_lS7_lS5_lT8_i.num_vgpr, 127
	.set _ZL26rocblas_hemvn_kernel_upperILb0ELi64ELi4ELi33ELi32ELi16EifPKPKfPfEviT6_lT7_lT5_lS6_lS7_lS5_lT8_i.num_agpr, 0
	.set _ZL26rocblas_hemvn_kernel_upperILb0ELi64ELi4ELi33ELi32ELi16EifPKPKfPfEviT6_lT7_lT5_lS6_lS7_lS5_lT8_i.numbered_sgpr, 44
	.set _ZL26rocblas_hemvn_kernel_upperILb0ELi64ELi4ELi33ELi32ELi16EifPKPKfPfEviT6_lT7_lT5_lS6_lS7_lS5_lT8_i.num_named_barrier, 0
	.set _ZL26rocblas_hemvn_kernel_upperILb0ELi64ELi4ELi33ELi32ELi16EifPKPKfPfEviT6_lT7_lT5_lS6_lS7_lS5_lT8_i.private_seg_size, 0
	.set _ZL26rocblas_hemvn_kernel_upperILb0ELi64ELi4ELi33ELi32ELi16EifPKPKfPfEviT6_lT7_lT5_lS6_lS7_lS5_lT8_i.uses_vcc, 1
	.set _ZL26rocblas_hemvn_kernel_upperILb0ELi64ELi4ELi33ELi32ELi16EifPKPKfPfEviT6_lT7_lT5_lS6_lS7_lS5_lT8_i.uses_flat_scratch, 1
	.set _ZL26rocblas_hemvn_kernel_upperILb0ELi64ELi4ELi33ELi32ELi16EifPKPKfPfEviT6_lT7_lT5_lS6_lS7_lS5_lT8_i.has_dyn_sized_stack, 0
	.set _ZL26rocblas_hemvn_kernel_upperILb0ELi64ELi4ELi33ELi32ELi16EifPKPKfPfEviT6_lT7_lT5_lS6_lS7_lS5_lT8_i.has_recursion, 0
	.set _ZL26rocblas_hemvn_kernel_upperILb0ELi64ELi4ELi33ELi32ELi16EifPKPKfPfEviT6_lT7_lT5_lS6_lS7_lS5_lT8_i.has_indirect_call, 0
	.section	.AMDGPU.csdata,"",@progbits
; Kernel info:
; codeLenInByte = 7776
; TotalNumSgprs: 46
; NumVgprs: 127
; ScratchSize: 0
; MemoryBound: 0
; FloatMode: 240
; IeeeMode: 1
; LDSByteSize: 4800 bytes/workgroup (compile time only)
; SGPRBlocks: 0
; VGPRBlocks: 15
; NumSGPRsForWavesPerEU: 46
; NumVGPRsForWavesPerEU: 127
; Occupancy: 8
; WaveLimiterHint : 1
; COMPUTE_PGM_RSRC2:SCRATCH_EN: 0
; COMPUTE_PGM_RSRC2:USER_SGPR: 6
; COMPUTE_PGM_RSRC2:TRAP_HANDLER: 0
; COMPUTE_PGM_RSRC2:TGID_X_EN: 1
; COMPUTE_PGM_RSRC2:TGID_Y_EN: 0
; COMPUTE_PGM_RSRC2:TGID_Z_EN: 1
; COMPUTE_PGM_RSRC2:TIDIG_COMP_CNT: 1
	.section	.text._ZL36rocblas_hemvn_kernel_upper_block_sumILi64EifPKPffEviT1_lS3_lT2_lT0_lPT3_i,"axG",@progbits,_ZL36rocblas_hemvn_kernel_upper_block_sumILi64EifPKPffEviT1_lS3_lT2_lT0_lPT3_i,comdat
	.globl	_ZL36rocblas_hemvn_kernel_upper_block_sumILi64EifPKPffEviT1_lS3_lT2_lT0_lPT3_i ; -- Begin function _ZL36rocblas_hemvn_kernel_upper_block_sumILi64EifPKPffEviT1_lS3_lT2_lT0_lPT3_i
	.p2align	8
	.type	_ZL36rocblas_hemvn_kernel_upper_block_sumILi64EifPKPffEviT1_lS3_lT2_lT0_lPT3_i,@function
_ZL36rocblas_hemvn_kernel_upper_block_sumILi64EifPKPffEviT1_lS3_lT2_lT0_lPT3_i: ; @_ZL36rocblas_hemvn_kernel_upper_block_sumILi64EifPKPffEviT1_lS3_lT2_lT0_lPT3_i
; %bb.0:
	s_clause 0x1
	s_load_dwordx2 s[8:9], s[4:5], 0x0
	s_load_dword s11, s[4:5], 0x10
	s_mov_b32 s3, 0
	s_waitcnt lgkmcnt(0)
	v_cmp_eq_f32_e64 s0, s9, 0
	v_cmp_eq_f32_e64 s1, s11, 1.0
	s_and_b32 s0, s0, s1
	s_and_b32 vcc_lo, exec_lo, s0
	s_cbranch_vccnz .LBB142_19
; %bb.1:
	s_clause 0x1
	s_load_dwordx4 s[16:19], s[4:5], 0x20
	s_load_dword s12, s[4:5], 0x30
	s_mov_b32 s2, s7
	v_lshl_or_b32 v0, s6, 6, v0
	s_lshl_b64 s[0:1], s[2:3], 3
	v_cmp_neq_f32_e64 s13, s9, 0
	s_waitcnt lgkmcnt(0)
	s_add_u32 s0, s16, s0
	s_addc_u32 s1, s17, s1
	s_lshl_b64 s[14:15], s[18:19], 2
	s_load_dwordx2 s[0:1], s[0:1], 0x0
	s_waitcnt lgkmcnt(0)
	s_add_u32 s7, s0, s14
	v_cmp_gt_i32_e64 s0, s8, v0
	s_addc_u32 s10, s1, s15
	s_and_b32 vcc_lo, exec_lo, s13
	s_cbranch_vccnz .LBB142_6
; %bb.2:
	s_mov_b32 s1, 0
                                        ; implicit-def: $vgpr4
                                        ; implicit-def: $vgpr2_vgpr3
	s_and_saveexec_b32 s13, s0
	s_cbranch_execz .LBB142_7
; %bb.3:
	v_mul_lo_u32 v2, s12, v0
	v_cmp_eq_f32_e64 s0, s11, 0
	v_mov_b32_e32 v4, 0
	s_and_b32 vcc_lo, exec_lo, s0
	v_ashrrev_i32_e32 v3, 31, v2
	s_cbranch_vccnz .LBB142_5
; %bb.4:
	v_lshlrev_b64 v[4:5], 2, v[2:3]
	v_add_co_u32 v4, vcc_lo, s7, v4
	v_add_co_ci_u32_e64 v5, null, s10, v5, vcc_lo
	flat_load_dword v1, v[4:5]
	s_waitcnt vmcnt(0) lgkmcnt(0)
	v_mul_f32_e32 v4, s11, v1
.LBB142_5:
	s_mov_b32 s3, exec_lo
	s_or_b32 exec_lo, exec_lo, s13
	s_and_b32 vcc_lo, exec_lo, s1
	s_cbranch_vccnz .LBB142_8
	s_branch .LBB142_17
.LBB142_6:
                                        ; implicit-def: $vgpr4
                                        ; implicit-def: $vgpr2_vgpr3
	s_cbranch_execnz .LBB142_8
	s_branch .LBB142_17
.LBB142_7:
	s_or_b32 exec_lo, exec_lo, s13
	s_and_b32 vcc_lo, exec_lo, s1
	s_cbranch_vccz .LBB142_17
.LBB142_8:
	s_mov_b32 s13, exec_lo
                                        ; implicit-def: $vgpr4
                                        ; implicit-def: $vgpr2_vgpr3
	v_cmpx_gt_i32_e64 s8, v0
	s_cbranch_execz .LBB142_16
; %bb.9:
	v_mov_b32_e32 v1, 0
	s_cmp_lt_i32 s6, 0
	s_cbranch_scc1 .LBB142_12
; %bb.10:
	s_clause 0x1
	s_load_dword s14, s[4:5], 0x50
	s_load_dwordx2 s[0:1], s[4:5], 0x40
	s_ashr_i32 s5, s8, 31
	s_mul_hi_u32 s4, s8, s2
	s_mul_i32 s15, s5, s2
	v_mov_b32_e32 v1, 0
	s_mul_i32 s2, s8, s2
	s_add_i32 s4, s4, s15
	v_lshlrev_b64 v[2:3], 2, v[0:1]
	s_waitcnt lgkmcnt(0)
	s_mul_i32 s4, s4, s14
	s_mul_hi_u32 s15, s2, s14
	s_mul_i32 s14, s2, s14
	s_add_i32 s15, s15, s4
	s_mov_b32 s4, s8
	s_lshl_b64 s[14:15], s[14:15], 2
	s_add_u32 s0, s0, s14
	s_addc_u32 s1, s1, s15
	v_add_co_u32 v2, vcc_lo, s0, v2
	v_add_co_ci_u32_e64 v3, null, s1, v3, vcc_lo
	s_add_i32 s2, s6, 1
	s_lshl_b64 s[0:1], s[4:5], 2
.LBB142_11:                             ; =>This Inner Loop Header: Depth=1
	global_load_dword v4, v[2:3], off
	v_add_co_u32 v2, vcc_lo, v2, s0
	v_add_co_ci_u32_e64 v3, null, s1, v3, vcc_lo
	s_add_i32 s2, s2, -1
	s_cmp_eq_u32 s2, 0
	s_waitcnt vmcnt(0)
	v_add_f32_e32 v1, v1, v4
	s_cbranch_scc0 .LBB142_11
.LBB142_12:
	v_mul_lo_u32 v2, s12, v0
	v_cmp_eq_f32_e64 s0, s11, 0
	s_and_b32 vcc_lo, exec_lo, s0
	s_mov_b32 s0, 0
	v_ashrrev_i32_e32 v3, 31, v2
	s_cbranch_vccz .LBB142_20
; %bb.13:
	v_mul_f32_e32 v4, s9, v1
	s_andn2_b32 vcc_lo, exec_lo, s0
	s_cbranch_vccnz .LBB142_15
.LBB142_14:
	v_lshlrev_b64 v[4:5], 2, v[2:3]
	v_add_co_u32 v4, vcc_lo, s7, v4
	v_add_co_ci_u32_e64 v5, null, s10, v5, vcc_lo
	flat_load_dword v0, v[4:5]
	s_waitcnt vmcnt(0) lgkmcnt(0)
	v_mul_f32_e32 v4, s11, v0
	v_fmac_f32_e32 v4, s9, v1
.LBB142_15:
	s_or_b32 s3, s3, exec_lo
.LBB142_16:
	s_or_b32 exec_lo, exec_lo, s13
.LBB142_17:
	s_and_saveexec_b32 s0, s3
	s_cbranch_execz .LBB142_19
; %bb.18:
	v_lshlrev_b64 v[0:1], 2, v[2:3]
	v_add_co_u32 v0, vcc_lo, s7, v0
	v_add_co_ci_u32_e64 v1, null, s10, v1, vcc_lo
	flat_store_dword v[0:1], v4
.LBB142_19:
	s_endpgm
.LBB142_20:
                                        ; implicit-def: $vgpr4
	s_branch .LBB142_14
	.section	.rodata,"a",@progbits
	.p2align	6, 0x0
	.amdhsa_kernel _ZL36rocblas_hemvn_kernel_upper_block_sumILi64EifPKPffEviT1_lS3_lT2_lT0_lPT3_i
		.amdhsa_group_segment_fixed_size 0
		.amdhsa_private_segment_fixed_size 0
		.amdhsa_kernarg_size 336
		.amdhsa_user_sgpr_count 6
		.amdhsa_user_sgpr_private_segment_buffer 1
		.amdhsa_user_sgpr_dispatch_ptr 0
		.amdhsa_user_sgpr_queue_ptr 0
		.amdhsa_user_sgpr_kernarg_segment_ptr 1
		.amdhsa_user_sgpr_dispatch_id 0
		.amdhsa_user_sgpr_flat_scratch_init 0
		.amdhsa_user_sgpr_private_segment_size 0
		.amdhsa_wavefront_size32 1
		.amdhsa_uses_dynamic_stack 0
		.amdhsa_system_sgpr_private_segment_wavefront_offset 0
		.amdhsa_system_sgpr_workgroup_id_x 1
		.amdhsa_system_sgpr_workgroup_id_y 0
		.amdhsa_system_sgpr_workgroup_id_z 1
		.amdhsa_system_sgpr_workgroup_info 0
		.amdhsa_system_vgpr_workitem_id 0
		.amdhsa_next_free_vgpr 6
		.amdhsa_next_free_sgpr 20
		.amdhsa_reserve_vcc 1
		.amdhsa_reserve_flat_scratch 0
		.amdhsa_float_round_mode_32 0
		.amdhsa_float_round_mode_16_64 0
		.amdhsa_float_denorm_mode_32 3
		.amdhsa_float_denorm_mode_16_64 3
		.amdhsa_dx10_clamp 1
		.amdhsa_ieee_mode 1
		.amdhsa_fp16_overflow 0
		.amdhsa_workgroup_processor_mode 1
		.amdhsa_memory_ordered 1
		.amdhsa_forward_progress 1
		.amdhsa_shared_vgpr_count 0
		.amdhsa_exception_fp_ieee_invalid_op 0
		.amdhsa_exception_fp_denorm_src 0
		.amdhsa_exception_fp_ieee_div_zero 0
		.amdhsa_exception_fp_ieee_overflow 0
		.amdhsa_exception_fp_ieee_underflow 0
		.amdhsa_exception_fp_ieee_inexact 0
		.amdhsa_exception_int_div_zero 0
	.end_amdhsa_kernel
	.section	.text._ZL36rocblas_hemvn_kernel_upper_block_sumILi64EifPKPffEviT1_lS3_lT2_lT0_lPT3_i,"axG",@progbits,_ZL36rocblas_hemvn_kernel_upper_block_sumILi64EifPKPffEviT1_lS3_lT2_lT0_lPT3_i,comdat
.Lfunc_end142:
	.size	_ZL36rocblas_hemvn_kernel_upper_block_sumILi64EifPKPffEviT1_lS3_lT2_lT0_lPT3_i, .Lfunc_end142-_ZL36rocblas_hemvn_kernel_upper_block_sumILi64EifPKPffEviT1_lS3_lT2_lT0_lPT3_i
                                        ; -- End function
	.set _ZL36rocblas_hemvn_kernel_upper_block_sumILi64EifPKPffEviT1_lS3_lT2_lT0_lPT3_i.num_vgpr, 6
	.set _ZL36rocblas_hemvn_kernel_upper_block_sumILi64EifPKPffEviT1_lS3_lT2_lT0_lPT3_i.num_agpr, 0
	.set _ZL36rocblas_hemvn_kernel_upper_block_sumILi64EifPKPffEviT1_lS3_lT2_lT0_lPT3_i.numbered_sgpr, 20
	.set _ZL36rocblas_hemvn_kernel_upper_block_sumILi64EifPKPffEviT1_lS3_lT2_lT0_lPT3_i.num_named_barrier, 0
	.set _ZL36rocblas_hemvn_kernel_upper_block_sumILi64EifPKPffEviT1_lS3_lT2_lT0_lPT3_i.private_seg_size, 0
	.set _ZL36rocblas_hemvn_kernel_upper_block_sumILi64EifPKPffEviT1_lS3_lT2_lT0_lPT3_i.uses_vcc, 1
	.set _ZL36rocblas_hemvn_kernel_upper_block_sumILi64EifPKPffEviT1_lS3_lT2_lT0_lPT3_i.uses_flat_scratch, 0
	.set _ZL36rocblas_hemvn_kernel_upper_block_sumILi64EifPKPffEviT1_lS3_lT2_lT0_lPT3_i.has_dyn_sized_stack, 0
	.set _ZL36rocblas_hemvn_kernel_upper_block_sumILi64EifPKPffEviT1_lS3_lT2_lT0_lPT3_i.has_recursion, 0
	.set _ZL36rocblas_hemvn_kernel_upper_block_sumILi64EifPKPffEviT1_lS3_lT2_lT0_lPT3_i.has_indirect_call, 0
	.section	.AMDGPU.csdata,"",@progbits
; Kernel info:
; codeLenInByte = 604
; TotalNumSgprs: 22
; NumVgprs: 6
; ScratchSize: 0
; MemoryBound: 0
; FloatMode: 240
; IeeeMode: 1
; LDSByteSize: 0 bytes/workgroup (compile time only)
; SGPRBlocks: 0
; VGPRBlocks: 0
; NumSGPRsForWavesPerEU: 22
; NumVGPRsForWavesPerEU: 6
; Occupancy: 16
; WaveLimiterHint : 1
; COMPUTE_PGM_RSRC2:SCRATCH_EN: 0
; COMPUTE_PGM_RSRC2:USER_SGPR: 6
; COMPUTE_PGM_RSRC2:TRAP_HANDLER: 0
; COMPUTE_PGM_RSRC2:TGID_X_EN: 1
; COMPUTE_PGM_RSRC2:TGID_Y_EN: 0
; COMPUTE_PGM_RSRC2:TGID_Z_EN: 1
; COMPUTE_PGM_RSRC2:TIDIG_COMP_CNT: 0
	.section	.text._ZL50rocblas_symv_kernel_lower_double_buffered_diagonalILi32ELi4E24rocblas_internal_val_ptrIfEPKPKfPKPfEvbiT1_lT2_lllSA_lllS9_lT3_llli,"axG",@progbits,_ZL50rocblas_symv_kernel_lower_double_buffered_diagonalILi32ELi4E24rocblas_internal_val_ptrIfEPKPKfPKPfEvbiT1_lT2_lllSA_lllS9_lT3_llli,comdat
	.globl	_ZL50rocblas_symv_kernel_lower_double_buffered_diagonalILi32ELi4E24rocblas_internal_val_ptrIfEPKPKfPKPfEvbiT1_lT2_lllSA_lllS9_lT3_llli ; -- Begin function _ZL50rocblas_symv_kernel_lower_double_buffered_diagonalILi32ELi4E24rocblas_internal_val_ptrIfEPKPKfPKPfEvbiT1_lT2_lllSA_lllS9_lT3_llli
	.p2align	8
	.type	_ZL50rocblas_symv_kernel_lower_double_buffered_diagonalILi32ELi4E24rocblas_internal_val_ptrIfEPKPKfPKPfEvbiT1_lT2_lllSA_lllS9_lT3_llli,@function
_ZL50rocblas_symv_kernel_lower_double_buffered_diagonalILi32ELi4E24rocblas_internal_val_ptrIfEPKPKfPKPfEvbiT1_lT2_lllSA_lllS9_lT3_llli: ; @_ZL50rocblas_symv_kernel_lower_double_buffered_diagonalILi32ELi4E24rocblas_internal_val_ptrIfEPKPKfPKPfEvbiT1_lT2_lllSA_lllS9_lT3_llli
; %bb.0:
	s_clause 0x2
	s_load_dword s1, s[4:5], 0x0
	s_load_dwordx8 s[8:15], s[4:5], 0x8
	s_load_dwordx2 s[20:21], s[4:5], 0x28
	s_mov_b32 s0, s7
	s_mov_b32 s2, -1
                                        ; implicit-def: $sgpr7
	s_waitcnt lgkmcnt(0)
	s_bitcmp1_b32 s1, 0
	s_cselect_b32 s1, -1, 0
	s_xor_b32 s1, s1, -1
	s_and_b32 vcc_lo, exec_lo, s1
	s_cbranch_vccnz .LBB143_7
; %bb.1:
	s_load_dwordx4 s[16:19], s[4:5], 0x58
	s_andn2_b32 vcc_lo, exec_lo, s2
	s_cbranch_vccz .LBB143_8
.LBB143_2:
	s_andn2_b32 vcc_lo, exec_lo, s1
	s_cbranch_vccnz .LBB143_4
.LBB143_3:
	s_waitcnt lgkmcnt(0)
	s_mul_i32 s1, s19, s0
	s_mul_hi_u32 s2, s18, s0
	s_add_i32 s3, s2, s1
	s_mul_i32 s2, s18, s0
	s_lshl_b64 s[2:3], s[2:3], 2
	s_add_u32 s2, s16, s2
	s_addc_u32 s3, s17, s3
	s_load_dword s16, s[2:3], 0x0
.LBB143_4:
	s_waitcnt lgkmcnt(0)
	v_cmp_eq_f32_e64 s17, s7, 0
	v_cmp_eq_f32_e64 s1, s16, 1.0
	s_and_b32 s1, s17, s1
	s_and_b32 vcc_lo, exec_lo, s1
	s_mov_b32 s1, 0
	s_cbranch_vccnz .LBB143_47
; %bb.5:
	v_cmp_neq_f32_e64 s24, s7, 0
	s_and_b32 vcc_lo, exec_lo, s24
	s_cbranch_vccnz .LBB143_9
; %bb.6:
	s_mov_b32 s19, 0
	s_mov_b32 s18, s0
	;; [unrolled: 1-line block ×3, first 2 shown]
	s_branch .LBB143_10
.LBB143_7:
	s_mul_i32 s2, s11, s0
	s_mul_hi_u32 s3, s10, s0
	s_add_i32 s3, s3, s2
	s_mul_i32 s2, s10, s0
	s_lshl_b64 s[2:3], s[2:3], 2
	s_add_u32 s2, s8, s2
	s_addc_u32 s3, s9, s3
	s_load_dword s7, s[2:3], 0x0
	s_load_dwordx4 s[16:19], s[4:5], 0x58
	s_cbranch_execnz .LBB143_2
.LBB143_8:
	s_waitcnt lgkmcnt(0)
	s_mov_b32 s7, s8
	s_andn2_b32 vcc_lo, exec_lo, s1
	s_cbranch_vccz .LBB143_3
	s_branch .LBB143_4
.LBB143_9:
	s_mov_b32 s2, -1
	s_mov_b64 s[18:19], s[0:1]
.LBB143_10:
	s_load_dwordx2 s[22:23], s[4:5], 0x68
	s_mov_b64 s[10:11], 0
	s_andn2_b32 vcc_lo, exec_lo, s2
	s_mov_b64 s[8:9], 0
	s_cbranch_vccnz .LBB143_12
; %bb.11:
	s_lshl_b64 s[0:1], s[0:1], 3
	s_add_u32 s0, s12, s0
	s_addc_u32 s1, s13, s1
	s_lshl_b64 s[2:3], s[14:15], 2
	s_load_dwordx2 s[0:1], s[0:1], 0x0
	s_waitcnt lgkmcnt(0)
	s_add_u32 s8, s0, s2
	s_addc_u32 s9, s1, s3
.LBB143_12:
	s_clause 0x1
	s_load_dwordx4 s[0:3], s[4:5], 0x38
	s_load_dwordx2 s[12:13], s[4:5], 0x48
	s_andn2_b32 vcc_lo, exec_lo, s24
	s_cbranch_vccnz .LBB143_14
; %bb.13:
	s_lshl_b64 s[10:11], s[18:19], 3
	s_waitcnt lgkmcnt(0)
	s_add_u32 s0, s0, s10
	s_addc_u32 s1, s1, s11
	s_lshl_b64 s[2:3], s[2:3], 2
	s_load_dwordx2 s[0:1], s[0:1], 0x0
	s_waitcnt lgkmcnt(0)
	s_add_u32 s10, s0, s2
	s_addc_u32 s11, s1, s3
.LBB143_14:
	s_lshl_b64 s[14:15], s[18:19], 3
	s_waitcnt lgkmcnt(0)
	s_load_dwordx4 s[0:3], s[4:5], 0x70
	s_add_u32 s4, s22, s14
	s_addc_u32 s5, s23, s15
	s_load_dwordx2 s[4:5], s[4:5], 0x0
	s_waitcnt lgkmcnt(0)
	s_lshl_b64 s[0:1], s[0:1], 2
	s_add_u32 s18, s4, s0
	s_addc_u32 s19, s5, s1
	s_lshl_b32 s4, s6, 5
	s_ashr_i32 s5, s4, 31
	s_mul_hi_u32 s0, s2, s4
	s_mul_i32 s1, s2, s5
	s_mul_i32 s6, s3, s4
	s_add_i32 s1, s0, s1
	s_mul_i32 s0, s2, s4
	s_add_i32 s1, s1, s6
	s_lshl_b64 s[14:15], s[0:1], 2
	v_cmp_eq_u32_e64 s0, 0, v1
	s_add_u32 s1, s18, s14
	s_addc_u32 s6, s19, s15
	s_andn2_b32 vcc_lo, exec_lo, s17
	s_mov_b32 s14, -1
	s_cbranch_vccnz .LBB143_18
; %bb.15:
	s_mov_b32 s14, 0
	s_and_saveexec_b32 s15, s0
	s_cbranch_execz .LBB143_17
; %bb.16:
	v_mad_u64_u32 v[2:3], null, s2, v0, 0
	v_mad_u64_u32 v[3:4], null, s3, v0, v[3:4]
	v_lshlrev_b64 v[2:3], 2, v[2:3]
	v_add_co_u32 v2, vcc_lo, s1, v2
	v_add_co_ci_u32_e64 v3, null, s6, v3, vcc_lo
	flat_load_dword v4, v[2:3]
	s_waitcnt vmcnt(0) lgkmcnt(0)
	v_mul_f32_e32 v4, s16, v4
	flat_store_dword v[2:3], v4
.LBB143_17:
	s_or_b32 exec_lo, exec_lo, s15
.LBB143_18:
	s_andn2_b32 vcc_lo, exec_lo, s14
	s_cbranch_vccnz .LBB143_47
; %bb.19:
	v_mov_b32_e32 v4, 0
	v_cmp_eq_u32_e64 s0, 0, v1
	s_and_saveexec_b32 s14, s0
	s_cbranch_execz .LBB143_23
; %bb.20:
	v_cmp_eq_f32_e64 s15, s16, 0
	v_mov_b32_e32 v4, 0
	s_and_b32 vcc_lo, exec_lo, s15
	s_cbranch_vccnz .LBB143_22
; %bb.21:
	v_mad_u64_u32 v[2:3], null, s2, v0, 0
	v_mad_u64_u32 v[3:4], null, s3, v0, v[3:4]
	v_lshlrev_b64 v[2:3], 2, v[2:3]
	v_add_co_u32 v2, vcc_lo, s1, v2
	v_add_co_ci_u32_e64 v3, null, s6, v3, vcc_lo
	flat_load_dword v2, v[2:3]
	s_waitcnt vmcnt(0) lgkmcnt(0)
	v_mul_f32_e32 v4, s16, v2
.LBB143_22:
	v_mad_u64_u32 v[2:3], null, s12, v0, 0
	s_mul_i32 s15, s12, s5
	s_mul_hi_u32 s17, s12, s4
	s_mul_i32 s12, s12, s4
	s_add_i32 s15, s17, s15
	v_mad_u64_u32 v[5:6], null, s13, v0, v[3:4]
	s_mul_i32 s13, s13, s4
	s_add_i32 s13, s15, s13
	s_lshl_b64 s[12:13], s[12:13], 2
	s_add_u32 s10, s10, s12
	v_mov_b32_e32 v3, v5
	s_addc_u32 s11, s11, s13
	v_lshlrev_b64 v[2:3], 2, v[2:3]
	v_add_co_u32 v2, vcc_lo, s10, v2
	v_add_co_ci_u32_e64 v3, null, s11, v3, vcc_lo
	flat_load_dword v2, v[2:3]
	v_lshlrev_b32_e32 v3, 2, v0
	s_waitcnt vmcnt(0) lgkmcnt(0)
	ds_write_b32 v3, v2 offset:5120
.LBB143_23:
	s_or_b32 exec_lo, exec_lo, s14
	v_mad_u64_u32 v[2:3], null, s20, v1, 0
	s_add_u32 s10, s20, 1
	s_addc_u32 s11, s21, 0
	s_mul_i32 s5, s10, s5
	s_mul_hi_u32 s12, s10, s4
	s_mul_i32 s11, s11, s4
	s_add_i32 s5, s12, s5
	v_mad_u64_u32 v[5:6], null, s21, v1, v[3:4]
	s_mul_i32 s4, s10, s4
	s_add_i32 s5, s5, s11
	s_lshl_b64 s[4:5], s[4:5], 2
	s_add_u32 s4, s8, s4
	v_mov_b32_e32 v3, v5
	v_lshlrev_b32_e32 v5, 2, v0
	s_addc_u32 s5, s9, s5
	s_mov_b32 s8, exec_lo
	v_lshlrev_b64 v[2:3], 2, v[2:3]
	v_add_co_u32 v2, vcc_lo, s4, v2
	v_add_co_ci_u32_e64 v3, null, s5, v3, vcc_lo
	s_lshl_b64 s[4:5], s[20:21], 4
	v_add_co_u32 v6, vcc_lo, v2, v5
	v_add_co_ci_u32_e64 v7, null, 0, v3, vcc_lo
	v_add_co_u32 v8, vcc_lo, v6, s4
	v_add_co_ci_u32_e64 v9, null, s5, v7, vcc_lo
	;; [unrolled: 2-line block ×4, first 2 shown]
	s_clause 0x3
	flat_load_dword v12, v[6:7]
	flat_load_dword v13, v[8:9]
	;; [unrolled: 1-line block ×4, first 2 shown]
	v_lshlrev_b32_e32 v6, 7, v1
	v_add_nc_u32_e32 v7, 0x200, v6
	v_add_nc_u32_e32 v14, 0x400, v6
	;; [unrolled: 1-line block ×7, first 2 shown]
	s_waitcnt vmcnt(3) lgkmcnt(3)
	ds_write_b32 v9, v12
	s_waitcnt vmcnt(2) lgkmcnt(3)
	ds_write_b32 v8, v13
	;; [unrolled: 2-line block ×4, first 2 shown]
	v_cmpx_lt_u32_e32 15, v0
	s_cbranch_execz .LBB143_25
; %bb.24:
	v_add_co_u32 v2, vcc_lo, v2, s4
	s_lshl_b64 s[10:11], s[20:21], 2
	v_add_co_ci_u32_e64 v3, null, s5, v3, vcc_lo
	s_lshl_b64 s[10:11], s[10:11], 2
	v_add_co_u32 v10, vcc_lo, v2, s10
	v_add_co_ci_u32_e64 v11, null, s11, v3, vcc_lo
	v_add_co_u32 v12, vcc_lo, v10, s4
	v_add_co_ci_u32_e64 v13, null, s5, v11, vcc_lo
	;; [unrolled: 2-line block ×3, first 2 shown]
	s_clause 0x3
	flat_load_dword v2, v[2:3]
	flat_load_dword v3, v[10:11]
	;; [unrolled: 1-line block ×4, first 2 shown]
	s_waitcnt vmcnt(2) lgkmcnt(2)
	ds_write2st64_b32 v9, v2, v3 offset0:8 offset1:10
	s_waitcnt vmcnt(0) lgkmcnt(1)
	ds_write2st64_b32 v9, v10, v11 offset0:12 offset1:14
.LBB143_25:
	s_or_b32 exec_lo, exec_lo, s8
	v_lshlrev_b32_e32 v10, 7, v0
	s_mov_b32 s4, exec_lo
	s_waitcnt lgkmcnt(0)
	s_waitcnt_vscnt null, 0x0
	s_barrier
	buffer_gl0_inv
	v_cmpx_ge_u32_e64 v0, v1
	s_xor_b32 s4, exec_lo, s4
; %bb.26:
	v_lshlrev_b32_e32 v10, 7, v0
; %bb.27:
	s_or_saveexec_b32 s4, s4
	v_lshlrev_b32_e32 v2, 5, v1
	v_lshlrev_b32_e32 v3, 2, v1
	s_xor_b32 exec_lo, exec_lo, s4
	s_cbranch_execz .LBB143_29
; %bb.28:
	v_mul_u32_u24_e32 v11, 0x7c, v0
	v_lshl_add_u32 v12, v2, 2, v5
	v_add3_u32 v11, v5, v11, v3
	ds_read_b32 v11, v11
	s_waitcnt lgkmcnt(0)
	ds_write_b32 v12, v11
.LBB143_29:
	s_or_b32 exec_lo, exec_lo, s4
	v_sub_nc_u32_e32 v11, v0, v1
	v_lshl_add_u32 v10, v1, 2, v10
	s_mov_b32 s4, exec_lo
	v_sub_nc_u32_e32 v12, 0, v11
	v_max_i32_e32 v11, v11, v12
	v_cmpx_gt_u32_e32 4, v11
	s_cbranch_execz .LBB143_31
; %bb.30:
	ds_read_b32 v12, v10 offset:16
	s_waitcnt lgkmcnt(0)
	ds_write_b32 v8, v12
.LBB143_31:
	s_or_b32 exec_lo, exec_lo, s4
	s_mov_b32 s4, exec_lo
	v_cmpx_gt_u32_e32 8, v11
	s_cbranch_execz .LBB143_33
; %bb.32:
	ds_read_b32 v12, v10 offset:32
	s_waitcnt lgkmcnt(0)
	ds_write_b32 v6, v12
.LBB143_33:
	s_or_b32 exec_lo, exec_lo, s4
	s_mov_b32 s4, exec_lo
	;; [unrolled: 9-line block ×3, first 2 shown]
	v_cmpx_gt_u32_e32 16, v11
	s_cbranch_execz .LBB143_37
; %bb.36:
	ds_read_b32 v12, v10 offset:64
	s_waitcnt lgkmcnt(0)
	ds_write_b32 v9, v12 offset:2048
.LBB143_37:
	s_or_b32 exec_lo, exec_lo, s4
	s_mov_b32 s4, exec_lo
	v_cmpx_gt_u32_e32 20, v11
	s_cbranch_execz .LBB143_39
; %bb.38:
	ds_read_b32 v12, v10 offset:80
	s_waitcnt lgkmcnt(0)
	ds_write_b32 v9, v12 offset:2560
.LBB143_39:
	s_or_b32 exec_lo, exec_lo, s4
	s_mov_b32 s4, exec_lo
	v_cmpx_gt_u32_e32 24, v11
	s_cbranch_execz .LBB143_41
; %bb.40:
	ds_read_b32 v12, v10 offset:96
	s_waitcnt lgkmcnt(0)
	ds_write_b32 v9, v12 offset:3072
.LBB143_41:
	s_or_b32 exec_lo, exec_lo, s4
	v_cmp_lt_u32_e32 vcc_lo, 27, v11
	v_add_nc_u32_e32 v11, 28, v1
                                        ; implicit-def: $vgpr12
	s_and_saveexec_b32 s4, vcc_lo
	s_xor_b32 s4, exec_lo, s4
; %bb.42:
	v_add_nc_u32_e32 v11, 28, v1
                                        ; implicit-def: $vgpr10
	v_lshlrev_b32_e32 v12, 7, v11
; %bb.43:
	s_andn2_saveexec_b32 s4, s4
	s_cbranch_execz .LBB143_45
; %bb.44:
	ds_read_b32 v10, v10 offset:112
	v_lshlrev_b32_e32 v12, 7, v11
	v_add_nc_u32_e32 v13, v5, v12
	s_waitcnt lgkmcnt(0)
	ds_write_b32 v13, v10
.LBB143_45:
	s_or_b32 exec_lo, exec_lo, s4
	v_add_nc_u32_e32 v10, 0x1400, v3
	s_waitcnt lgkmcnt(0)
	s_barrier
	buffer_gl0_inv
	v_lshl_add_u32 v1, v1, 7, v5
	ds_read2_b32 v[13:14], v10 offset1:4
	ds_read_b32 v15, v9
	ds_read_b32 v16, v8
	ds_read2_b32 v[8:9], v10 offset0:8 offset1:12
	ds_read_b32 v17, v6
	ds_read_b32 v18, v7
	v_add_nc_u32_e32 v12, v5, v12
	v_lshlrev_b32_e32 v19, 2, v11
	ds_read2st64_b32 v[6:7], v1 offset0:8 offset1:10
	ds_read2_b32 v[10:11], v10 offset0:16 offset1:20
	ds_read_b32 v1, v1 offset:3072
	ds_read_b32 v12, v12
	ds_read_b32 v19, v19 offset:5120
	ds_read_b32 v3, v3 offset:5216
	s_waitcnt lgkmcnt(10)
	v_fma_f32 v13, v15, v13, 0
	s_waitcnt lgkmcnt(9)
	v_fmac_f32_e32 v13, v16, v14
	s_waitcnt lgkmcnt(7)
	v_fmac_f32_e32 v13, v17, v8
	;; [unrolled: 2-line block ×4, first 2 shown]
	v_fmac_f32_e32 v13, v7, v11
	s_waitcnt lgkmcnt(0)
	v_fmac_f32_e32 v13, v1, v3
	v_add_lshl_u32 v1, v2, v0, 2
	v_fmac_f32_e32 v13, v12, v19
	ds_write_b32 v1, v13 offset:4096
	s_waitcnt lgkmcnt(0)
	s_barrier
	buffer_gl0_inv
	s_and_saveexec_b32 s4, s0
	s_cbranch_execz .LBB143_47
; %bb.46:
	v_add_nc_u32_e32 v3, 0x1000, v5
	v_mad_u64_u32 v[7:8], null, s2, v0, 0
	v_cmp_neq_f32_e64 vcc_lo, s16, 0
	ds_read2_b32 v[1:2], v3 offset1:32
	ds_read2_b32 v[5:6], v3 offset0:64 offset1:96
	s_waitcnt lgkmcnt(1)
	v_add_f32_e32 v3, 0, v1
	v_mov_b32_e32 v1, v8
	v_add_f32_e32 v2, v3, v2
	v_mad_u64_u32 v[0:1], null, s3, v0, v[1:2]
	s_waitcnt lgkmcnt(0)
	v_add_f32_e32 v1, v2, v5
	v_add_f32_e32 v1, v1, v6
	v_mov_b32_e32 v8, v0
	v_mul_f32_e32 v2, s7, v1
	v_fmac_f32_e32 v4, s7, v1
	v_lshlrev_b64 v[0:1], 2, v[7:8]
	v_cndmask_b32_e32 v2, v2, v4, vcc_lo
	v_add_co_u32 v0, vcc_lo, s1, v0
	v_add_co_ci_u32_e64 v1, null, s6, v1, vcc_lo
	flat_store_dword v[0:1], v2
.LBB143_47:
	s_endpgm
	.section	.rodata,"a",@progbits
	.p2align	6, 0x0
	.amdhsa_kernel _ZL50rocblas_symv_kernel_lower_double_buffered_diagonalILi32ELi4E24rocblas_internal_val_ptrIfEPKPKfPKPfEvbiT1_lT2_lllSA_lllS9_lT3_llli
		.amdhsa_group_segment_fixed_size 5248
		.amdhsa_private_segment_fixed_size 0
		.amdhsa_kernarg_size 140
		.amdhsa_user_sgpr_count 6
		.amdhsa_user_sgpr_private_segment_buffer 1
		.amdhsa_user_sgpr_dispatch_ptr 0
		.amdhsa_user_sgpr_queue_ptr 0
		.amdhsa_user_sgpr_kernarg_segment_ptr 1
		.amdhsa_user_sgpr_dispatch_id 0
		.amdhsa_user_sgpr_flat_scratch_init 0
		.amdhsa_user_sgpr_private_segment_size 0
		.amdhsa_wavefront_size32 1
		.amdhsa_uses_dynamic_stack 0
		.amdhsa_system_sgpr_private_segment_wavefront_offset 0
		.amdhsa_system_sgpr_workgroup_id_x 1
		.amdhsa_system_sgpr_workgroup_id_y 0
		.amdhsa_system_sgpr_workgroup_id_z 1
		.amdhsa_system_sgpr_workgroup_info 0
		.amdhsa_system_vgpr_workitem_id 1
		.amdhsa_next_free_vgpr 20
		.amdhsa_next_free_sgpr 25
		.amdhsa_reserve_vcc 1
		.amdhsa_reserve_flat_scratch 1
		.amdhsa_float_round_mode_32 0
		.amdhsa_float_round_mode_16_64 0
		.amdhsa_float_denorm_mode_32 3
		.amdhsa_float_denorm_mode_16_64 3
		.amdhsa_dx10_clamp 1
		.amdhsa_ieee_mode 1
		.amdhsa_fp16_overflow 0
		.amdhsa_workgroup_processor_mode 1
		.amdhsa_memory_ordered 1
		.amdhsa_forward_progress 1
		.amdhsa_shared_vgpr_count 0
		.amdhsa_exception_fp_ieee_invalid_op 0
		.amdhsa_exception_fp_denorm_src 0
		.amdhsa_exception_fp_ieee_div_zero 0
		.amdhsa_exception_fp_ieee_overflow 0
		.amdhsa_exception_fp_ieee_underflow 0
		.amdhsa_exception_fp_ieee_inexact 0
		.amdhsa_exception_int_div_zero 0
	.end_amdhsa_kernel
	.section	.text._ZL50rocblas_symv_kernel_lower_double_buffered_diagonalILi32ELi4E24rocblas_internal_val_ptrIfEPKPKfPKPfEvbiT1_lT2_lllSA_lllS9_lT3_llli,"axG",@progbits,_ZL50rocblas_symv_kernel_lower_double_buffered_diagonalILi32ELi4E24rocblas_internal_val_ptrIfEPKPKfPKPfEvbiT1_lT2_lllSA_lllS9_lT3_llli,comdat
.Lfunc_end143:
	.size	_ZL50rocblas_symv_kernel_lower_double_buffered_diagonalILi32ELi4E24rocblas_internal_val_ptrIfEPKPKfPKPfEvbiT1_lT2_lllSA_lllS9_lT3_llli, .Lfunc_end143-_ZL50rocblas_symv_kernel_lower_double_buffered_diagonalILi32ELi4E24rocblas_internal_val_ptrIfEPKPKfPKPfEvbiT1_lT2_lllSA_lllS9_lT3_llli
                                        ; -- End function
	.set _ZL50rocblas_symv_kernel_lower_double_buffered_diagonalILi32ELi4E24rocblas_internal_val_ptrIfEPKPKfPKPfEvbiT1_lT2_lllSA_lllS9_lT3_llli.num_vgpr, 20
	.set _ZL50rocblas_symv_kernel_lower_double_buffered_diagonalILi32ELi4E24rocblas_internal_val_ptrIfEPKPKfPKPfEvbiT1_lT2_lllSA_lllS9_lT3_llli.num_agpr, 0
	.set _ZL50rocblas_symv_kernel_lower_double_buffered_diagonalILi32ELi4E24rocblas_internal_val_ptrIfEPKPKfPKPfEvbiT1_lT2_lllSA_lllS9_lT3_llli.numbered_sgpr, 25
	.set _ZL50rocblas_symv_kernel_lower_double_buffered_diagonalILi32ELi4E24rocblas_internal_val_ptrIfEPKPKfPKPfEvbiT1_lT2_lllSA_lllS9_lT3_llli.num_named_barrier, 0
	.set _ZL50rocblas_symv_kernel_lower_double_buffered_diagonalILi32ELi4E24rocblas_internal_val_ptrIfEPKPKfPKPfEvbiT1_lT2_lllSA_lllS9_lT3_llli.private_seg_size, 0
	.set _ZL50rocblas_symv_kernel_lower_double_buffered_diagonalILi32ELi4E24rocblas_internal_val_ptrIfEPKPKfPKPfEvbiT1_lT2_lllSA_lllS9_lT3_llli.uses_vcc, 1
	.set _ZL50rocblas_symv_kernel_lower_double_buffered_diagonalILi32ELi4E24rocblas_internal_val_ptrIfEPKPKfPKPfEvbiT1_lT2_lllSA_lllS9_lT3_llli.uses_flat_scratch, 1
	.set _ZL50rocblas_symv_kernel_lower_double_buffered_diagonalILi32ELi4E24rocblas_internal_val_ptrIfEPKPKfPKPfEvbiT1_lT2_lllSA_lllS9_lT3_llli.has_dyn_sized_stack, 0
	.set _ZL50rocblas_symv_kernel_lower_double_buffered_diagonalILi32ELi4E24rocblas_internal_val_ptrIfEPKPKfPKPfEvbiT1_lT2_lllSA_lllS9_lT3_llli.has_recursion, 0
	.set _ZL50rocblas_symv_kernel_lower_double_buffered_diagonalILi32ELi4E24rocblas_internal_val_ptrIfEPKPKfPKPfEvbiT1_lT2_lllSA_lllS9_lT3_llli.has_indirect_call, 0
	.section	.AMDGPU.csdata,"",@progbits
; Kernel info:
; codeLenInByte = 2012
; TotalNumSgprs: 27
; NumVgprs: 20
; ScratchSize: 0
; MemoryBound: 0
; FloatMode: 240
; IeeeMode: 1
; LDSByteSize: 5248 bytes/workgroup (compile time only)
; SGPRBlocks: 0
; VGPRBlocks: 2
; NumSGPRsForWavesPerEU: 27
; NumVGPRsForWavesPerEU: 20
; Occupancy: 16
; WaveLimiterHint : 1
; COMPUTE_PGM_RSRC2:SCRATCH_EN: 0
; COMPUTE_PGM_RSRC2:USER_SGPR: 6
; COMPUTE_PGM_RSRC2:TRAP_HANDLER: 0
; COMPUTE_PGM_RSRC2:TGID_X_EN: 1
; COMPUTE_PGM_RSRC2:TGID_Y_EN: 0
; COMPUTE_PGM_RSRC2:TGID_Z_EN: 1
; COMPUTE_PGM_RSRC2:TIDIG_COMP_CNT: 1
	.section	.text._ZL54rocblas_symv_kernel_lower_double_buffered_non_diagonalILi32ELi4ELi4E24rocblas_internal_val_ptrIfEPKPKfPKPfEvbiT2_lT3_lllSA_lllT4_llli,"axG",@progbits,_ZL54rocblas_symv_kernel_lower_double_buffered_non_diagonalILi32ELi4ELi4E24rocblas_internal_val_ptrIfEPKPKfPKPfEvbiT2_lT3_lllSA_lllT4_llli,comdat
	.globl	_ZL54rocblas_symv_kernel_lower_double_buffered_non_diagonalILi32ELi4ELi4E24rocblas_internal_val_ptrIfEPKPKfPKPfEvbiT2_lT3_lllSA_lllT4_llli ; -- Begin function _ZL54rocblas_symv_kernel_lower_double_buffered_non_diagonalILi32ELi4ELi4E24rocblas_internal_val_ptrIfEPKPKfPKPfEvbiT2_lT3_lllSA_lllT4_llli
	.p2align	8
	.type	_ZL54rocblas_symv_kernel_lower_double_buffered_non_diagonalILi32ELi4ELi4E24rocblas_internal_val_ptrIfEPKPKfPKPfEvbiT2_lT3_lllSA_lllT4_llli,@function
_ZL54rocblas_symv_kernel_lower_double_buffered_non_diagonalILi32ELi4ELi4E24rocblas_internal_val_ptrIfEPKPKfPKPfEvbiT2_lT3_lllSA_lllT4_llli: ; @_ZL54rocblas_symv_kernel_lower_double_buffered_non_diagonalILi32ELi4ELi4E24rocblas_internal_val_ptrIfEPKPKfPKPfEvbiT2_lT3_lllSA_lllT4_llli
; %bb.0:
	s_clause 0x2
	s_load_dword s0, s[4:5], 0x0
	s_load_dwordx8 s[12:19], s[4:5], 0x8
	s_load_dwordx2 s[10:11], s[4:5], 0x28
	s_waitcnt lgkmcnt(0)
	s_bitcmp0_b32 s0, 0
	s_mov_b32 s0, 0
	s_cbranch_scc0 .LBB144_2
; %bb.1:
	s_mul_i32 s1, s15, s8
	s_mul_hi_u32 s2, s14, s8
	s_add_i32 s3, s2, s1
	s_mul_i32 s2, s14, s8
	s_lshl_b64 s[2:3], s[2:3], 2
	s_add_u32 s2, s12, s2
	s_addc_u32 s3, s13, s3
	s_load_dword s20, s[2:3], 0x0
	s_andn2_b32 vcc_lo, exec_lo, s0
	s_cbranch_vccz .LBB144_3
	s_branch .LBB144_4
.LBB144_2:
                                        ; implicit-def: $sgpr20
.LBB144_3:
	s_waitcnt lgkmcnt(0)
	s_mov_b32 s20, s12
.LBB144_4:
	s_waitcnt lgkmcnt(0)
	v_cmp_eq_f32_e64 s0, s20, 0
	s_and_b32 vcc_lo, exec_lo, s0
	s_cbranch_vccnz .LBB144_29
; %bb.5:
	s_load_dwordx2 s[0:1], s[4:5], 0x80
	s_waitcnt lgkmcnt(0)
	v_cvt_f32_u32_e32 v2, s1
	s_add_i32 s2, s0, -1
	s_cmp_eq_u32 s6, s2
	v_rcp_iflag_f32_e32 v2, v2
	v_mul_f32_e32 v2, 0x4f7ffffe, v2
	v_cvt_u32_f32_e32 v2, v2
	v_readfirstlane_b32 s3, v2
	s_cbranch_scc1 .LBB144_29
; %bb.6:
	s_clause 0x1
	s_load_dwordx4 s[24:27], s[4:5], 0x38
	s_load_dwordx2 s[12:13], s[4:5], 0x58
	s_sub_i32 s21, 0, s1
	s_not_b32 s2, s6
	s_mul_i32 s21, s21, s3
	s_mov_b32 s9, 0
	s_add_i32 s2, s0, s2
	s_mul_hi_u32 s0, s3, s21
	s_lshl_b64 s[22:23], s[8:9], 3
	s_add_i32 s3, s3, s0
	s_add_u32 s8, s16, s22
	s_addc_u32 s9, s17, s23
	s_load_dwordx2 s[14:15], s[4:5], 0x48
	v_cmp_eq_u32_e32 vcc_lo, 0, v1
	s_mul_hi_u32 s3, s2, s3
	s_waitcnt lgkmcnt(0)
	s_add_u32 s16, s24, s22
	s_addc_u32 s17, s25, s23
	s_add_u32 s12, s12, s22
	s_load_dwordx2 s[16:17], s[16:17], 0x0
	s_addc_u32 s13, s13, s23
	s_lshl_b64 s[22:23], s[26:27], 2
	s_waitcnt lgkmcnt(0)
	s_add_u32 s0, s16, s22
	s_addc_u32 s22, s17, s23
	s_lshl_b32 s23, s6, 5
	s_ashr_i32 s24, s23, 31
	s_mul_hi_u32 s6, s14, s23
	s_mul_i32 s16, s14, s24
	s_mul_i32 s17, s15, s23
	s_add_i32 s6, s6, s16
	s_mul_i32 s16, s14, s23
	s_add_i32 s17, s6, s17
	s_lshl_b64 s[16:17], s[16:17], 2
	s_add_u32 s21, s0, s16
	s_addc_u32 s6, s22, s17
	s_and_saveexec_b32 s16, vcc_lo
	s_cbranch_execz .LBB144_8
; %bb.7:
	v_mad_u64_u32 v[2:3], null, s14, v0, 0
	v_mad_u64_u32 v[3:4], null, s15, v0, v[3:4]
	v_lshlrev_b64 v[2:3], 2, v[2:3]
	v_add_co_u32 v2, s0, s21, v2
	v_add_co_ci_u32_e64 v3, null, s6, v3, s0
	flat_load_dword v2, v[2:3]
	v_lshlrev_b32_e32 v3, 2, v0
	s_waitcnt vmcnt(0) lgkmcnt(0)
	ds_write_b32 v3, v2 offset:3072
.LBB144_8:
	s_or_b32 exec_lo, exec_lo, s16
	s_mul_i32 s0, s3, s1
	s_add_i32 s16, s3, 1
	s_sub_i32 s0, s2, s0
	s_sub_i32 s17, s0, s1
	s_cmp_ge_u32 s0, s1
	s_cselect_b32 s3, s16, s3
	s_cselect_b32 s0, s17, s0
	s_add_i32 s16, s3, 1
	s_cmp_ge_u32 s0, s1
	s_cselect_b32 s25, s16, s3
	s_add_i32 s0, s1, -1
	s_mov_b32 s22, s25
	s_cmp_lg_u32 s7, s0
	s_cbranch_scc1 .LBB144_10
; %bb.9:
	s_mul_i32 s0, s25, s1
	s_sub_i32 s0, s2, s0
	s_add_i32 s22, s0, s25
.LBB144_10:
	s_cmp_eq_u32 s22, 0
	s_cbranch_scc1 .LBB144_29
; %bb.11:
	s_load_dwordx4 s[0:3], s[4:5], 0x60
	s_load_dwordx2 s[4:5], s[12:13], 0x0
	v_lshl_add_u32 v2, v1, 5, v0
	v_and_b32_e32 v1, 15, v0
	s_waitcnt lgkmcnt(0)
	s_barrier
	buffer_gl0_inv
	v_lshrrev_b32_e32 v17, 4, v2
	s_lshl_b64 s[0:1], s[0:1], 2
	s_mul_i32 s12, s2, s24
	s_mul_hi_u32 s13, s2, s23
	s_add_u32 s4, s4, s0
	s_mul_i32 s16, s3, s23
	s_addc_u32 s5, s5, s1
	s_add_i32 s1, s13, s12
	s_mul_i32 s0, s2, s23
	s_add_i32 s1, s1, s16
	s_lshl_b64 s[0:1], s[0:1], 2
	s_add_u32 s16, s4, s0
	s_addc_u32 s17, s5, s1
	s_cmp_lt_i32 s22, 1
	s_cbranch_scc1 .LBB144_20
; %bb.12:
	s_load_dwordx2 s[0:1], s[8:9], 0x0
	v_lshlrev_b32_e32 v5, 2, v17
	v_mov_b32_e32 v2, 0
	s_mul_i32 s7, s7, s25
	s_lshl_b64 s[4:5], s[18:19], 2
	s_lshl_b32 s26, s7, 5
	v_lshl_or_b32 v15, v1, 2, 0x800
	v_mad_u64_u32 v[3:4], null, s10, v5, v[1:2]
	s_ashr_i32 s27, s26, 31
	s_mul_hi_u32 s18, s14, s26
	v_lshlrev_b32_e32 v16, 7, v17
	v_lshl_add_u32 v23, v17, 4, 0xc00
	v_lshl_or_b32 v21, v0, 2, 0x800
	v_mad_u64_u32 v[4:5], null, s11, v5, v[4:5]
	v_add_nc_u32_e32 v22, v15, v16
	s_waitcnt lgkmcnt(0)
	s_add_u32 s4, s0, s4
	s_addc_u32 s5, s1, s5
	s_add_u32 s0, s10, 1
	s_addc_u32 s1, s11, 0
	s_mul_i32 s7, s0, s24
	s_mul_hi_u32 s8, s0, s23
	s_mul_i32 s1, s1, s23
	s_add_i32 s7, s8, s7
	s_mul_i32 s0, s0, s23
	s_add_i32 s1, s7, s1
	v_lshlrev_b64 v[5:6], 2, v[3:4]
	s_lshl_b64 s[0:1], s[0:1], 2
	s_mul_i32 s7, s14, s27
	s_add_u32 s4, s4, s0
	s_addc_u32 s5, s5, s1
	s_lshl_b64 s[0:1], s[26:27], 2
	s_add_u32 s8, s4, s0
	s_addc_u32 s9, s5, s1
	v_add_co_u32 v3, s0, s8, v5
	v_add_co_ci_u32_e64 v4, null, s9, v6, s0
	s_lshl_b64 s[4:5], s[10:11], 2
	s_mul_hi_u32 s1, s2, s26
	v_add_co_u32 v7, s0, v3, s4
	v_add_co_ci_u32_e64 v8, null, s5, v4, s0
	s_lshl_b64 s[12:13], s[14:15], 7
	v_add_co_u32 v9, s0, v7, s4
	v_add_co_ci_u32_e64 v10, null, s5, v8, s0
	v_add_co_u32 v11, s0, v9, s4
	v_add_co_ci_u32_e64 v12, null, s5, v10, s0
	s_clause 0x3
	flat_load_dword v24, v[3:4] offset:128
	flat_load_dword v25, v[7:8] offset:128
	;; [unrolled: 1-line block ×4, first 2 shown]
	v_or_b32_e32 v12, 16, v1
	v_mad_u64_u32 v[9:10], null, s14, v1, 0
	v_mad_u64_u32 v[3:4], null, s2, v0, 0
	;; [unrolled: 1-line block ×3, first 2 shown]
	s_mul_i32 s0, s2, s27
	v_mov_b32_e32 v7, v10
	s_add_i32 s0, s1, s0
	s_mul_i32 s1, s3, s26
	v_mov_b32_e32 v8, v14
	s_add_i32 s1, s0, s1
	s_mul_i32 s0, s2, s26
	s_lshl_b64 s[0:1], s[0:1], 2
	v_mad_u64_u32 v[10:11], null, s15, v1, v[7:8]
	v_mad_u64_u32 v[7:8], null, s15, v12, v[8:9]
	;; [unrolled: 1-line block ×3, first 2 shown]
	s_add_u32 s0, s16, s0
	s_addc_u32 s1, s17, s1
	s_add_i32 s7, s18, s7
	s_mul_i32 s18, s15, s26
	v_mov_b32_e32 v14, v7
	s_add_i32 s19, s7, s18
	s_mul_i32 s18, s14, s26
	v_mov_b32_e32 v4, v11
	s_lshl_b64 s[18:19], s[18:19], 2
	v_lshlrev_b64 v[11:12], 2, v[9:10]
	v_lshlrev_b64 v[9:10], 2, v[13:14]
	s_add_u32 s15, s21, s18
	s_addc_u32 s14, s6, s19
	s_lshl_b64 s[6:7], s[2:3], 7
	s_cmp_eq_u32 s22, 1
	s_cbranch_scc1 .LBB144_21
; %bb.13:
	v_mov_b32_e32 v18, 0
	s_add_u32 s8, s8, 0x80
	v_mov_b32_e32 v8, s1
	s_addc_u32 s9, s9, 0
	s_lshl_b64 s[10:11], s[10:11], 3
	v_mov_b32_e32 v7, s0
	v_mov_b32_e32 v20, 0
	;; [unrolled: 1-line block ×4, first 2 shown]
	s_add_i32 s18, s22, -2
	s_sub_u32 s10, 0, s10
	s_subb_u32 s11, 0, s11
	s_mov_b32 s19, 0
.LBB144_14:                             ; =>This Loop Header: Depth=1
                                        ;     Child Loop BB144_16 Depth 2
	v_add_co_u32 v13, s0, s8, v5
	s_add_u32 s15, s15, s12
	v_add_co_ci_u32_e64 v14, null, s9, v6, s0
	s_addc_u32 s14, s14, s13
	v_add_co_u32 v15, s0, s15, v11
	v_add_co_ci_u32_e64 v16, null, s14, v12, s0
	v_add_co_u32 v28, s0, v13, s4
	v_add_co_ci_u32_e64 v29, null, s5, v14, s0
	;; [unrolled: 2-line block ×4, first 2 shown]
	s_clause 0x1
	flat_load_dword v32, v[13:14] offset:64
	flat_load_dword v33, v[28:29] offset:64
	v_add_co_u32 v36, s0, v34, s4
	v_add_co_ci_u32_e64 v37, null, s5, v35, s0
	flat_load_dword v34, v[34:35] offset:64
	v_add_co_u32 v28, s0, v36, s10
	v_add_co_ci_u32_e64 v29, null, s11, v37, s0
	;; [unrolled: 3-line block ×3, first 2 shown]
	v_add_co_u32 v40, s0, v38, s4
	v_add_co_ci_u32_e64 v41, null, s5, v39, s0
	s_clause 0x1
	flat_load_dword v37, v[15:16]
	flat_load_dword v36, v[30:31]
	s_clause 0x3
	flat_load_dword v30, v[28:29] offset:128
	flat_load_dword v29, v[38:39] offset:128
	;; [unrolled: 1-line block ×4, first 2 shown]
	ds_read_b128 v[13:16], v23
	s_waitcnt vmcnt(0) lgkmcnt(0)
	s_barrier
	buffer_gl0_inv
	v_fma_f32 v38, v24, v13, 0
	v_fmac_f32_e32 v38, v25, v14
	v_fmac_f32_e32 v38, v26, v15
	;; [unrolled: 1-line block ×3, first 2 shown]
	v_fma_f32 v13, v32, v13, 0
	v_fmac_f32_e32 v13, v33, v14
	v_fmac_f32_e32 v13, v34, v15
	;; [unrolled: 1-line block ×3, first 2 shown]
	ds_write2_b32 v22, v38, v13 offset1:16
	s_waitcnt lgkmcnt(0)
	s_barrier
	buffer_gl0_inv
	s_and_saveexec_b32 s1, vcc_lo
	s_cbranch_execz .LBB144_18
; %bb.15:                               ;   in Loop: Header=BB144_14 Depth=1
	v_lshlrev_b64 v[13:14], 2, v[3:4]
	v_add_co_u32 v7, s0, v7, s6
	v_add_co_ci_u32_e64 v8, null, s7, v8, s0
	s_mov_b32 s21, 0
	v_add_co_u32 v13, s0, v7, v13
	v_add_co_ci_u32_e64 v14, null, v8, v14, s0
	flat_load_dword v16, v[13:14]
	ds_read2_b32 v[38:39], v21 offset1:32
	ds_read2_b32 v[40:41], v21 offset0:64 offset1:96
	ds_read2_b32 v[42:43], v21 offset0:128 offset1:160
	s_waitcnt lgkmcnt(2)
	v_add_f32_e32 v15, 0, v38
	v_add_f32_e32 v15, v15, v39
	ds_read2_b32 v[38:39], v21 offset0:192 offset1:224
	s_waitcnt lgkmcnt(2)
	v_add_f32_e32 v15, v15, v40
	v_add_f32_e32 v15, v15, v41
	s_waitcnt lgkmcnt(1)
	v_add_f32_e32 v15, v15, v42
	v_add_f32_e32 v15, v15, v43
	;; [unrolled: 3-line block ×3, first 2 shown]
	v_mul_f32_e32 v38, s20, v15
.LBB144_16:                             ;   Parent Loop BB144_14 Depth=1
                                        ; =>  This Inner Loop Header: Depth=2
	s_waitcnt vmcnt(0)
	v_add_f32_e32 v15, v16, v38
	flat_atomic_cmpswap v15, v[13:14], v[15:16] glc
	s_waitcnt vmcnt(0) lgkmcnt(0)
	v_cmp_eq_u32_e64 s0, v15, v16
	v_mov_b32_e32 v16, v15
	s_or_b32 s21, s0, s21
	s_andn2_b32 exec_lo, exec_lo, s21
	s_cbranch_execnz .LBB144_16
; %bb.17:                               ;   in Loop: Header=BB144_14 Depth=1
	s_or_b32 exec_lo, exec_lo, s21
.LBB144_18:                             ;   in Loop: Header=BB144_14 Depth=1
	s_or_b32 exec_lo, exec_lo, s1
	v_fmac_f32_e32 v18, v37, v24
	v_fmac_f32_e32 v20, v37, v25
	;; [unrolled: 1-line block ×4, first 2 shown]
	s_add_u32 s0, s8, 0x80
	v_fmac_f32_e32 v18, v36, v32
	v_fmac_f32_e32 v20, v36, v33
	;; [unrolled: 1-line block ×4, first 2 shown]
	s_addc_u32 s1, s9, 0
	s_add_i32 s21, s19, 1
	s_cmp_eq_u32 s19, s18
	s_cbranch_scc1 .LBB144_22
; %bb.19:                               ;   in Loop: Header=BB144_14 Depth=1
	v_mov_b32_e32 v24, v31
	v_mov_b32_e32 v25, v30
	;; [unrolled: 1-line block ×4, first 2 shown]
	s_mov_b32 s19, s21
	s_mov_b64 s[8:9], s[0:1]
	s_branch .LBB144_14
.LBB144_20:
	v_mov_b32_e32 v2, 0
	v_mov_b32_e32 v19, v2
	;; [unrolled: 1-line block ×4, first 2 shown]
	s_branch .LBB144_26
.LBB144_21:
	v_mov_b32_e32 v8, s1
	v_mov_b32_e32 v7, s0
	s_waitcnt vmcnt(0) lgkmcnt(0)
	v_mov_b32_e32 v28, v27
	v_mov_b32_e32 v29, v26
	;; [unrolled: 1-line block ×7, first 2 shown]
.LBB144_22:
	v_add_co_u32 v5, s0, s8, v5
	v_add_co_ci_u32_e64 v6, null, s9, v6, s0
	s_add_u32 s1, s15, s12
	v_add_co_u32 v14, s0, v5, s4
	v_add_co_ci_u32_e64 v15, null, s5, v6, s0
	flat_load_dword v13, v[5:6] offset:192
	v_add_co_u32 v5, s0, v14, s4
	v_add_co_ci_u32_e64 v6, null, s5, v15, s0
	s_addc_u32 s8, s14, s13
	v_add_co_u32 v24, s0, s1, v11
	v_add_co_ci_u32_e64 v25, null, s8, v12, s0
	s_clause 0x1
	flat_load_dword v11, v[14:15] offset:192
	flat_load_dword v12, v[5:6] offset:192
	v_add_co_u32 v5, s0, v5, s4
	v_add_co_ci_u32_e64 v6, null, s5, v6, s0
	flat_load_dword v15, v[24:25]
	flat_load_dword v14, v[5:6] offset:192
	v_add_co_u32 v5, s0, s1, v9
	v_add_co_ci_u32_e64 v6, null, s8, v10, s0
	ds_read_b128 v[23:26], v23
	flat_load_dword v9, v[5:6]
	s_waitcnt vmcnt(0) lgkmcnt(0)
	s_barrier
	buffer_gl0_inv
	v_fma_f32 v5, v31, v23, 0
	v_fmac_f32_e32 v5, v30, v24
	v_fmac_f32_e32 v5, v29, v25
	;; [unrolled: 1-line block ×3, first 2 shown]
	v_fma_f32 v6, v13, v23, 0
	v_fmac_f32_e32 v6, v11, v24
	v_fmac_f32_e32 v6, v12, v25
	v_fmac_f32_e32 v18, v15, v31
	v_fmac_f32_e32 v20, v15, v30
	v_fmac_f32_e32 v19, v15, v29
	v_fmac_f32_e32 v6, v14, v26
	v_fmac_f32_e32 v2, v15, v28
	ds_write2_b32 v22, v5, v6 offset1:16
	s_waitcnt lgkmcnt(0)
	s_barrier
	buffer_gl0_inv
	s_and_saveexec_b32 s1, vcc_lo
	s_cbranch_execz .LBB144_25
; %bb.23:
	v_lshlrev_b64 v[3:4], 2, v[3:4]
	v_add_co_u32 v5, s0, v7, s6
	v_add_co_ci_u32_e64 v6, null, s7, v8, s0
	s_mov_b32 s4, 0
	v_add_co_u32 v3, s0, v5, v3
	v_add_co_ci_u32_e64 v4, null, v6, v4, s0
	flat_load_dword v6, v[3:4]
	ds_read2_b32 v[7:8], v21 offset1:32
	ds_read2_b32 v[15:16], v21 offset0:64 offset1:96
	ds_read2_b32 v[22:23], v21 offset0:128 offset1:160
	s_waitcnt lgkmcnt(2)
	v_add_f32_e32 v5, 0, v7
	v_add_f32_e32 v5, v5, v8
	ds_read2_b32 v[7:8], v21 offset0:192 offset1:224
	s_waitcnt lgkmcnt(2)
	v_add_f32_e32 v5, v5, v15
	v_add_f32_e32 v5, v5, v16
	s_waitcnt lgkmcnt(1)
	v_add_f32_e32 v5, v5, v22
	v_add_f32_e32 v5, v5, v23
	;; [unrolled: 3-line block ×3, first 2 shown]
	v_mul_f32_e32 v7, s20, v5
.LBB144_24:                             ; =>This Inner Loop Header: Depth=1
	s_waitcnt vmcnt(0)
	v_add_f32_e32 v5, v6, v7
	flat_atomic_cmpswap v5, v[3:4], v[5:6] glc
	s_waitcnt vmcnt(0) lgkmcnt(0)
	v_cmp_eq_u32_e64 s0, v5, v6
	v_mov_b32_e32 v6, v5
	s_or_b32 s4, s0, s4
	s_andn2_b32 exec_lo, exec_lo, s4
	s_cbranch_execnz .LBB144_24
.LBB144_25:
	s_or_b32 exec_lo, exec_lo, s1
	v_fmac_f32_e32 v18, v9, v13
	v_fmac_f32_e32 v20, v9, v11
	;; [unrolled: 1-line block ×4, first 2 shown]
.LBB144_26:
	v_lshlrev_b32_e32 v3, 8, v17
	v_lshl_or_b32 v3, v1, 2, v3
	ds_write2_b32 v3, v18, v20 offset1:16
	ds_write2_b32 v3, v19, v2 offset0:32 offset1:48
	s_waitcnt lgkmcnt(0)
	s_barrier
	buffer_gl0_inv
	s_and_saveexec_b32 s0, vcc_lo
	s_cbranch_execz .LBB144_29
; %bb.27:
	v_mad_u64_u32 v[2:3], null, s2, v0, 0
	v_add_nc_u32_e32 v6, 2, v0
	v_lshlrev_b32_e32 v7, 6, v0
	v_add_nc_u32_e32 v9, 3, v0
	v_add_nc_u32_e32 v10, 4, v0
	;; [unrolled: 1-line block ×3, first 2 shown]
	v_and_b32_e32 v6, 15, v6
	v_mad_u64_u32 v[3:4], null, s3, v0, v[3:4]
	v_add_nc_u32_e32 v4, 1, v0
	v_lshl_or_b32 v8, v1, 2, v7
	v_lshl_or_b32 v6, v6, 2, v7
	v_add_nc_u32_e32 v12, 6, v0
	v_add_nc_u32_e32 v13, 7, v0
	v_and_b32_e32 v4, 15, v4
	v_lshlrev_b64 v[2:3], 2, v[2:3]
	v_and_b32_e32 v9, 15, v9
	v_and_b32_e32 v10, 15, v10
	;; [unrolled: 1-line block ×3, first 2 shown]
	v_lshl_or_b32 v4, v4, 2, v7
	v_and_b32_e32 v12, 15, v12
	v_add_co_u32 v2, vcc_lo, s16, v2
	v_add_co_ci_u32_e64 v3, null, s17, v3, vcc_lo
	v_and_b32_e32 v13, 15, v13
	v_lshl_or_b32 v9, v9, 2, v7
	v_lshl_or_b32 v10, v10, 2, v7
	flat_load_dword v5, v[2:3]
	ds_read_b32 v8, v8
	ds_read_b32 v4, v4
	;; [unrolled: 1-line block ×3, first 2 shown]
	v_lshl_or_b32 v11, v11, 2, v7
	v_lshl_or_b32 v12, v12, 2, v7
	;; [unrolled: 1-line block ×3, first 2 shown]
	ds_read_b32 v9, v9
	ds_read_b32 v10, v10
	;; [unrolled: 1-line block ×5, first 2 shown]
	v_xor_b32_e32 v1, 8, v1
	s_mov_b32 s0, 0
	v_lshl_or_b32 v1, v1, 2, v7
	s_waitcnt lgkmcnt(7)
	v_add_f32_e32 v8, 0, v8
	s_waitcnt lgkmcnt(6)
	v_add_f32_e32 v4, v8, v4
	v_add_nc_u32_e32 v8, 10, v0
	s_waitcnt lgkmcnt(5)
	v_add_f32_e32 v4, v4, v6
	v_add_nc_u32_e32 v6, 9, v0
	v_and_b32_e32 v8, 15, v8
	s_waitcnt lgkmcnt(4)
	v_add_f32_e32 v4, v4, v9
	v_and_b32_e32 v6, 15, v6
	v_lshl_or_b32 v8, v8, 2, v7
	v_add_nc_u32_e32 v9, 11, v0
	s_waitcnt lgkmcnt(3)
	v_add_f32_e32 v4, v4, v10
	v_lshl_or_b32 v6, v6, 2, v7
	v_add_nc_u32_e32 v10, 12, v0
	ds_read_b32 v1, v1
	ds_read_b32 v6, v6
	;; [unrolled: 1-line block ×3, first 2 shown]
	s_waitcnt lgkmcnt(5)
	v_add_f32_e32 v4, v4, v11
	v_add_nc_u32_e32 v11, 13, v0
	v_and_b32_e32 v9, 15, v9
	v_and_b32_e32 v10, 15, v10
	s_waitcnt lgkmcnt(4)
	v_add_f32_e32 v4, v4, v12
	v_add_nc_u32_e32 v12, 14, v0
	v_add_nc_u32_e32 v0, -1, v0
	v_and_b32_e32 v11, 15, v11
	v_lshl_or_b32 v9, v9, 2, v7
	s_waitcnt lgkmcnt(3)
	v_add_f32_e32 v4, v4, v13
	v_and_b32_e32 v12, 15, v12
	v_and_b32_e32 v0, 15, v0
	v_lshl_or_b32 v10, v10, 2, v7
	v_lshl_or_b32 v11, v11, 2, v7
	;; [unrolled: 1-line block ×4, first 2 shown]
	ds_read_b32 v7, v9
	ds_read_b32 v9, v10
	;; [unrolled: 1-line block ×5, first 2 shown]
	s_waitcnt lgkmcnt(7)
	v_add_f32_e32 v1, v4, v1
	s_waitcnt lgkmcnt(6)
	v_add_f32_e32 v1, v1, v6
	;; [unrolled: 2-line block ×8, first 2 shown]
	v_mul_f32_e32 v0, s20, v0
.LBB144_28:                             ; =>This Inner Loop Header: Depth=1
	s_waitcnt vmcnt(0)
	v_add_f32_e32 v4, v5, v0
	flat_atomic_cmpswap v1, v[2:3], v[4:5] glc
	s_waitcnt vmcnt(0) lgkmcnt(0)
	v_cmp_eq_u32_e32 vcc_lo, v1, v5
	v_mov_b32_e32 v5, v1
	s_or_b32 s0, vcc_lo, s0
	s_andn2_b32 exec_lo, exec_lo, s0
	s_cbranch_execnz .LBB144_28
.LBB144_29:
	s_endpgm
	.section	.rodata,"a",@progbits
	.p2align	6, 0x0
	.amdhsa_kernel _ZL54rocblas_symv_kernel_lower_double_buffered_non_diagonalILi32ELi4ELi4E24rocblas_internal_val_ptrIfEPKPKfPKPfEvbiT2_lT3_lllSA_lllT4_llli
		.amdhsa_group_segment_fixed_size 3200
		.amdhsa_private_segment_fixed_size 0
		.amdhsa_kernarg_size 384
		.amdhsa_user_sgpr_count 6
		.amdhsa_user_sgpr_private_segment_buffer 1
		.amdhsa_user_sgpr_dispatch_ptr 0
		.amdhsa_user_sgpr_queue_ptr 0
		.amdhsa_user_sgpr_kernarg_segment_ptr 1
		.amdhsa_user_sgpr_dispatch_id 0
		.amdhsa_user_sgpr_flat_scratch_init 0
		.amdhsa_user_sgpr_private_segment_size 0
		.amdhsa_wavefront_size32 1
		.amdhsa_uses_dynamic_stack 0
		.amdhsa_system_sgpr_private_segment_wavefront_offset 0
		.amdhsa_system_sgpr_workgroup_id_x 1
		.amdhsa_system_sgpr_workgroup_id_y 1
		.amdhsa_system_sgpr_workgroup_id_z 1
		.amdhsa_system_sgpr_workgroup_info 0
		.amdhsa_system_vgpr_workitem_id 1
		.amdhsa_next_free_vgpr 44
		.amdhsa_next_free_sgpr 28
		.amdhsa_reserve_vcc 1
		.amdhsa_reserve_flat_scratch 1
		.amdhsa_float_round_mode_32 0
		.amdhsa_float_round_mode_16_64 0
		.amdhsa_float_denorm_mode_32 3
		.amdhsa_float_denorm_mode_16_64 3
		.amdhsa_dx10_clamp 1
		.amdhsa_ieee_mode 1
		.amdhsa_fp16_overflow 0
		.amdhsa_workgroup_processor_mode 1
		.amdhsa_memory_ordered 1
		.amdhsa_forward_progress 1
		.amdhsa_shared_vgpr_count 0
		.amdhsa_exception_fp_ieee_invalid_op 0
		.amdhsa_exception_fp_denorm_src 0
		.amdhsa_exception_fp_ieee_div_zero 0
		.amdhsa_exception_fp_ieee_overflow 0
		.amdhsa_exception_fp_ieee_underflow 0
		.amdhsa_exception_fp_ieee_inexact 0
		.amdhsa_exception_int_div_zero 0
	.end_amdhsa_kernel
	.section	.text._ZL54rocblas_symv_kernel_lower_double_buffered_non_diagonalILi32ELi4ELi4E24rocblas_internal_val_ptrIfEPKPKfPKPfEvbiT2_lT3_lllSA_lllT4_llli,"axG",@progbits,_ZL54rocblas_symv_kernel_lower_double_buffered_non_diagonalILi32ELi4ELi4E24rocblas_internal_val_ptrIfEPKPKfPKPfEvbiT2_lT3_lllSA_lllT4_llli,comdat
.Lfunc_end144:
	.size	_ZL54rocblas_symv_kernel_lower_double_buffered_non_diagonalILi32ELi4ELi4E24rocblas_internal_val_ptrIfEPKPKfPKPfEvbiT2_lT3_lllSA_lllT4_llli, .Lfunc_end144-_ZL54rocblas_symv_kernel_lower_double_buffered_non_diagonalILi32ELi4ELi4E24rocblas_internal_val_ptrIfEPKPKfPKPfEvbiT2_lT3_lllSA_lllT4_llli
                                        ; -- End function
	.set _ZL54rocblas_symv_kernel_lower_double_buffered_non_diagonalILi32ELi4ELi4E24rocblas_internal_val_ptrIfEPKPKfPKPfEvbiT2_lT3_lllSA_lllT4_llli.num_vgpr, 44
	.set _ZL54rocblas_symv_kernel_lower_double_buffered_non_diagonalILi32ELi4ELi4E24rocblas_internal_val_ptrIfEPKPKfPKPfEvbiT2_lT3_lllSA_lllT4_llli.num_agpr, 0
	.set _ZL54rocblas_symv_kernel_lower_double_buffered_non_diagonalILi32ELi4ELi4E24rocblas_internal_val_ptrIfEPKPKfPKPfEvbiT2_lT3_lllSA_lllT4_llli.numbered_sgpr, 28
	.set _ZL54rocblas_symv_kernel_lower_double_buffered_non_diagonalILi32ELi4ELi4E24rocblas_internal_val_ptrIfEPKPKfPKPfEvbiT2_lT3_lllSA_lllT4_llli.num_named_barrier, 0
	.set _ZL54rocblas_symv_kernel_lower_double_buffered_non_diagonalILi32ELi4ELi4E24rocblas_internal_val_ptrIfEPKPKfPKPfEvbiT2_lT3_lllSA_lllT4_llli.private_seg_size, 0
	.set _ZL54rocblas_symv_kernel_lower_double_buffered_non_diagonalILi32ELi4ELi4E24rocblas_internal_val_ptrIfEPKPKfPKPfEvbiT2_lT3_lllSA_lllT4_llli.uses_vcc, 1
	.set _ZL54rocblas_symv_kernel_lower_double_buffered_non_diagonalILi32ELi4ELi4E24rocblas_internal_val_ptrIfEPKPKfPKPfEvbiT2_lT3_lllSA_lllT4_llli.uses_flat_scratch, 1
	.set _ZL54rocblas_symv_kernel_lower_double_buffered_non_diagonalILi32ELi4ELi4E24rocblas_internal_val_ptrIfEPKPKfPKPfEvbiT2_lT3_lllSA_lllT4_llli.has_dyn_sized_stack, 0
	.set _ZL54rocblas_symv_kernel_lower_double_buffered_non_diagonalILi32ELi4ELi4E24rocblas_internal_val_ptrIfEPKPKfPKPfEvbiT2_lT3_lllSA_lllT4_llli.has_recursion, 0
	.set _ZL54rocblas_symv_kernel_lower_double_buffered_non_diagonalILi32ELi4ELi4E24rocblas_internal_val_ptrIfEPKPKfPKPfEvbiT2_lT3_lllSA_lllT4_llli.has_indirect_call, 0
	.section	.AMDGPU.csdata,"",@progbits
; Kernel info:
; codeLenInByte = 2884
; TotalNumSgprs: 30
; NumVgprs: 44
; ScratchSize: 0
; MemoryBound: 0
; FloatMode: 240
; IeeeMode: 1
; LDSByteSize: 3200 bytes/workgroup (compile time only)
; SGPRBlocks: 0
; VGPRBlocks: 5
; NumSGPRsForWavesPerEU: 30
; NumVGPRsForWavesPerEU: 44
; Occupancy: 16
; WaveLimiterHint : 1
; COMPUTE_PGM_RSRC2:SCRATCH_EN: 0
; COMPUTE_PGM_RSRC2:USER_SGPR: 6
; COMPUTE_PGM_RSRC2:TRAP_HANDLER: 0
; COMPUTE_PGM_RSRC2:TGID_X_EN: 1
; COMPUTE_PGM_RSRC2:TGID_Y_EN: 1
; COMPUTE_PGM_RSRC2:TGID_Z_EN: 1
; COMPUTE_PGM_RSRC2:TIDIG_COMP_CNT: 1
	.section	.text._ZL58rocblas_symv_kernel_lower_double_buffered_diagonal_genericILi32ELi4E24rocblas_internal_val_ptrIfEPKPKfPKPfEvbiT1_lT2_lllSA_lllS9_lT3_lllii,"axG",@progbits,_ZL58rocblas_symv_kernel_lower_double_buffered_diagonal_genericILi32ELi4E24rocblas_internal_val_ptrIfEPKPKfPKPfEvbiT1_lT2_lllSA_lllS9_lT3_lllii,comdat
	.globl	_ZL58rocblas_symv_kernel_lower_double_buffered_diagonal_genericILi32ELi4E24rocblas_internal_val_ptrIfEPKPKfPKPfEvbiT1_lT2_lllSA_lllS9_lT3_lllii ; -- Begin function _ZL58rocblas_symv_kernel_lower_double_buffered_diagonal_genericILi32ELi4E24rocblas_internal_val_ptrIfEPKPKfPKPfEvbiT1_lT2_lllSA_lllS9_lT3_lllii
	.p2align	8
	.type	_ZL58rocblas_symv_kernel_lower_double_buffered_diagonal_genericILi32ELi4E24rocblas_internal_val_ptrIfEPKPKfPKPfEvbiT1_lT2_lllSA_lllS9_lT3_lllii,@function
_ZL58rocblas_symv_kernel_lower_double_buffered_diagonal_genericILi32ELi4E24rocblas_internal_val_ptrIfEPKPKfPKPfEvbiT1_lT2_lllSA_lllS9_lT3_lllii: ; @_ZL58rocblas_symv_kernel_lower_double_buffered_diagonal_genericILi32ELi4E24rocblas_internal_val_ptrIfEPKPKfPKPfEvbiT1_lT2_lllSA_lllS9_lT3_lllii
; %bb.0:
	s_clause 0x2
	s_load_dword s1, s[4:5], 0x0
	s_load_dwordx8 s[8:15], s[4:5], 0x8
	s_load_dwordx2 s[20:21], s[4:5], 0x28
	s_mov_b32 s0, s7
	s_mov_b32 s2, -1
                                        ; implicit-def: $sgpr7
	s_waitcnt lgkmcnt(0)
	s_bitcmp1_b32 s1, 0
	s_cselect_b32 s1, -1, 0
	s_xor_b32 s1, s1, -1
	s_and_b32 vcc_lo, exec_lo, s1
	s_cbranch_vccnz .LBB145_7
; %bb.1:
	s_load_dwordx4 s[16:19], s[4:5], 0x58
	s_andn2_b32 vcc_lo, exec_lo, s2
	s_cbranch_vccz .LBB145_8
.LBB145_2:
	s_andn2_b32 vcc_lo, exec_lo, s1
	s_cbranch_vccnz .LBB145_4
.LBB145_3:
	s_waitcnt lgkmcnt(0)
	s_mul_i32 s1, s19, s0
	s_mul_hi_u32 s2, s18, s0
	s_add_i32 s3, s2, s1
	s_mul_i32 s2, s18, s0
	s_lshl_b64 s[2:3], s[2:3], 2
	s_add_u32 s2, s16, s2
	s_addc_u32 s3, s17, s3
	s_load_dword s16, s[2:3], 0x0
.LBB145_4:
	s_waitcnt lgkmcnt(0)
	v_cmp_eq_f32_e64 s17, s7, 0
	v_cmp_eq_f32_e64 s1, s16, 1.0
	s_and_b32 s1, s17, s1
	s_and_b32 vcc_lo, exec_lo, s1
	s_mov_b32 s1, 0
	s_cbranch_vccnz .LBB145_72
; %bb.5:
	v_cmp_neq_f32_e64 s26, s7, 0
	s_and_b32 vcc_lo, exec_lo, s26
	s_cbranch_vccnz .LBB145_9
; %bb.6:
	s_mov_b32 s23, 0
	s_mov_b32 s22, s0
	;; [unrolled: 1-line block ×3, first 2 shown]
	s_branch .LBB145_10
.LBB145_7:
	s_mul_i32 s2, s11, s0
	s_mul_hi_u32 s3, s10, s0
	s_add_i32 s3, s3, s2
	s_mul_i32 s2, s10, s0
	s_lshl_b64 s[2:3], s[2:3], 2
	s_add_u32 s2, s8, s2
	s_addc_u32 s3, s9, s3
	s_load_dword s7, s[2:3], 0x0
	s_load_dwordx4 s[16:19], s[4:5], 0x58
	s_cbranch_execnz .LBB145_2
.LBB145_8:
	s_waitcnt lgkmcnt(0)
	s_mov_b32 s7, s8
	s_andn2_b32 vcc_lo, exec_lo, s1
	s_cbranch_vccz .LBB145_3
	s_branch .LBB145_4
.LBB145_9:
	s_mov_b32 s2, -1
	s_mov_b64 s[22:23], s[0:1]
.LBB145_10:
	s_load_dwordx2 s[24:25], s[4:5], 0x68
	s_mov_b64 s[18:19], 0
	s_andn2_b32 vcc_lo, exec_lo, s2
	s_mov_b64 s[8:9], 0
	s_cbranch_vccnz .LBB145_12
; %bb.11:
	s_lshl_b64 s[0:1], s[0:1], 3
	s_add_u32 s0, s12, s0
	s_addc_u32 s1, s13, s1
	s_lshl_b64 s[2:3], s[14:15], 2
	s_load_dwordx2 s[0:1], s[0:1], 0x0
	s_waitcnt lgkmcnt(0)
	s_add_u32 s8, s0, s2
	s_addc_u32 s9, s1, s3
.LBB145_12:
	s_clause 0x1
	s_load_dwordx4 s[0:3], s[4:5], 0x38
	s_load_dwordx2 s[10:11], s[4:5], 0x48
	s_andn2_b32 vcc_lo, exec_lo, s26
	s_cbranch_vccnz .LBB145_14
; %bb.13:
	s_lshl_b64 s[12:13], s[22:23], 3
	s_waitcnt lgkmcnt(0)
	s_add_u32 s0, s0, s12
	s_addc_u32 s1, s1, s13
	s_lshl_b64 s[2:3], s[2:3], 2
	s_load_dwordx2 s[0:1], s[0:1], 0x0
	s_waitcnt lgkmcnt(0)
	s_add_u32 s18, s0, s2
	s_addc_u32 s19, s1, s3
.LBB145_14:
	s_lshl_b64 s[12:13], s[22:23], 3
	s_waitcnt lgkmcnt(0)
	s_load_dwordx4 s[0:3], s[4:5], 0x70
	s_add_u32 s12, s24, s12
	s_addc_u32 s13, s25, s13
	s_load_dwordx2 s[14:15], s[12:13], 0x0
	s_load_dword s12, s[4:5], 0x88
	s_waitcnt lgkmcnt(0)
	s_lshl_b64 s[0:1], s[0:1], 2
	s_add_u32 s13, s14, s0
	s_addc_u32 s24, s15, s1
	s_lshl_b32 s14, s6, 5
	s_ashr_i32 s15, s14, 31
	s_mul_hi_u32 s0, s2, s14
	s_mul_i32 s1, s2, s15
	s_mul_i32 s22, s3, s14
	s_add_i32 s1, s0, s1
	s_mul_i32 s0, s2, s14
	s_add_i32 s1, s1, s22
	s_lshl_b64 s[22:23], s[0:1], 2
	v_cmp_eq_u32_e64 s0, 0, v1
	s_add_u32 s1, s13, s22
	s_addc_u32 s13, s24, s23
	s_andn2_b32 vcc_lo, exec_lo, s17
	s_mov_b32 s17, -1
	s_cbranch_vccnz .LBB145_21
; %bb.15:
	s_mov_b32 s17, 0
	s_and_saveexec_b32 s22, s0
	s_cbranch_execz .LBB145_20
; %bb.16:
	v_cmp_gt_i32_e64 s0, s12, v0
	s_mov_b32 s23, exec_lo
	v_cmpx_le_i32_e64 s12, v0
	s_cbranch_execz .LBB145_18
; %bb.17:
	s_load_dword s24, s[4:5], 0x90
	s_waitcnt lgkmcnt(0)
	s_add_i32 s24, s24, -1
	s_cmp_lt_u32 s6, s24
	s_cselect_b32 s24, -1, 0
	s_andn2_b32 s0, s0, exec_lo
	s_and_b32 s24, s24, exec_lo
	s_or_b32 s0, s0, s24
.LBB145_18:
	s_or_b32 exec_lo, exec_lo, s23
	s_and_b32 exec_lo, exec_lo, s0
	s_cbranch_execz .LBB145_20
; %bb.19:
	v_mad_u64_u32 v[2:3], null, s2, v0, 0
	v_mad_u64_u32 v[3:4], null, s3, v0, v[3:4]
	v_lshlrev_b64 v[2:3], 2, v[2:3]
	v_add_co_u32 v2, vcc_lo, s1, v2
	v_add_co_ci_u32_e64 v3, null, s13, v3, vcc_lo
	flat_load_dword v4, v[2:3]
	s_waitcnt vmcnt(0) lgkmcnt(0)
	v_mul_f32_e32 v4, s16, v4
	flat_store_dword v[2:3], v4
.LBB145_20:
	s_or_b32 exec_lo, exec_lo, s22
.LBB145_21:
	s_andn2_b32 vcc_lo, exec_lo, s17
	s_cbranch_vccnz .LBB145_72
; %bb.22:
	s_load_dword s0, s[4:5], 0x90
	s_mul_i32 s4, s10, s15
	s_mul_hi_u32 s5, s10, s14
	v_mov_b32_e32 v6, 0
	s_add_i32 s4, s5, s4
	s_mul_i32 s5, s11, s14
	s_mov_b32 s17, -1
	s_add_i32 s5, s4, s5
	s_mul_i32 s4, s10, s14
	s_lshl_b64 s[4:5], s[4:5], 2
	s_add_u32 s4, s18, s4
	s_addc_u32 s5, s19, s5
	s_waitcnt lgkmcnt(0)
	s_add_i32 s0, s0, -1
	s_cmp_lg_u32 s6, s0
	v_cmp_eq_u32_e64 s0, 0, v1
	s_cselect_b32 s6, -1, 0
	s_and_b32 vcc_lo, exec_lo, s6
	s_cbranch_vccz .LBB145_27
; %bb.23:
	s_and_saveexec_b32 s17, s0
	s_cbranch_execz .LBB145_26
; %bb.24:
	v_mad_u64_u32 v[2:3], null, s10, v0, 0
	v_cmp_eq_f32_e64 s18, s16, 0
	v_mov_b32_e32 v6, 0
	v_mad_u64_u32 v[3:4], null, s11, v0, v[3:4]
	v_lshlrev_b64 v[2:3], 2, v[2:3]
	v_add_co_u32 v2, vcc_lo, s4, v2
	v_add_co_ci_u32_e64 v3, null, s5, v3, vcc_lo
	s_and_b32 vcc_lo, exec_lo, s18
	flat_load_dword v2, v[2:3]
	v_lshlrev_b32_e32 v3, 2, v0
	s_waitcnt vmcnt(0) lgkmcnt(0)
	ds_write_b32 v3, v2 offset:5120
	s_cbranch_vccnz .LBB145_26
; %bb.25:
	v_mad_u64_u32 v[2:3], null, s2, v0, 0
	v_mad_u64_u32 v[3:4], null, s3, v0, v[3:4]
	v_lshlrev_b64 v[2:3], 2, v[2:3]
	v_add_co_u32 v2, vcc_lo, s1, v2
	v_add_co_ci_u32_e64 v3, null, s13, v3, vcc_lo
	flat_load_dword v2, v[2:3]
	s_waitcnt vmcnt(0) lgkmcnt(0)
	v_mul_f32_e32 v6, s16, v2
.LBB145_26:
	s_or_b32 exec_lo, exec_lo, s17
	s_mov_b32 s17, 0
.LBB145_27:
	s_andn2_b32 vcc_lo, exec_lo, s17
	s_cbranch_vccnz .LBB145_36
; %bb.28:
	v_mov_b32_e32 v6, 0
	s_and_saveexec_b32 s17, s0
	s_cbranch_execz .LBB145_35
; %bb.29:
	s_mov_b32 s18, exec_lo
	v_cmpx_le_i32_e64 s12, v0
	s_xor_b32 s18, exec_lo, s18
; %bb.30:
	v_lshlrev_b32_e32 v2, 2, v0
	v_mov_b32_e32 v3, 0
	ds_write_b32 v2, v3 offset:5120
; %bb.31:
	s_or_saveexec_b32 s18, s18
	v_mov_b32_e32 v6, 0
	s_xor_b32 exec_lo, exec_lo, s18
	s_cbranch_execz .LBB145_34
; %bb.32:
	v_mad_u64_u32 v[2:3], null, s10, v0, 0
	v_mov_b32_e32 v6, 0
	v_mad_u64_u32 v[3:4], null, s11, v0, v[3:4]
	v_lshlrev_b64 v[2:3], 2, v[2:3]
	v_add_co_u32 v2, vcc_lo, s4, v2
	v_add_co_ci_u32_e64 v3, null, s5, v3, vcc_lo
	v_cmp_eq_f32_e64 s4, s16, 0
	flat_load_dword v2, v[2:3]
	v_lshlrev_b32_e32 v3, 2, v0
	s_and_b32 vcc_lo, exec_lo, s4
	s_waitcnt vmcnt(0) lgkmcnt(0)
	ds_write_b32 v3, v2 offset:5120
	s_cbranch_vccnz .LBB145_34
; %bb.33:
	v_mad_u64_u32 v[2:3], null, s2, v0, 0
	v_mad_u64_u32 v[3:4], null, s3, v0, v[3:4]
	v_lshlrev_b64 v[2:3], 2, v[2:3]
	v_add_co_u32 v2, vcc_lo, s1, v2
	v_add_co_ci_u32_e64 v3, null, s13, v3, vcc_lo
	flat_load_dword v2, v[2:3]
	s_waitcnt vmcnt(0) lgkmcnt(0)
	v_mul_f32_e32 v6, s16, v2
.LBB145_34:
	s_or_b32 exec_lo, exec_lo, s18
.LBB145_35:
	s_or_b32 exec_lo, exec_lo, s17
.LBB145_36:
	v_mad_u64_u32 v[2:3], null, s20, v1, 0
	s_add_u32 s4, s20, 1
	s_addc_u32 s5, s21, 0
	s_mul_i32 s10, s4, s15
	s_mul_hi_u32 s11, s4, s14
	s_mul_i32 s5, s5, s14
	s_add_i32 s10, s11, s10
	v_mad_u64_u32 v[3:4], null, s21, v1, v[3:4]
	s_mul_i32 s4, s4, s14
	s_add_i32 s5, s10, s5
	v_lshlrev_b32_e32 v7, 2, v0
	s_lshl_b64 s[4:5], s[4:5], 2
	v_lshlrev_b32_e32 v8, 7, v1
	s_add_u32 s10, s8, s4
	v_lshlrev_b64 v[4:5], 2, v[2:3]
	s_addc_u32 s11, s9, s5
	v_lshlrev_b32_e32 v10, 5, v1
	v_add_nc_u32_e32 v8, v7, v8
	v_add_co_u32 v2, vcc_lo, s10, v4
	v_add_co_ci_u32_e64 v3, null, s11, v5, vcc_lo
	s_mov_b32 s10, -1
	v_add_co_u32 v2, vcc_lo, v2, v7
	v_add_co_ci_u32_e64 v3, null, 0, v3, vcc_lo
	s_andn2_b32 vcc_lo, exec_lo, s6
	s_cbranch_vccnz .LBB145_38
; %bb.37:
	s_lshl_b64 s[10:11], s[20:21], 4
	v_add_co_u32 v11, vcc_lo, v2, s10
	v_add_co_ci_u32_e64 v12, null, s11, v3, vcc_lo
	v_add_co_u32 v13, vcc_lo, v11, s10
	v_add_co_ci_u32_e64 v14, null, s11, v12, vcc_lo
	;; [unrolled: 2-line block ×7, first 2 shown]
	s_clause 0x7
	flat_load_dword v9, v[2:3]
	flat_load_dword v11, v[11:12]
	;; [unrolled: 1-line block ×8, first 2 shown]
	s_mov_b32 s10, 0
	s_waitcnt vmcnt(6) lgkmcnt(6)
	ds_write2st64_b32 v8, v9, v11 offset1:2
	s_waitcnt vmcnt(4) lgkmcnt(5)
	ds_write2st64_b32 v8, v12, v13 offset0:4 offset1:6
	s_waitcnt vmcnt(2) lgkmcnt(4)
	ds_write2st64_b32 v8, v14, v15 offset0:8 offset1:10
	;; [unrolled: 2-line block ×3, first 2 shown]
.LBB145_38:
	v_add_nc_u32_e32 v9, v10, v0
	s_andn2_b32 vcc_lo, exec_lo, s10
	s_cbranch_vccnz .LBB145_46
; %bb.39:
	v_mov_b32_e32 v11, 0
	s_mov_b32 s10, exec_lo
	ds_write2st64_b32 v8, v11, v11 offset1:2
	ds_write2st64_b32 v8, v11, v11 offset0:4 offset1:6
	ds_write2st64_b32 v8, v11, v11 offset0:8 offset1:10
	;; [unrolled: 1-line block ×3, first 2 shown]
	v_cmpx_gt_i32_e64 s12, v0
	s_cbranch_execz .LBB145_45
; %bb.40:
	s_cmp_lt_u32 s12, 4
	s_mov_b32 s11, 0
	s_cbranch_scc1 .LBB145_43
; %bb.41:
	v_add_co_u32 v4, vcc_lo, s4, v4
	v_add_co_ci_u32_e64 v5, null, s5, v5, vcc_lo
	v_lshl_add_u32 v11, v10, 2, v7
	v_add_co_u32 v4, vcc_lo, v4, v7
	v_add_co_ci_u32_e64 v5, null, 0, v5, vcc_lo
	s_lshr_b32 s11, s12, 2
	v_add_co_u32 v4, vcc_lo, s8, v4
	v_add_co_ci_u32_e64 v5, null, s9, v5, vcc_lo
	s_lshl_b64 s[4:5], s[20:21], 4
	s_mov_b32 s8, s11
.LBB145_42:                             ; =>This Inner Loop Header: Depth=1
	flat_load_dword v12, v[4:5]
	v_add_co_u32 v4, vcc_lo, v4, s4
	v_add_co_ci_u32_e64 v5, null, s5, v5, vcc_lo
	s_add_i32 s8, s8, -1
	s_cmp_lg_u32 s8, 0
	s_waitcnt vmcnt(0) lgkmcnt(0)
	ds_write_b32 v11, v12
	v_add_nc_u32_e32 v11, 0x200, v11
	s_cbranch_scc1 .LBB145_42
.LBB145_43:
	s_and_b32 s4, s12, 3
	v_cmp_gt_u32_e32 vcc_lo, s4, v1
	s_and_b32 exec_lo, exec_lo, vcc_lo
	s_cbranch_execz .LBB145_45
; %bb.44:
	s_lshl_b32 s4, s11, 2
	s_mul_i32 s5, s21, s4
	s_mul_hi_u32 s8, s20, s4
	s_mul_i32 s4, s20, s4
	s_add_i32 s5, s8, s5
	s_lshl_b64 s[4:5], s[4:5], 2
	v_add_co_u32 v2, vcc_lo, v2, s4
	v_add_co_ci_u32_e64 v3, null, s5, v3, vcc_lo
	flat_load_dword v2, v[2:3]
	v_lshlrev_b32_e32 v3, 2, v9
	v_lshl_add_u32 v3, s11, 9, v3
	s_waitcnt vmcnt(0) lgkmcnt(0)
	ds_write_b32 v3, v2
.LBB145_45:
	s_or_b32 exec_lo, exec_lo, s10
.LBB145_46:
	v_lshlrev_b32_e32 v3, 7, v0
	s_mov_b32 s4, exec_lo
	s_waitcnt lgkmcnt(0)
	s_waitcnt_vscnt null, 0x0
	s_barrier
	buffer_gl0_inv
	v_cmpx_ge_u32_e64 v0, v1
	s_xor_b32 s4, exec_lo, s4
; %bb.47:
	v_lshlrev_b32_e32 v3, 7, v0
                                        ; implicit-def: $vgpr10
; %bb.48:
	s_or_saveexec_b32 s4, s4
	v_lshlrev_b32_e32 v2, 2, v1
	s_xor_b32 exec_lo, exec_lo, s4
	s_cbranch_execz .LBB145_50
; %bb.49:
	v_mul_u32_u24_e32 v4, 0x7c, v0
	v_lshl_add_u32 v5, v10, 2, v7
	v_add3_u32 v4, v7, v4, v2
	ds_read_b32 v4, v4
	s_waitcnt lgkmcnt(0)
	ds_write_b32 v5, v4
.LBB145_50:
	s_or_b32 exec_lo, exec_lo, s4
	v_sub_nc_u32_e32 v4, v0, v1
	s_mov_b32 s4, exec_lo
	v_sub_nc_u32_e32 v5, 0, v4
	v_max_i32_e32 v5, v4, v5
	v_lshl_add_u32 v4, v1, 2, v3
	v_lshl_add_u32 v3, v1, 7, v7
	v_cmpx_gt_u32_e32 4, v5
	s_cbranch_execz .LBB145_52
; %bb.51:
	ds_read_b32 v10, v4 offset:16
	s_waitcnt lgkmcnt(0)
	ds_write_b32 v3, v10 offset:512
.LBB145_52:
	s_or_b32 exec_lo, exec_lo, s4
	s_mov_b32 s4, exec_lo
	v_cmpx_gt_u32_e32 8, v5
	s_cbranch_execz .LBB145_54
; %bb.53:
	ds_read_b32 v10, v4 offset:32
	s_waitcnt lgkmcnt(0)
	ds_write_b32 v3, v10 offset:1024
.LBB145_54:
	s_or_b32 exec_lo, exec_lo, s4
	s_mov_b32 s4, exec_lo
	;; [unrolled: 9-line block ×5, first 2 shown]
	v_cmpx_gt_u32_e32 24, v5
	s_cbranch_execz .LBB145_62
; %bb.61:
	ds_read_b32 v10, v4 offset:96
	s_waitcnt lgkmcnt(0)
	ds_write_b32 v8, v10 offset:3072
.LBB145_62:
	s_or_b32 exec_lo, exec_lo, s4
	v_cmp_lt_u32_e32 vcc_lo, 27, v5
	v_add_nc_u32_e32 v10, 28, v1
                                        ; implicit-def: $vgpr5
	s_and_saveexec_b32 s4, vcc_lo
	s_xor_b32 s4, exec_lo, s4
; %bb.63:
	v_add_nc_u32_e32 v10, 28, v1
                                        ; implicit-def: $vgpr4
	v_lshlrev_b32_e32 v5, 7, v10
; %bb.64:
	s_andn2_saveexec_b32 s4, s4
	s_cbranch_execz .LBB145_66
; %bb.65:
	ds_read_b32 v1, v4 offset:112
	v_lshlrev_b32_e32 v5, 7, v10
	v_add_nc_u32_e32 v4, v7, v5
	s_waitcnt lgkmcnt(0)
	ds_write_b32 v4, v1
.LBB145_66:
	s_or_b32 exec_lo, exec_lo, s4
	v_add_nc_u32_e32 v1, 0x1400, v2
	s_waitcnt lgkmcnt(0)
	s_barrier
	buffer_gl0_inv
	ds_read_b32 v4, v8
	ds_read2_b32 v[11:12], v1 offset1:4
	ds_read2st64_b32 v[13:14], v3 offset0:2 offset1:4
	ds_read2_b32 v[15:16], v1 offset0:8 offset1:12
	v_lshlrev_b32_e32 v8, 2, v10
	ds_read2st64_b32 v[17:18], v3 offset0:6 offset1:8
	ds_read2_b32 v[19:20], v1 offset0:16 offset1:20
	ds_read_b32 v10, v2 offset:5216
	ds_read_b32 v8, v8 offset:5120
	ds_read2st64_b32 v[1:2], v3 offset0:10 offset1:12
	v_add_nc_u32_e32 v3, v7, v5
	ds_read_b32 v3, v3
	s_waitcnt lgkmcnt(8)
	v_fma_f32 v4, v4, v11, 0
	s_waitcnt lgkmcnt(7)
	v_fmac_f32_e32 v4, v13, v12
	s_waitcnt lgkmcnt(6)
	v_fmac_f32_e32 v4, v14, v15
	;; [unrolled: 2-line block ×5, first 2 shown]
	v_lshlrev_b32_e32 v1, 2, v9
	v_fmac_f32_e32 v4, v2, v10
	s_waitcnt lgkmcnt(0)
	v_fmac_f32_e32 v4, v3, v8
	ds_write_b32 v1, v4 offset:4096
	s_waitcnt lgkmcnt(0)
	s_barrier
	buffer_gl0_inv
	s_and_saveexec_b32 s4, s0
	s_cbranch_execz .LBB145_72
; %bb.67:
	v_add_nc_u32_e32 v3, 0x1000, v7
	v_cmp_neq_f32_e64 vcc_lo, s16, 0
	s_mov_b32 s0, -1
	ds_read2_b32 v[1:2], v3 offset1:32
	ds_read2_b32 v[3:4], v3 offset0:64 offset1:96
	s_waitcnt lgkmcnt(1)
	v_add_f32_e32 v1, 0, v1
	v_add_f32_e32 v1, v1, v2
	s_waitcnt lgkmcnt(0)
	v_add_f32_e32 v1, v1, v3
	v_add_f32_e32 v1, v1, v4
	v_mul_f32_e32 v2, s7, v1
	v_fmac_f32_e32 v6, s7, v1
	v_cndmask_b32_e32 v1, v2, v6, vcc_lo
	s_and_b32 vcc_lo, exec_lo, s6
	s_cbranch_vccz .LBB145_69
; %bb.68:
	v_mad_u64_u32 v[2:3], null, s2, v0, 0
	s_mov_b32 s0, 0
	v_mad_u64_u32 v[3:4], null, s3, v0, v[3:4]
	v_lshlrev_b64 v[2:3], 2, v[2:3]
	v_add_co_u32 v2, vcc_lo, s1, v2
	v_add_co_ci_u32_e64 v3, null, s13, v3, vcc_lo
	flat_store_dword v[2:3], v1
.LBB145_69:
	s_andn2_b32 vcc_lo, exec_lo, s0
	s_cbranch_vccnz .LBB145_72
; %bb.70:
	v_cmp_gt_i32_e32 vcc_lo, s12, v0
	s_and_b32 exec_lo, exec_lo, vcc_lo
	s_cbranch_execz .LBB145_72
; %bb.71:
	v_mad_u64_u32 v[2:3], null, s2, v0, 0
	v_mad_u64_u32 v[3:4], null, s3, v0, v[3:4]
	v_lshlrev_b64 v[2:3], 2, v[2:3]
	v_add_co_u32 v2, vcc_lo, s1, v2
	v_add_co_ci_u32_e64 v3, null, s13, v3, vcc_lo
	flat_store_dword v[2:3], v1
.LBB145_72:
	s_endpgm
	.section	.rodata,"a",@progbits
	.p2align	6, 0x0
	.amdhsa_kernel _ZL58rocblas_symv_kernel_lower_double_buffered_diagonal_genericILi32ELi4E24rocblas_internal_val_ptrIfEPKPKfPKPfEvbiT1_lT2_lllSA_lllS9_lT3_lllii
		.amdhsa_group_segment_fixed_size 5248
		.amdhsa_private_segment_fixed_size 0
		.amdhsa_kernarg_size 400
		.amdhsa_user_sgpr_count 6
		.amdhsa_user_sgpr_private_segment_buffer 1
		.amdhsa_user_sgpr_dispatch_ptr 0
		.amdhsa_user_sgpr_queue_ptr 0
		.amdhsa_user_sgpr_kernarg_segment_ptr 1
		.amdhsa_user_sgpr_dispatch_id 0
		.amdhsa_user_sgpr_flat_scratch_init 0
		.amdhsa_user_sgpr_private_segment_size 0
		.amdhsa_wavefront_size32 1
		.amdhsa_uses_dynamic_stack 0
		.amdhsa_system_sgpr_private_segment_wavefront_offset 0
		.amdhsa_system_sgpr_workgroup_id_x 1
		.amdhsa_system_sgpr_workgroup_id_y 0
		.amdhsa_system_sgpr_workgroup_id_z 1
		.amdhsa_system_sgpr_workgroup_info 0
		.amdhsa_system_vgpr_workitem_id 1
		.amdhsa_next_free_vgpr 25
		.amdhsa_next_free_sgpr 27
		.amdhsa_reserve_vcc 1
		.amdhsa_reserve_flat_scratch 1
		.amdhsa_float_round_mode_32 0
		.amdhsa_float_round_mode_16_64 0
		.amdhsa_float_denorm_mode_32 3
		.amdhsa_float_denorm_mode_16_64 3
		.amdhsa_dx10_clamp 1
		.amdhsa_ieee_mode 1
		.amdhsa_fp16_overflow 0
		.amdhsa_workgroup_processor_mode 1
		.amdhsa_memory_ordered 1
		.amdhsa_forward_progress 1
		.amdhsa_shared_vgpr_count 0
		.amdhsa_exception_fp_ieee_invalid_op 0
		.amdhsa_exception_fp_denorm_src 0
		.amdhsa_exception_fp_ieee_div_zero 0
		.amdhsa_exception_fp_ieee_overflow 0
		.amdhsa_exception_fp_ieee_underflow 0
		.amdhsa_exception_fp_ieee_inexact 0
		.amdhsa_exception_int_div_zero 0
	.end_amdhsa_kernel
	.section	.text._ZL58rocblas_symv_kernel_lower_double_buffered_diagonal_genericILi32ELi4E24rocblas_internal_val_ptrIfEPKPKfPKPfEvbiT1_lT2_lllSA_lllS9_lT3_lllii,"axG",@progbits,_ZL58rocblas_symv_kernel_lower_double_buffered_diagonal_genericILi32ELi4E24rocblas_internal_val_ptrIfEPKPKfPKPfEvbiT1_lT2_lllSA_lllS9_lT3_lllii,comdat
.Lfunc_end145:
	.size	_ZL58rocblas_symv_kernel_lower_double_buffered_diagonal_genericILi32ELi4E24rocblas_internal_val_ptrIfEPKPKfPKPfEvbiT1_lT2_lllSA_lllS9_lT3_lllii, .Lfunc_end145-_ZL58rocblas_symv_kernel_lower_double_buffered_diagonal_genericILi32ELi4E24rocblas_internal_val_ptrIfEPKPKfPKPfEvbiT1_lT2_lllSA_lllS9_lT3_lllii
                                        ; -- End function
	.set _ZL58rocblas_symv_kernel_lower_double_buffered_diagonal_genericILi32ELi4E24rocblas_internal_val_ptrIfEPKPKfPKPfEvbiT1_lT2_lllSA_lllS9_lT3_lllii.num_vgpr, 25
	.set _ZL58rocblas_symv_kernel_lower_double_buffered_diagonal_genericILi32ELi4E24rocblas_internal_val_ptrIfEPKPKfPKPfEvbiT1_lT2_lllSA_lllS9_lT3_lllii.num_agpr, 0
	.set _ZL58rocblas_symv_kernel_lower_double_buffered_diagonal_genericILi32ELi4E24rocblas_internal_val_ptrIfEPKPKfPKPfEvbiT1_lT2_lllSA_lllS9_lT3_lllii.numbered_sgpr, 27
	.set _ZL58rocblas_symv_kernel_lower_double_buffered_diagonal_genericILi32ELi4E24rocblas_internal_val_ptrIfEPKPKfPKPfEvbiT1_lT2_lllSA_lllS9_lT3_lllii.num_named_barrier, 0
	.set _ZL58rocblas_symv_kernel_lower_double_buffered_diagonal_genericILi32ELi4E24rocblas_internal_val_ptrIfEPKPKfPKPfEvbiT1_lT2_lllSA_lllS9_lT3_lllii.private_seg_size, 0
	.set _ZL58rocblas_symv_kernel_lower_double_buffered_diagonal_genericILi32ELi4E24rocblas_internal_val_ptrIfEPKPKfPKPfEvbiT1_lT2_lllSA_lllS9_lT3_lllii.uses_vcc, 1
	.set _ZL58rocblas_symv_kernel_lower_double_buffered_diagonal_genericILi32ELi4E24rocblas_internal_val_ptrIfEPKPKfPKPfEvbiT1_lT2_lllSA_lllS9_lT3_lllii.uses_flat_scratch, 1
	.set _ZL58rocblas_symv_kernel_lower_double_buffered_diagonal_genericILi32ELi4E24rocblas_internal_val_ptrIfEPKPKfPKPfEvbiT1_lT2_lllSA_lllS9_lT3_lllii.has_dyn_sized_stack, 0
	.set _ZL58rocblas_symv_kernel_lower_double_buffered_diagonal_genericILi32ELi4E24rocblas_internal_val_ptrIfEPKPKfPKPfEvbiT1_lT2_lllSA_lllS9_lT3_lllii.has_recursion, 0
	.set _ZL58rocblas_symv_kernel_lower_double_buffered_diagonal_genericILi32ELi4E24rocblas_internal_val_ptrIfEPKPKfPKPfEvbiT1_lT2_lllSA_lllS9_lT3_lllii.has_indirect_call, 0
	.section	.AMDGPU.csdata,"",@progbits
; Kernel info:
; codeLenInByte = 2620
; TotalNumSgprs: 29
; NumVgprs: 25
; ScratchSize: 0
; MemoryBound: 0
; FloatMode: 240
; IeeeMode: 1
; LDSByteSize: 5248 bytes/workgroup (compile time only)
; SGPRBlocks: 0
; VGPRBlocks: 3
; NumSGPRsForWavesPerEU: 29
; NumVGPRsForWavesPerEU: 25
; Occupancy: 16
; WaveLimiterHint : 1
; COMPUTE_PGM_RSRC2:SCRATCH_EN: 0
; COMPUTE_PGM_RSRC2:USER_SGPR: 6
; COMPUTE_PGM_RSRC2:TRAP_HANDLER: 0
; COMPUTE_PGM_RSRC2:TGID_X_EN: 1
; COMPUTE_PGM_RSRC2:TGID_Y_EN: 0
; COMPUTE_PGM_RSRC2:TGID_Z_EN: 1
; COMPUTE_PGM_RSRC2:TIDIG_COMP_CNT: 1
	.section	.text._ZL62rocblas_symv_kernel_lower_double_buffered_non_diagonal_genericILi32ELi4ELi4E24rocblas_internal_val_ptrIfEPKPKfPKPfEvbiT2_lT3_lllSA_lllT4_lllii,"axG",@progbits,_ZL62rocblas_symv_kernel_lower_double_buffered_non_diagonal_genericILi32ELi4ELi4E24rocblas_internal_val_ptrIfEPKPKfPKPfEvbiT2_lT3_lllSA_lllT4_lllii,comdat
	.globl	_ZL62rocblas_symv_kernel_lower_double_buffered_non_diagonal_genericILi32ELi4ELi4E24rocblas_internal_val_ptrIfEPKPKfPKPfEvbiT2_lT3_lllSA_lllT4_lllii ; -- Begin function _ZL62rocblas_symv_kernel_lower_double_buffered_non_diagonal_genericILi32ELi4ELi4E24rocblas_internal_val_ptrIfEPKPKfPKPfEvbiT2_lT3_lllSA_lllT4_lllii
	.p2align	8
	.type	_ZL62rocblas_symv_kernel_lower_double_buffered_non_diagonal_genericILi32ELi4ELi4E24rocblas_internal_val_ptrIfEPKPKfPKPfEvbiT2_lT3_lllSA_lllT4_lllii,@function
_ZL62rocblas_symv_kernel_lower_double_buffered_non_diagonal_genericILi32ELi4ELi4E24rocblas_internal_val_ptrIfEPKPKfPKPfEvbiT2_lT3_lllSA_lllT4_lllii: ; @_ZL62rocblas_symv_kernel_lower_double_buffered_non_diagonal_genericILi32ELi4ELi4E24rocblas_internal_val_ptrIfEPKPKfPKPfEvbiT2_lT3_lllSA_lllT4_lllii
; %bb.0:
	s_clause 0x2
	s_load_dword s0, s[4:5], 0x0
	s_load_dwordx8 s[12:19], s[4:5], 0x8
	s_load_dwordx2 s[2:3], s[4:5], 0x28
	s_waitcnt lgkmcnt(0)
	s_bitcmp0_b32 s0, 0
	s_mov_b32 s0, 0
	s_cbranch_scc0 .LBB146_2
; %bb.1:
	s_mul_i32 s1, s15, s8
	s_mul_hi_u32 s9, s14, s8
	s_mul_i32 s10, s14, s8
	s_add_i32 s11, s9, s1
	s_lshl_b64 s[10:11], s[10:11], 2
	s_add_u32 s10, s12, s10
	s_addc_u32 s11, s13, s11
	s_load_dword s1, s[10:11], 0x0
	s_andn2_b32 vcc_lo, exec_lo, s0
	s_cbranch_vccz .LBB146_3
	s_branch .LBB146_4
.LBB146_2:
                                        ; implicit-def: $sgpr1
.LBB146_3:
	s_waitcnt lgkmcnt(0)
	s_mov_b32 s1, s12
.LBB146_4:
	s_waitcnt lgkmcnt(0)
	v_cmp_eq_f32_e64 s0, s1, 0
	s_and_b32 vcc_lo, exec_lo, s0
	s_cbranch_vccnz .LBB146_42
; %bb.5:
	s_load_dwordx2 s[10:11], s[4:5], 0x80
	s_waitcnt lgkmcnt(0)
	v_cvt_f32_u32_e32 v2, s11
	s_add_i32 s20, s10, -1
	s_cmp_eq_u32 s6, s20
	v_rcp_iflag_f32_e32 v2, v2
	v_mul_f32_e32 v2, 0x4f7ffffe, v2
	v_cvt_u32_f32_e32 v2, v2
	v_readfirstlane_b32 s0, v2
	s_cbranch_scc1 .LBB146_42
; %bb.6:
	s_clause 0x1
	s_load_dwordx4 s[24:27], s[4:5], 0x38
	s_load_dwordx2 s[22:23], s[4:5], 0x58
	s_sub_i32 s15, 0, s11
	s_not_b32 s14, s6
	s_mul_i32 s15, s15, s0
	s_mov_b32 s9, 0
	s_add_i32 s20, s20, s14
	s_mul_hi_u32 s14, s0, s15
	s_lshl_b64 s[8:9], s[8:9], 3
	s_add_i32 s21, s0, s14
	s_add_u32 s14, s16, s8
	s_addc_u32 s15, s17, s9
	s_load_dwordx2 s[12:13], s[4:5], 0x48
	s_mul_hi_u32 s21, s20, s21
	s_waitcnt lgkmcnt(0)
	s_add_u32 s16, s24, s8
	s_addc_u32 s17, s25, s9
	s_add_u32 s8, s22, s8
	s_load_dwordx2 s[16:17], s[16:17], 0x0
	s_addc_u32 s9, s23, s9
	s_lshl_b64 s[22:23], s[26:27], 2
	s_waitcnt lgkmcnt(0)
	s_add_u32 s22, s16, s22
	s_addc_u32 s23, s17, s23
	s_lshl_b32 s25, s6, 5
	s_ashr_i32 s26, s25, 31
	s_mul_hi_u32 s0, s12, s25
	s_mul_i32 s16, s12, s26
	s_mul_i32 s17, s13, s25
	s_add_i32 s0, s0, s16
	s_mul_i32 s16, s12, s25
	s_add_i32 s17, s0, s17
	v_cmp_eq_u32_e64 s0, 0, v1
	s_lshl_b64 s[16:17], s[16:17], 2
	s_add_u32 s16, s22, s16
	s_addc_u32 s17, s23, s17
	s_and_saveexec_b32 s22, s0
	s_cbranch_execz .LBB146_8
; %bb.7:
	v_mad_u64_u32 v[2:3], null, s12, v0, 0
	v_mad_u64_u32 v[3:4], null, s13, v0, v[3:4]
	v_lshlrev_b64 v[2:3], 2, v[2:3]
	v_add_co_u32 v2, vcc_lo, s16, v2
	v_add_co_ci_u32_e64 v3, null, s17, v3, vcc_lo
	flat_load_dword v2, v[2:3]
	v_lshlrev_b32_e32 v3, 2, v0
	s_waitcnt vmcnt(0) lgkmcnt(0)
	ds_write_b32 v3, v2 offset:3072
.LBB146_8:
	s_or_b32 exec_lo, exec_lo, s22
	s_mul_i32 s22, s21, s11
	s_add_i32 s23, s21, 1
	s_sub_i32 s22, s20, s22
	s_sub_i32 s24, s22, s11
	s_cmp_ge_u32 s22, s11
	s_cselect_b32 s21, s23, s21
	s_cselect_b32 s22, s24, s22
	s_add_i32 s23, s21, 1
	s_cmp_ge_u32 s22, s11
	s_cselect_b32 s21, s23, s21
	s_add_i32 s22, s11, -1
	s_mov_b32 s24, s21
	s_cmp_eq_u32 s7, s22
	s_cselect_b32 s30, -1, 0
	s_cmp_lg_u32 s7, s22
	s_cbranch_scc1 .LBB146_10
; %bb.9:
	s_mul_i32 s11, s21, s11
	s_sub_i32 s11, s20, s11
	s_add_i32 s24, s11, s21
.LBB146_10:
	s_cmp_lg_u32 s7, s22
	s_cselect_b32 s11, -1, 0
	s_cmp_eq_u32 s24, 0
	s_cselect_b32 s20, -1, 0
	s_and_b32 s11, s11, s20
	s_and_b32 vcc_lo, exec_lo, s11
	s_cbranch_vccnz .LBB146_42
; %bb.11:
	s_load_dwordx2 s[14:15], s[14:15], 0x0
	s_mul_i32 s7, s7, s21
	v_lshl_add_u32 v1, v1, 5, v0
	s_lshl_b32 s20, s7, 5
	s_load_dwordx2 s[22:23], s[8:9], 0x0
	s_lshl_b64 s[8:9], s[18:19], 2
	s_ashr_i32 s21, s20, 31
	v_lshrrev_b32_e32 v19, 4, v1
	v_and_b32_e32 v1, 15, v0
	v_mov_b32_e32 v2, 0
	s_mul_hi_u32 s7, s12, s20
	s_mul_i32 s11, s13, s20
	v_lshlrev_b32_e32 v20, 2, v19
	s_waitcnt lgkmcnt(0)
	v_mov_b32_e32 v32, v2
	v_mov_b32_e32 v28, v2
	;; [unrolled: 1-line block ×3, first 2 shown]
	v_mad_u64_u32 v[3:4], null, s2, v20, v[1:2]
	v_mov_b32_e32 v30, v2
	s_add_u32 s14, s14, s8
	s_addc_u32 s15, s15, s9
	s_add_u32 s8, s2, 1
	s_addc_u32 s9, s3, 0
	s_mul_i32 s18, s8, s26
	s_mul_hi_u32 s19, s8, s25
	s_mul_i32 s9, s9, s25
	s_add_i32 s18, s19, s18
	s_mul_i32 s8, s8, s25
	s_add_i32 s9, s18, s9
	s_mul_i32 s18, s12, s21
	s_lshl_b64 s[8:9], s[8:9], 2
	v_mad_u64_u32 v[4:5], null, s3, v20, v[4:5]
	s_add_u32 s14, s14, s8
	s_addc_u32 s15, s15, s9
	s_lshl_b64 s[8:9], s[20:21], 2
	v_mov_b32_e32 v31, v2
	s_add_u32 s14, s14, s8
	s_addc_u32 s15, s15, s9
	s_add_i32 s7, s7, s18
	s_mul_i32 s8, s12, s20
	s_add_i32 s9, s7, s11
	s_barrier
	s_lshl_b64 s[8:9], s[8:9], 2
	buffer_gl0_inv
	s_add_u32 s18, s16, s8
	s_addc_u32 s19, s17, s9
	s_add_i32 s7, s10, -2
	s_lshl_b64 s[16:17], s[12:13], 5
	s_cmp_ge_u32 s6, s7
	s_cbranch_scc1 .LBB146_13
; %bb.12:
	v_lshlrev_b64 v[5:6], 2, v[3:4]
	v_mad_u64_u32 v[7:8], null, s12, v1, 0
	s_lshl_b64 s[6:7], s[16:17], 2
	s_add_u32 s10, s18, s6
	v_add_co_u32 v5, vcc_lo, s14, v5
	v_add_co_ci_u32_e64 v6, null, s15, v6, vcc_lo
	s_addc_u32 s11, s19, s7
	s_lshl_b64 s[6:7], s[2:3], 2
	s_lshl_b64 s[8:9], s[2:3], 3
	v_mad_u64_u32 v[9:10], null, s2, 12, v[5:6]
	v_mad_u64_u32 v[11:12], null, s13, v1, v[8:9]
	v_mov_b32_e32 v8, v11
	v_mad_u64_u32 v[10:11], null, s3, 12, v[10:11]
	v_add_co_u32 v11, vcc_lo, v5, s6
	v_lshlrev_b64 v[7:8], 2, v[7:8]
	v_add_co_ci_u32_e64 v12, null, s7, v6, vcc_lo
	v_add_co_u32 v13, vcc_lo, v5, s8
	v_add_co_ci_u32_e64 v14, null, s9, v6, vcc_lo
	v_add_co_u32 v7, vcc_lo, s10, v7
	v_add_co_ci_u32_e64 v8, null, s11, v8, vcc_lo
	s_clause 0x3
	flat_load_dword v28, v[5:6] offset:128
	flat_load_dword v29, v[11:12] offset:128
	;; [unrolled: 1-line block ×4, first 2 shown]
	flat_load_dword v32, v[7:8]
.LBB146_13:
	s_load_dwordx4 s[8:11], s[4:5], 0x60
	v_or_b32_e32 v24, 16, v1
	s_waitcnt lgkmcnt(0)
	s_lshl_b64 s[6:7], s[8:9], 2
	s_mul_i32 s9, s10, s26
	s_mul_hi_u32 s26, s10, s25
	s_add_u32 s22, s22, s6
	s_mul_i32 s27, s11, s25
	s_addc_u32 s23, s23, s7
	s_add_i32 s6, s26, s9
	s_mul_i32 s8, s10, s25
	s_add_i32 s9, s6, s27
	s_mul_i32 s21, s10, s21
	s_lshl_b64 s[6:7], s[8:9], 2
	s_mul_hi_u32 s25, s10, s20
	s_add_u32 s28, s22, s6
	s_mul_i32 s8, s11, s20
	s_addc_u32 s29, s23, s7
	s_add_i32 s7, s25, s21
	s_mul_i32 s6, s10, s20
	s_add_i32 s7, s7, s8
	s_lshl_b64 s[6:7], s[6:7], 2
	s_add_u32 s8, s28, s6
	s_addc_u32 s9, s29, s7
	s_cmp_lt_i32 s24, 1
	s_cbranch_scc1 .LBB146_22
; %bb.14:
	v_mad_u64_u32 v[5:6], null, s12, v24, 0
	v_mad_u64_u32 v[7:8], null, s10, v0, 0
	v_lshlrev_b32_e32 v11, 7, v19
	v_lshl_add_u32 v33, v20, 2, 0xc00
	v_lshl_or_b32 v26, v0, 2, 0x800
	s_lshl_b64 s[6:7], s[10:11], 7
	v_mov_b32_e32 v2, v6
	s_cmp_lg_u32 s24, 1
	v_mov_b32_e32 v6, v8
	v_mad_u64_u32 v[8:9], null, s13, v24, v[2:3]
	v_mad_u64_u32 v[9:10], null, s11, v0, v[6:7]
	v_lshl_or_b32 v2, v1, 2, 0x800
	v_mov_b32_e32 v6, v8
	v_add_nc_u32_e32 v27, v2, v11
	v_mov_b32_e32 v8, v9
	v_lshlrev_b64 v[9:10], 2, v[5:6]
	v_lshlrev_b64 v[7:8], 2, v[7:8]
	s_cbranch_scc0 .LBB146_23
; %bb.15:
	v_mad_u64_u32 v[13:14], null, s12, v1, 0
	v_mov_b32_e32 v21, 0
	v_mov_b32_e32 v5, s8
	v_lshlrev_b64 v[11:12], 2, v[3:4]
	s_lshl_b64 s[20:21], s[2:3], 3
	v_mov_b32_e32 v6, s9
	s_waitcnt vmcnt(0)
	v_mov_b32_e32 v38, v32
	v_mov_b32_e32 v2, v14
	;; [unrolled: 1-line block ×6, first 2 shown]
	v_mad_u64_u32 v[14:15], null, s13, v1, v[2:3]
	v_mov_b32_e32 v2, v21
	v_mov_b32_e32 v41, v30
	;; [unrolled: 1-line block ×3, first 2 shown]
	s_add_i32 s31, s24, -2
	s_lshl_b64 s[22:23], s[2:3], 2
	s_sub_u32 s34, 0, s20
	v_lshlrev_b64 v[13:14], 2, v[13:14]
	s_mov_b32 s33, 0
	s_subb_u32 s35, 0, s21
	s_lshl_b64 s[26:27], s[16:17], 2
	s_mov_b64 s[20:21], s[14:15]
	s_mov_b64 s[24:25], s[18:19]
.LBB146_16:                             ; =>This Loop Header: Depth=1
                                        ;     Child Loop BB146_18 Depth 2
	v_add_co_u32 v15, vcc_lo, s20, v11
	v_add_co_ci_u32_e64 v16, null, s21, v12, vcc_lo
	s_add_u32 s24, s24, s26
	v_add_co_u32 v17, vcc_lo, v15, s22
	v_add_co_ci_u32_e64 v18, null, s23, v16, vcc_lo
	s_addc_u32 s25, s25, s27
	v_add_co_u32 v34, vcc_lo, v17, s22
	v_add_co_ci_u32_e64 v35, null, s23, v18, vcc_lo
	v_add_co_u32 v36, vcc_lo, s24, v9
	v_add_co_ci_u32_e64 v37, null, s25, v10, vcc_lo
	;; [unrolled: 2-line block ×3, first 2 shown]
	flat_load_dword v43, v[36:37]
	s_clause 0x3
	flat_load_dword v47, v[15:16] offset:192
	flat_load_dword v45, v[17:18] offset:192
	;; [unrolled: 1-line block ×4, first 2 shown]
	v_add_co_u32 v17, vcc_lo, v48, s34
	v_add_co_ci_u32_e64 v18, null, s35, v49, vcc_lo
	s_add_u32 s36, s24, s26
	v_add_co_u32 v36, vcc_lo, v17, s22
	v_add_co_ci_u32_e64 v37, null, s23, v18, vcc_lo
	s_addc_u32 s37, s25, s27
	v_add_co_u32 v48, vcc_lo, v36, s22
	v_add_co_ci_u32_e64 v49, null, s23, v37, vcc_lo
	v_add_co_u32 v50, vcc_lo, s36, v13
	v_add_co_ci_u32_e64 v51, null, s37, v14, vcc_lo
	s_clause 0x3
	flat_load_dword v35, v[17:18] offset:256
	flat_load_dword v36, v[36:37] offset:256
	;; [unrolled: 1-line block ×4, first 2 shown]
	flat_load_dword v25, v[50:51]
	ds_read_b128 v[15:18], v33
	s_waitcnt vmcnt(0) lgkmcnt(0)
	s_barrier
	buffer_gl0_inv
	v_fma_f32 v48, v39, v15, 0
	v_fmac_f32_e32 v48, v40, v16
	v_fmac_f32_e32 v48, v41, v17
	;; [unrolled: 1-line block ×3, first 2 shown]
	v_fma_f32 v15, v47, v15, 0
	v_fmac_f32_e32 v15, v45, v16
	v_fmac_f32_e32 v15, v44, v17
	;; [unrolled: 1-line block ×3, first 2 shown]
	ds_write2_b32 v27, v48, v15 offset1:16
	s_waitcnt lgkmcnt(0)
	s_barrier
	buffer_gl0_inv
	s_and_saveexec_b32 s36, s0
	s_cbranch_execz .LBB146_20
; %bb.17:                               ;   in Loop: Header=BB146_16 Depth=1
	v_add_co_u32 v5, vcc_lo, v5, s6
	v_add_co_ci_u32_e64 v6, null, s7, v6, vcc_lo
	s_mov_b32 s37, 0
	v_add_co_u32 v15, vcc_lo, v5, v7
	v_add_co_ci_u32_e64 v16, null, v6, v8, vcc_lo
	flat_load_dword v18, v[15:16]
	ds_read2_b32 v[48:49], v26 offset1:32
	ds_read2_b32 v[50:51], v26 offset0:64 offset1:96
	ds_read2_b32 v[52:53], v26 offset0:128 offset1:160
	s_waitcnt lgkmcnt(2)
	v_add_f32_e32 v17, 0, v48
	v_add_f32_e32 v17, v17, v49
	ds_read2_b32 v[48:49], v26 offset0:192 offset1:224
	s_waitcnt lgkmcnt(2)
	v_add_f32_e32 v17, v17, v50
	v_add_f32_e32 v17, v17, v51
	s_waitcnt lgkmcnt(1)
	v_add_f32_e32 v17, v17, v52
	v_add_f32_e32 v17, v17, v53
	;; [unrolled: 3-line block ×3, first 2 shown]
	v_mul_f32_e32 v48, s1, v17
.LBB146_18:                             ;   Parent Loop BB146_16 Depth=1
                                        ; =>  This Inner Loop Header: Depth=2
	s_waitcnt vmcnt(0)
	v_add_f32_e32 v17, v18, v48
	flat_atomic_cmpswap v17, v[15:16], v[17:18] glc
	s_waitcnt vmcnt(0) lgkmcnt(0)
	v_cmp_eq_u32_e32 vcc_lo, v17, v18
	v_mov_b32_e32 v18, v17
	s_or_b32 s37, vcc_lo, s37
	s_andn2_b32 exec_lo, exec_lo, s37
	s_cbranch_execnz .LBB146_18
; %bb.19:                               ;   in Loop: Header=BB146_16 Depth=1
	s_or_b32 exec_lo, exec_lo, s37
.LBB146_20:                             ;   in Loop: Header=BB146_16 Depth=1
	s_or_b32 exec_lo, exec_lo, s36
	v_fmac_f32_e32 v21, v38, v39
	v_fmac_f32_e32 v23, v38, v40
	;; [unrolled: 1-line block ×4, first 2 shown]
	s_add_u32 s20, s20, 0x80
	v_fmac_f32_e32 v21, v43, v47
	v_fmac_f32_e32 v23, v43, v45
	;; [unrolled: 1-line block ×4, first 2 shown]
	s_addc_u32 s21, s21, 0
	s_add_i32 s36, s33, 1
	s_cmp_eq_u32 s33, s31
	s_cbranch_scc1 .LBB146_24
; %bb.21:                               ;   in Loop: Header=BB146_16 Depth=1
	v_mov_b32_e32 v38, v25
	v_mov_b32_e32 v39, v37
	v_mov_b32_e32 v40, v35
	v_mov_b32_e32 v41, v36
	v_mov_b32_e32 v42, v34
	s_mov_b32 s33, s36
	s_branch .LBB146_16
.LBB146_22:
	v_mov_b32_e32 v5, s8
	v_mov_b32_e32 v6, s9
	;; [unrolled: 1-line block ×6, first 2 shown]
	s_waitcnt vmcnt(0)
	v_mov_b32_e32 v25, v32
	s_and_b32 vcc_lo, exec_lo, s30
	s_cbranch_vccnz .LBB146_31
	s_branch .LBB146_39
.LBB146_23:
                                        ; implicit-def: $vgpr34
                                        ; implicit-def: $vgpr36
                                        ; implicit-def: $vgpr35
                                        ; implicit-def: $vgpr37
                                        ; implicit-def: $vgpr22
                                        ; implicit-def: $vgpr23
                                        ; implicit-def: $vgpr21
                                        ; implicit-def: $sgpr24_sgpr25
                                        ; implicit-def: $vgpr5_vgpr6
                                        ; implicit-def: $vgpr25
                                        ; implicit-def: $sgpr20_sgpr21
                                        ; implicit-def: $sgpr22_sgpr23
	s_cbranch_execnz .LBB146_25
	s_branch .LBB146_26
.LBB146_24:
	s_branch .LBB146_26
.LBB146_25:
	v_mov_b32_e32 v21, 0
	v_mov_b32_e32 v5, s8
	;; [unrolled: 1-line block ×3, first 2 shown]
	s_waitcnt vmcnt(0)
	v_mov_b32_e32 v25, v32
	v_mov_b32_e32 v23, 0
	;; [unrolled: 1-line block ×8, first 2 shown]
	s_lshl_b64 s[22:23], s[2:3], 2
	s_mov_b64 s[20:21], s[14:15]
	s_mov_b64 s[24:25], s[18:19]
.LBB146_26:
	v_lshlrev_b64 v[11:12], 2, v[3:4]
	s_lshl_b64 s[8:9], s[16:17], 2
	v_fmac_f32_e32 v2, v25, v34
	s_add_u32 s18, s24, s8
	s_addc_u32 s19, s25, s9
	s_sub_u32 s8, 0, s22
	v_add_co_u32 v11, vcc_lo, s20, v11
	v_add_co_ci_u32_e64 v12, null, s21, v12, vcc_lo
	s_subb_u32 s9, 0, s23
	v_fmac_f32_e32 v22, v25, v36
	v_fmac_f32_e32 v23, v25, v35
	v_mad_u64_u32 v[16:17], null, s2, 12, v[11:12]
	v_fmac_f32_e32 v21, v25, v37
	s_add_u32 s14, s20, 0x80
	s_addc_u32 s15, s21, 0
	v_mov_b32_e32 v13, v17
	s_waitcnt vmcnt(4)
	v_add_co_u32 v28, vcc_lo, v16, s8
	v_mad_u64_u32 v[14:15], null, s3, 12, v[13:14]
	s_waitcnt vmcnt(3)
	v_add_co_ci_u32_e64 v29, null, s9, v14, vcc_lo
	v_add_co_u32 v17, vcc_lo, v28, s8
	v_add_co_ci_u32_e64 v18, null, s9, v29, vcc_lo
	v_add_co_u32 v9, vcc_lo, s18, v9
	v_add_co_ci_u32_e64 v10, null, s19, v10, vcc_lo
	s_clause 0x1
	flat_load_dword v13, v[17:18] offset:192
	flat_load_dword v15, v[11:12] offset:192
	v_mov_b32_e32 v17, v14
	s_clause 0x1
	flat_load_dword v14, v[28:29] offset:192
	flat_load_dword v12, v[16:17] offset:192
	flat_load_dword v11, v[9:10]
	s_waitcnt vmcnt(6)
	ds_read_b128 v[28:31], v33
	s_waitcnt vmcnt(0) lgkmcnt(0)
	s_barrier
	buffer_gl0_inv
	v_fma_f32 v9, v37, v28, 0
	v_fmac_f32_e32 v9, v35, v29
	v_fmac_f32_e32 v9, v36, v30
	v_fmac_f32_e32 v9, v34, v31
	v_fma_f32 v10, v15, v28, 0
	v_fmac_f32_e32 v10, v13, v29
	v_fmac_f32_e32 v10, v14, v30
	;; [unrolled: 1-line block ×3, first 2 shown]
	ds_write2_b32 v27, v9, v10 offset1:16
	s_waitcnt lgkmcnt(0)
	s_barrier
	buffer_gl0_inv
	s_and_saveexec_b32 s8, s0
	s_cbranch_execz .LBB146_30
; %bb.27:
	v_add_co_u32 v5, vcc_lo, v5, s6
	v_add_co_ci_u32_e64 v6, null, s7, v6, vcc_lo
	s_mov_b32 s6, 0
	v_add_co_u32 v7, vcc_lo, v5, v7
	v_add_co_ci_u32_e64 v8, null, v6, v8, vcc_lo
	flat_load_dword v10, v[7:8]
	ds_read2_b32 v[16:17], v26 offset1:32
	ds_read2_b32 v[27:28], v26 offset0:64 offset1:96
	ds_read2_b32 v[29:30], v26 offset0:128 offset1:160
	s_waitcnt lgkmcnt(2)
	v_add_f32_e32 v9, 0, v16
	v_add_f32_e32 v9, v9, v17
	ds_read2_b32 v[16:17], v26 offset0:192 offset1:224
	s_waitcnt lgkmcnt(2)
	v_add_f32_e32 v9, v9, v27
	v_add_f32_e32 v9, v9, v28
	s_waitcnt lgkmcnt(1)
	v_add_f32_e32 v9, v9, v29
	v_add_f32_e32 v9, v9, v30
	;; [unrolled: 3-line block ×3, first 2 shown]
	v_mul_f32_e32 v16, s1, v9
.LBB146_28:                             ; =>This Inner Loop Header: Depth=1
	s_waitcnt vmcnt(0)
	v_add_f32_e32 v9, v10, v16
	flat_atomic_cmpswap v9, v[7:8], v[9:10] glc
	s_waitcnt vmcnt(0) lgkmcnt(0)
	v_cmp_eq_u32_e32 vcc_lo, v9, v10
	v_mov_b32_e32 v10, v9
	s_or_b32 s6, vcc_lo, s6
	s_andn2_b32 exec_lo, exec_lo, s6
	s_cbranch_execnz .LBB146_28
; %bb.29:
	s_or_b32 exec_lo, exec_lo, s6
.LBB146_30:
	s_or_b32 exec_lo, exec_lo, s8
	v_fmac_f32_e32 v21, v11, v15
	v_fmac_f32_e32 v23, v11, v13
	;; [unrolled: 1-line block ×4, first 2 shown]
	s_and_b32 vcc_lo, exec_lo, s30
	s_cbranch_vccz .LBB146_39
.LBB146_31:
	s_load_dword s4, s[4:5], 0x78
	s_lshl_b64 s[6:7], s[16:17], 2
	v_mov_b32_e32 v7, 0
	v_mov_b32_e32 v15, 0
	;; [unrolled: 1-line block ×5, first 2 shown]
	s_add_u32 s5, s18, s6
	s_addc_u32 s6, s19, s7
	s_mov_b32 s7, exec_lo
	s_waitcnt lgkmcnt(0)
	v_cmpx_gt_i32_e64 s4, v1
	s_cbranch_execz .LBB146_33
; %bb.32:
	v_lshlrev_b64 v[8:9], 2, v[3:4]
	v_mad_u64_u32 v[12:13], null, s12, v1, 0
	s_lshl_b64 s[8:9], s[2:3], 2
	s_lshl_b64 s[16:17], s[2:3], 3
	v_add_co_u32 v8, vcc_lo, s14, v8
	v_add_co_ci_u32_e64 v9, null, s15, v9, vcc_lo
	v_mov_b32_e32 v10, v13
	v_add_co_u32 v25, vcc_lo, v8, s8
	v_mad_u64_u32 v[16:17], null, s2, 12, v[8:9]
	v_mad_u64_u32 v[13:14], null, s13, v1, v[10:11]
	v_add_co_ci_u32_e64 v26, null, s9, v9, vcc_lo
	v_add_co_u32 v27, vcc_lo, v8, s16
	v_mov_b32_e32 v10, v17
	v_add_co_ci_u32_e64 v28, null, s17, v9, vcc_lo
	v_lshlrev_b64 v[12:13], 2, v[12:13]
	v_mad_u64_u32 v[14:15], null, s3, 12, v[10:11]
	v_add_co_u32 v29, vcc_lo, s5, v12
	v_add_co_ci_u32_e64 v30, null, s6, v13, vcc_lo
	v_mov_b32_e32 v17, v14
	s_clause 0x3
	flat_load_dword v15, v[8:9] offset:128
	flat_load_dword v14, v[25:26] offset:128
	;; [unrolled: 1-line block ×4, first 2 shown]
	flat_load_dword v25, v[29:30]
.LBB146_33:
	s_or_b32 exec_lo, exec_lo, s7
	v_mov_b32_e32 v8, 0
	v_mov_b32_e32 v9, 0
	v_mov_b32_e32 v10, 0
	s_mov_b32 s7, exec_lo
	v_cmpx_gt_i32_e64 s4, v24
	s_cbranch_execz .LBB146_35
; %bb.34:
	v_lshlrev_b64 v[3:4], 2, v[3:4]
	v_mad_u64_u32 v[7:8], null, s12, v24, 0
	s_lshl_b64 s[8:9], s[2:3], 2
	v_add_co_u32 v3, vcc_lo, s14, v3
	v_add_co_ci_u32_e64 v4, null, s15, v4, vcc_lo
	v_mad_u64_u32 v[8:9], null, s13, v24, v[8:9]
	s_lshl_b64 s[12:13], s[2:3], 3
	v_mad_u64_u32 v[10:11], null, s2, 12, v[3:4]
	v_lshlrev_b64 v[7:8], 2, v[7:8]
	v_mov_b32_e32 v9, v11
	v_mad_u64_u32 v[16:17], null, s3, 12, v[9:10]
	v_add_co_u32 v17, vcc_lo, v3, s8
	v_add_co_ci_u32_e64 v18, null, s9, v4, vcc_lo
	v_add_co_u32 v26, vcc_lo, v3, s12
	v_add_co_ci_u32_e64 v27, null, s13, v4, vcc_lo
	v_add_co_u32 v28, vcc_lo, s5, v7
	v_mov_b32_e32 v11, v16
	v_add_co_ci_u32_e64 v29, null, s6, v8, vcc_lo
	s_clause 0x3
	flat_load_dword v7, v[3:4] offset:192
	flat_load_dword v8, v[17:18] offset:192
	;; [unrolled: 1-line block ×4, first 2 shown]
	flat_load_dword v11, v[28:29]
.LBB146_35:
	s_or_b32 exec_lo, exec_lo, s7
	v_lshlrev_b32_e32 v3, 2, v20
	s_waitcnt vmcnt(0) lgkmcnt(0)
	v_fmac_f32_e32 v21, v25, v15
	v_fmac_f32_e32 v23, v25, v14
	v_cmp_gt_i32_e32 vcc_lo, s4, v0
	v_fmac_f32_e32 v22, v25, v13
	ds_read_b128 v[26:29], v3 offset:3072
	v_fmac_f32_e32 v2, v25, v12
	s_waitcnt lgkmcnt(0)
	s_and_b32 s3, s0, vcc_lo
	s_barrier
	buffer_gl0_inv
	v_fma_f32 v3, v7, v26, 0
	v_fma_f32 v4, v15, v26, 0
	v_lshlrev_b32_e32 v15, 2, v1
	v_fmac_f32_e32 v3, v8, v27
	v_fmac_f32_e32 v4, v14, v27
	v_lshl_or_b32 v14, v19, 7, v15
	v_fmac_f32_e32 v3, v9, v28
	v_fmac_f32_e32 v4, v13, v28
	v_add_nc_u32_e32 v13, 0x800, v14
	v_fmac_f32_e32 v3, v10, v29
	v_fmac_f32_e32 v4, v12, v29
	ds_write2_b32 v13, v4, v3 offset1:16
	s_waitcnt lgkmcnt(0)
	s_barrier
	buffer_gl0_inv
	s_and_saveexec_b32 s2, s3
	s_cbranch_execz .LBB146_38
; %bb.36:
	v_mad_u64_u32 v[3:4], null, s10, v0, 0
	s_lshl_b64 s[4:5], s[10:11], 7
	s_mov_b32 s3, 0
	v_mad_u64_u32 v[12:13], null, s11, v0, v[4:5]
	v_add_co_u32 v5, vcc_lo, v5, s4
	v_add_co_ci_u32_e64 v6, null, s5, v6, vcc_lo
	v_mov_b32_e32 v4, v12
	v_lshlrev_b64 v[3:4], 2, v[3:4]
	v_add_co_u32 v3, vcc_lo, v5, v3
	v_add_co_ci_u32_e64 v4, null, v6, v4, vcc_lo
	v_lshlrev_b32_e32 v5, 2, v0
	flat_load_dword v6, v[3:4]
	v_add_nc_u32_e32 v5, 0x800, v5
	ds_read2_b32 v[12:13], v5 offset1:32
	ds_read2_b32 v[14:15], v5 offset0:64 offset1:96
	ds_read2_b32 v[16:17], v5 offset0:128 offset1:160
	s_waitcnt lgkmcnt(2)
	v_add_f32_e32 v12, 0, v12
	v_add_f32_e32 v12, v12, v13
	s_waitcnt lgkmcnt(1)
	v_add_f32_e32 v14, v12, v14
	ds_read2_b32 v[12:13], v5 offset0:192 offset1:224
	v_add_f32_e32 v5, v14, v15
	s_waitcnt lgkmcnt(1)
	v_add_f32_e32 v5, v5, v16
	v_add_f32_e32 v5, v5, v17
	s_waitcnt lgkmcnt(0)
	v_add_f32_e32 v5, v5, v12
	v_add_f32_e32 v5, v5, v13
	v_mul_f32_e32 v12, s1, v5
.LBB146_37:                             ; =>This Inner Loop Header: Depth=1
	s_waitcnt vmcnt(0)
	v_add_f32_e32 v5, v6, v12
	flat_atomic_cmpswap v5, v[3:4], v[5:6] glc
	s_waitcnt vmcnt(0) lgkmcnt(0)
	v_cmp_eq_u32_e32 vcc_lo, v5, v6
	v_mov_b32_e32 v6, v5
	s_or_b32 s3, vcc_lo, s3
	s_andn2_b32 exec_lo, exec_lo, s3
	s_cbranch_execnz .LBB146_37
.LBB146_38:
	s_or_b32 exec_lo, exec_lo, s2
	v_fmac_f32_e32 v21, v11, v7
	v_fmac_f32_e32 v23, v11, v8
	;; [unrolled: 1-line block ×4, first 2 shown]
.LBB146_39:
	v_lshlrev_b32_e32 v3, 8, v19
	v_lshl_or_b32 v3, v1, 2, v3
	ds_write2_b32 v3, v21, v23 offset1:16
	ds_write2_b32 v3, v22, v2 offset0:32 offset1:48
	s_waitcnt lgkmcnt(0)
	s_barrier
	buffer_gl0_inv
	s_and_saveexec_b32 s2, s0
	s_cbranch_execz .LBB146_42
; %bb.40:
	v_mad_u64_u32 v[2:3], null, s10, v0, 0
	v_add_nc_u32_e32 v6, 2, v0
	v_lshlrev_b32_e32 v7, 6, v0
	v_add_nc_u32_e32 v9, 3, v0
	v_add_nc_u32_e32 v10, 4, v0
	;; [unrolled: 1-line block ×3, first 2 shown]
	v_and_b32_e32 v6, 15, v6
	v_mad_u64_u32 v[3:4], null, s11, v0, v[3:4]
	v_add_nc_u32_e32 v4, 1, v0
	v_lshl_or_b32 v8, v1, 2, v7
	v_lshl_or_b32 v6, v6, 2, v7
	v_add_nc_u32_e32 v12, 6, v0
	v_add_nc_u32_e32 v13, 7, v0
	v_and_b32_e32 v4, 15, v4
	v_lshlrev_b64 v[2:3], 2, v[2:3]
	v_and_b32_e32 v9, 15, v9
	v_and_b32_e32 v10, 15, v10
	;; [unrolled: 1-line block ×3, first 2 shown]
	v_lshl_or_b32 v4, v4, 2, v7
	v_and_b32_e32 v12, 15, v12
	v_add_co_u32 v2, vcc_lo, s28, v2
	v_add_co_ci_u32_e64 v3, null, s29, v3, vcc_lo
	v_and_b32_e32 v13, 15, v13
	v_lshl_or_b32 v9, v9, 2, v7
	v_lshl_or_b32 v10, v10, 2, v7
	flat_load_dword v5, v[2:3]
	ds_read_b32 v8, v8
	ds_read_b32 v4, v4
	;; [unrolled: 1-line block ×3, first 2 shown]
	v_lshl_or_b32 v11, v11, 2, v7
	v_lshl_or_b32 v12, v12, 2, v7
	;; [unrolled: 1-line block ×3, first 2 shown]
	ds_read_b32 v9, v9
	ds_read_b32 v10, v10
	;; [unrolled: 1-line block ×5, first 2 shown]
	v_xor_b32_e32 v1, 8, v1
	s_mov_b32 s0, 0
	v_lshl_or_b32 v1, v1, 2, v7
	s_waitcnt lgkmcnt(7)
	v_add_f32_e32 v8, 0, v8
	s_waitcnt lgkmcnt(6)
	v_add_f32_e32 v4, v8, v4
	v_add_nc_u32_e32 v8, 10, v0
	s_waitcnt lgkmcnt(5)
	v_add_f32_e32 v4, v4, v6
	v_add_nc_u32_e32 v6, 9, v0
	v_and_b32_e32 v8, 15, v8
	s_waitcnt lgkmcnt(4)
	v_add_f32_e32 v4, v4, v9
	v_and_b32_e32 v6, 15, v6
	v_lshl_or_b32 v8, v8, 2, v7
	v_add_nc_u32_e32 v9, 11, v0
	s_waitcnt lgkmcnt(3)
	v_add_f32_e32 v4, v4, v10
	v_lshl_or_b32 v6, v6, 2, v7
	v_add_nc_u32_e32 v10, 12, v0
	ds_read_b32 v1, v1
	ds_read_b32 v6, v6
	;; [unrolled: 1-line block ×3, first 2 shown]
	s_waitcnt lgkmcnt(5)
	v_add_f32_e32 v4, v4, v11
	v_add_nc_u32_e32 v11, 13, v0
	v_and_b32_e32 v9, 15, v9
	v_and_b32_e32 v10, 15, v10
	s_waitcnt lgkmcnt(4)
	v_add_f32_e32 v4, v4, v12
	v_add_nc_u32_e32 v12, 14, v0
	v_add_nc_u32_e32 v0, -1, v0
	v_and_b32_e32 v11, 15, v11
	v_lshl_or_b32 v9, v9, 2, v7
	s_waitcnt lgkmcnt(3)
	v_add_f32_e32 v4, v4, v13
	v_and_b32_e32 v12, 15, v12
	v_and_b32_e32 v0, 15, v0
	v_lshl_or_b32 v10, v10, 2, v7
	v_lshl_or_b32 v11, v11, 2, v7
	;; [unrolled: 1-line block ×4, first 2 shown]
	ds_read_b32 v7, v9
	ds_read_b32 v9, v10
	ds_read_b32 v10, v11
	ds_read_b32 v11, v12
	ds_read_b32 v0, v0
	s_waitcnt lgkmcnt(7)
	v_add_f32_e32 v1, v4, v1
	s_waitcnt lgkmcnt(6)
	v_add_f32_e32 v1, v1, v6
	s_waitcnt lgkmcnt(5)
	v_add_f32_e32 v1, v1, v8
	s_waitcnt lgkmcnt(4)
	v_add_f32_e32 v1, v1, v7
	s_waitcnt lgkmcnt(3)
	v_add_f32_e32 v1, v1, v9
	s_waitcnt lgkmcnt(2)
	v_add_f32_e32 v1, v1, v10
	s_waitcnt lgkmcnt(1)
	v_add_f32_e32 v1, v1, v11
	s_waitcnt lgkmcnt(0)
	v_add_f32_e32 v0, v1, v0
	v_mul_f32_e32 v0, s1, v0
.LBB146_41:                             ; =>This Inner Loop Header: Depth=1
	s_waitcnt vmcnt(0)
	v_add_f32_e32 v4, v5, v0
	flat_atomic_cmpswap v1, v[2:3], v[4:5] glc
	s_waitcnt vmcnt(0) lgkmcnt(0)
	v_cmp_eq_u32_e32 vcc_lo, v1, v5
	v_mov_b32_e32 v5, v1
	s_or_b32 s0, vcc_lo, s0
	s_andn2_b32 exec_lo, exec_lo, s0
	s_cbranch_execnz .LBB146_41
.LBB146_42:
	s_endpgm
	.section	.rodata,"a",@progbits
	.p2align	6, 0x0
	.amdhsa_kernel _ZL62rocblas_symv_kernel_lower_double_buffered_non_diagonal_genericILi32ELi4ELi4E24rocblas_internal_val_ptrIfEPKPKfPKPfEvbiT2_lT3_lllSA_lllT4_lllii
		.amdhsa_group_segment_fixed_size 3200
		.amdhsa_private_segment_fixed_size 0
		.amdhsa_kernarg_size 384
		.amdhsa_user_sgpr_count 6
		.amdhsa_user_sgpr_private_segment_buffer 1
		.amdhsa_user_sgpr_dispatch_ptr 0
		.amdhsa_user_sgpr_queue_ptr 0
		.amdhsa_user_sgpr_kernarg_segment_ptr 1
		.amdhsa_user_sgpr_dispatch_id 0
		.amdhsa_user_sgpr_flat_scratch_init 0
		.amdhsa_user_sgpr_private_segment_size 0
		.amdhsa_wavefront_size32 1
		.amdhsa_uses_dynamic_stack 0
		.amdhsa_system_sgpr_private_segment_wavefront_offset 0
		.amdhsa_system_sgpr_workgroup_id_x 1
		.amdhsa_system_sgpr_workgroup_id_y 1
		.amdhsa_system_sgpr_workgroup_id_z 1
		.amdhsa_system_sgpr_workgroup_info 0
		.amdhsa_system_vgpr_workitem_id 1
		.amdhsa_next_free_vgpr 54
		.amdhsa_next_free_sgpr 38
		.amdhsa_reserve_vcc 1
		.amdhsa_reserve_flat_scratch 1
		.amdhsa_float_round_mode_32 0
		.amdhsa_float_round_mode_16_64 0
		.amdhsa_float_denorm_mode_32 3
		.amdhsa_float_denorm_mode_16_64 3
		.amdhsa_dx10_clamp 1
		.amdhsa_ieee_mode 1
		.amdhsa_fp16_overflow 0
		.amdhsa_workgroup_processor_mode 1
		.amdhsa_memory_ordered 1
		.amdhsa_forward_progress 1
		.amdhsa_shared_vgpr_count 0
		.amdhsa_exception_fp_ieee_invalid_op 0
		.amdhsa_exception_fp_denorm_src 0
		.amdhsa_exception_fp_ieee_div_zero 0
		.amdhsa_exception_fp_ieee_overflow 0
		.amdhsa_exception_fp_ieee_underflow 0
		.amdhsa_exception_fp_ieee_inexact 0
		.amdhsa_exception_int_div_zero 0
	.end_amdhsa_kernel
	.section	.text._ZL62rocblas_symv_kernel_lower_double_buffered_non_diagonal_genericILi32ELi4ELi4E24rocblas_internal_val_ptrIfEPKPKfPKPfEvbiT2_lT3_lllSA_lllT4_lllii,"axG",@progbits,_ZL62rocblas_symv_kernel_lower_double_buffered_non_diagonal_genericILi32ELi4ELi4E24rocblas_internal_val_ptrIfEPKPKfPKPfEvbiT2_lT3_lllSA_lllT4_lllii,comdat
.Lfunc_end146:
	.size	_ZL62rocblas_symv_kernel_lower_double_buffered_non_diagonal_genericILi32ELi4ELi4E24rocblas_internal_val_ptrIfEPKPKfPKPfEvbiT2_lT3_lllSA_lllT4_lllii, .Lfunc_end146-_ZL62rocblas_symv_kernel_lower_double_buffered_non_diagonal_genericILi32ELi4ELi4E24rocblas_internal_val_ptrIfEPKPKfPKPfEvbiT2_lT3_lllSA_lllT4_lllii
                                        ; -- End function
	.set _ZL62rocblas_symv_kernel_lower_double_buffered_non_diagonal_genericILi32ELi4ELi4E24rocblas_internal_val_ptrIfEPKPKfPKPfEvbiT2_lT3_lllSA_lllT4_lllii.num_vgpr, 54
	.set _ZL62rocblas_symv_kernel_lower_double_buffered_non_diagonal_genericILi32ELi4ELi4E24rocblas_internal_val_ptrIfEPKPKfPKPfEvbiT2_lT3_lllSA_lllT4_lllii.num_agpr, 0
	.set _ZL62rocblas_symv_kernel_lower_double_buffered_non_diagonal_genericILi32ELi4ELi4E24rocblas_internal_val_ptrIfEPKPKfPKPfEvbiT2_lT3_lllSA_lllT4_lllii.numbered_sgpr, 38
	.set _ZL62rocblas_symv_kernel_lower_double_buffered_non_diagonal_genericILi32ELi4ELi4E24rocblas_internal_val_ptrIfEPKPKfPKPfEvbiT2_lT3_lllSA_lllT4_lllii.num_named_barrier, 0
	.set _ZL62rocblas_symv_kernel_lower_double_buffered_non_diagonal_genericILi32ELi4ELi4E24rocblas_internal_val_ptrIfEPKPKfPKPfEvbiT2_lT3_lllSA_lllT4_lllii.private_seg_size, 0
	.set _ZL62rocblas_symv_kernel_lower_double_buffered_non_diagonal_genericILi32ELi4ELi4E24rocblas_internal_val_ptrIfEPKPKfPKPfEvbiT2_lT3_lllSA_lllT4_lllii.uses_vcc, 1
	.set _ZL62rocblas_symv_kernel_lower_double_buffered_non_diagonal_genericILi32ELi4ELi4E24rocblas_internal_val_ptrIfEPKPKfPKPfEvbiT2_lT3_lllSA_lllT4_lllii.uses_flat_scratch, 1
	.set _ZL62rocblas_symv_kernel_lower_double_buffered_non_diagonal_genericILi32ELi4ELi4E24rocblas_internal_val_ptrIfEPKPKfPKPfEvbiT2_lT3_lllSA_lllT4_lllii.has_dyn_sized_stack, 0
	.set _ZL62rocblas_symv_kernel_lower_double_buffered_non_diagonal_genericILi32ELi4ELi4E24rocblas_internal_val_ptrIfEPKPKfPKPfEvbiT2_lT3_lllSA_lllT4_lllii.has_recursion, 0
	.set _ZL62rocblas_symv_kernel_lower_double_buffered_non_diagonal_genericILi32ELi4ELi4E24rocblas_internal_val_ptrIfEPKPKfPKPfEvbiT2_lT3_lllSA_lllT4_lllii.has_indirect_call, 0
	.section	.AMDGPU.csdata,"",@progbits
; Kernel info:
; codeLenInByte = 3968
; TotalNumSgprs: 40
; NumVgprs: 54
; ScratchSize: 0
; MemoryBound: 0
; FloatMode: 240
; IeeeMode: 1
; LDSByteSize: 3200 bytes/workgroup (compile time only)
; SGPRBlocks: 0
; VGPRBlocks: 6
; NumSGPRsForWavesPerEU: 40
; NumVGPRsForWavesPerEU: 54
; Occupancy: 16
; WaveLimiterHint : 1
; COMPUTE_PGM_RSRC2:SCRATCH_EN: 0
; COMPUTE_PGM_RSRC2:USER_SGPR: 6
; COMPUTE_PGM_RSRC2:TRAP_HANDLER: 0
; COMPUTE_PGM_RSRC2:TGID_X_EN: 1
; COMPUTE_PGM_RSRC2:TGID_Y_EN: 1
; COMPUTE_PGM_RSRC2:TGID_Z_EN: 1
; COMPUTE_PGM_RSRC2:TIDIG_COMP_CNT: 1
	.section	.text._ZL26rocblas_hemvn_kernel_lowerILb0ELi64ELi4ELi33ELi32ELi16ElPKfPKS1_PfEviT6_lT7_lT5_lS6_lS7_lS5_lT8_i,"axG",@progbits,_ZL26rocblas_hemvn_kernel_lowerILb0ELi64ELi4ELi33ELi32ELi16ElPKfPKS1_PfEviT6_lT7_lT5_lS6_lS7_lS5_lT8_i,comdat
	.globl	_ZL26rocblas_hemvn_kernel_lowerILb0ELi64ELi4ELi33ELi32ELi16ElPKfPKS1_PfEviT6_lT7_lT5_lS6_lS7_lS5_lT8_i ; -- Begin function _ZL26rocblas_hemvn_kernel_lowerILb0ELi64ELi4ELi33ELi32ELi16ElPKfPKS1_PfEviT6_lT7_lT5_lS6_lS7_lS5_lT8_i
	.p2align	8
	.type	_ZL26rocblas_hemvn_kernel_lowerILb0ELi64ELi4ELi33ELi32ELi16ElPKfPKS1_PfEviT6_lT7_lT5_lS6_lS7_lS5_lT8_i,@function
_ZL26rocblas_hemvn_kernel_lowerILb0ELi64ELi4ELi33ELi32ELi16ElPKfPKS1_PfEviT6_lT7_lT5_lS6_lS7_lS5_lT8_i: ; @_ZL26rocblas_hemvn_kernel_lowerILb0ELi64ELi4ELi33ELi32ELi16ElPKfPKS1_PfEviT6_lT7_lT5_lS6_lS7_lS5_lT8_i
; %bb.0:
	s_load_dwordx2 s[2:3], s[4:5], 0x84
	s_add_u32 s0, s4, 0x78
	s_mov_b32 s16, s7
	s_addc_u32 s1, s5, 0
	s_waitcnt lgkmcnt(0)
	s_lshr_b32 s7, s2, 16
	s_and_b32 s2, s2, 0xffff
	s_and_b32 s3, s3, 0xffff
	s_mul_i32 s2, s7, s2
	s_mul_i32 s2, s2, s3
	s_cmpk_lg_i32 s2, 0x100
	s_cbranch_scc1 .LBB147_4
; %bb.1:
	s_clause 0x1
	s_load_dwordx8 s[8:15], s[4:5], 0x8
	s_load_dwordx4 s[20:23], s[4:5], 0x58
	s_mov_b32 s17, 0
	s_waitcnt lgkmcnt(0)
	s_mul_i32 s3, s11, s16
	s_mul_hi_u32 s7, s10, s16
	s_mul_i32 s2, s10, s16
	s_add_i32 s3, s7, s3
	s_mul_i32 s7, s23, s16
	s_lshl_b64 s[2:3], s[2:3], 2
	s_mul_hi_u32 s10, s22, s16
	s_add_u32 s2, s8, s2
	s_addc_u32 s3, s9, s3
	s_add_i32 s9, s10, s7
	s_mul_i32 s8, s22, s16
	s_lshl_b64 s[8:9], s[8:9], 2
	s_add_u32 s8, s20, s8
	s_addc_u32 s9, s21, s9
	s_load_dword s2, s[2:3], 0x0
	s_load_dword s3, s[8:9], 0x0
	s_waitcnt lgkmcnt(0)
	v_cmp_eq_f32_e64 s2, s2, 0
	v_cmp_eq_f32_e64 s3, s3, 1.0
	s_and_b32 s3, s2, s3
	s_and_b32 vcc_lo, exec_lo, s3
	s_cbranch_vccnz .LBB147_4
; %bb.2:
	s_and_b32 vcc_lo, exec_lo, s2
	s_cbranch_vccz .LBB147_5
; %bb.3:
	s_cbranch_execz .LBB147_6
.LBB147_4:
	s_endpgm
.LBB147_5:
.LBB147_6:
	s_load_dwordx4 s[20:23], s[4:5], 0x38
	s_lshl_b64 s[2:3], s[16:17], 3
	s_load_dword s17, s[4:5], 0x0
	s_add_u32 s8, s12, s2
	s_addc_u32 s9, s13, s3
	s_load_dwordx2 s[10:11], s[4:5], 0x48
	s_load_dword s30, s[0:1], 0x0
	s_waitcnt lgkmcnt(0)
	s_add_u32 s2, s20, s2
	s_addc_u32 s3, s21, s3
	s_lshl_b64 s[12:13], s[22:23], 2
	s_load_dwordx2 s[2:3], s[2:3], 0x0
	s_waitcnt lgkmcnt(0)
	s_add_u32 s7, s2, s12
	s_addc_u32 s19, s3, s13
	s_lshl_b32 s18, s6, 6
	s_clause 0x1
	s_load_dwordx2 s[12:13], s[4:5], 0x28
	s_load_dwordx2 s[22:23], s[4:5], 0x68
	;; [unrolled: 1-line block ×3, first 2 shown]
	v_add_nc_u32_e32 v18, s18, v0
	s_ashr_i32 s31, s17, 31
	s_add_i32 s4, s30, -1
	s_lshr_b32 s0, s31, 26
	v_ashrrev_i32_e32 v19, 31, v18
	v_mul_lo_u32 v4, s11, v18
	v_mad_u64_u32 v[2:3], null, s10, v18, 0
	s_add_i32 s1, s17, s0
	v_mul_lo_u32 v5, s10, v19
	s_andn2_b32 s1, s1, 63
	v_cmp_ne_u32_e64 s0, 0, v1
	s_sub_i32 s5, s17, s1
	v_cmp_eq_u32_e64 s1, 0, v1
	s_cmp_eq_u32 s6, s4
	s_cselect_b32 s20, s5, 0
	v_add3_u32 v3, v3, v5, v4
	v_lshlrev_b64 v[2:3], 2, v[2:3]
	v_add_co_u32 v6, vcc_lo, s7, v2
	v_add_co_ci_u32_e64 v7, null, s19, v3, vcc_lo
	s_and_saveexec_b32 s4, s1
	s_cbranch_execz .LBB147_10
; %bb.7:
	v_cmp_gt_i32_e32 vcc_lo, s20, v0
	s_cmp_eq_u32 s20, 0
	v_mov_b32_e32 v2, 0
	s_cselect_b32 s5, -1, 0
	s_or_b32 s7, s5, vcc_lo
	s_and_saveexec_b32 s5, s7
	s_cbranch_execz .LBB147_9
; %bb.8:
	flat_load_dword v2, v[6:7]
.LBB147_9:
	s_or_b32 exec_lo, exec_lo, s5
	v_lshlrev_b32_e32 v3, 2, v0
	s_waitcnt vmcnt(0) lgkmcnt(0)
	ds_write_b32 v3, v2 offset:4544
.LBB147_10:
	s_or_b32 exec_lo, exec_lo, s4
	v_lshl_add_u32 v16, v1, 6, v0
	v_and_b32_e32 v2, 31, v0
	v_mov_b32_e32 v3, 0
	s_lshl_b64 s[4:5], s[14:15], 2
	s_waitcnt lgkmcnt(0)
	s_mul_hi_u32 s7, s12, s18
	v_lshrrev_b32_e32 v5, 5, v16
	s_add_u32 s4, s2, s4
	s_addc_u32 s5, s3, s5
	s_ashr_i32 s19, s18, 31
	s_mul_i32 s8, s13, s18
	v_mad_u64_u32 v[3:4], null, s12, v5, v[2:3]
	s_lshl_b64 s[2:3], s[18:19], 2
	s_mul_i32 s9, s12, s19
	s_add_u32 s4, s4, s2
	s_addc_u32 s5, s5, s3
	s_add_i32 s3, s7, s9
	s_mul_i32 s2, s12, s18
	v_mad_u64_u32 v[8:9], null, s13, v5, v[4:5]
	s_add_i32 s3, s3, s8
	s_lshl_b64 s[24:25], s[2:3], 2
	s_cmp_lg_u32 s20, 0
	s_mov_b32 s2, -1
	s_cselect_b32 s33, -1, 0
	v_mov_b32_e32 v4, v8
	s_cmp_eq_u32 s20, 0
	s_cselect_b32 s8, -1, 0
	v_lshlrev_b64 v[8:9], 2, v[3:4]
	v_add_co_u32 v3, vcc_lo, s4, v8
	v_add_co_ci_u32_e64 v4, null, s5, v9, vcc_lo
	v_add_co_u32 v3, vcc_lo, v3, s24
	v_add_co_ci_u32_e64 v4, null, s25, v4, vcc_lo
	s_and_b32 vcc_lo, exec_lo, s33
	s_cbranch_vccnz .LBB147_12
; %bb.11:
	s_lshl_b64 s[2:3], s[12:13], 5
	v_add_co_u32 v10, vcc_lo, v3, s2
	v_add_co_ci_u32_e64 v11, null, s3, v4, vcc_lo
	v_add_co_u32 v12, vcc_lo, v10, s2
	v_add_co_ci_u32_e64 v13, null, s3, v11, vcc_lo
	;; [unrolled: 2-line block ×3, first 2 shown]
	s_clause 0x3
	flat_load_dword v17, v[3:4]
	flat_load_dword v10, v[10:11]
	;; [unrolled: 1-line block ×4, first 2 shown]
	v_mul_u32_u24_e32 v13, 0x84, v5
	s_mov_b32 s2, 0
	v_lshl_add_u32 v13, v2, 2, v13
	s_waitcnt vmcnt(3) lgkmcnt(3)
	ds_write_b32 v13, v17
	s_waitcnt vmcnt(2) lgkmcnt(3)
	ds_write_b32 v13, v10 offset:1056
	s_waitcnt vmcnt(1) lgkmcnt(3)
	ds_write_b32 v13, v11 offset:2112
	;; [unrolled: 2-line block ×3, first 2 shown]
.LBB147_12:
	s_andn2_b32 vcc_lo, exec_lo, s2
	s_cbranch_vccnz .LBB147_22
; %bb.13:
	v_lshlrev_b32_e32 v12, 2, v2
	s_ashr_i32 s21, s20, 31
	v_mov_b32_e32 v14, 0
	s_lshl_b64 s[4:5], s[20:21], 2
	v_mov_b32_e32 v17, 0
	v_sub_co_u32 v10, vcc_lo, v3, v12
	v_subrev_co_ci_u32_e64 v11, null, 0, v4, vcc_lo
	s_mov_b32 s3, exec_lo
	v_add_co_u32 v10, vcc_lo, v10, s4
	v_add_co_ci_u32_e64 v11, null, s5, v11, vcc_lo
	v_add_co_u32 v10, vcc_lo, v10, -4
	v_add_co_ci_u32_e64 v11, null, -1, v11, vcc_lo
	v_cmp_gt_i32_e32 vcc_lo, s20, v2
	v_cndmask_b32_e32 v11, v11, v4, vcc_lo
	v_cndmask_b32_e32 v10, v10, v3, vcc_lo
	v_cmpx_gt_i32_e64 s20, v5
	s_cbranch_execz .LBB147_15
; %bb.14:
	flat_load_dword v17, v[10:11]
.LBB147_15:
	s_or_b32 exec_lo, exec_lo, s3
	v_lshlrev_b32_e32 v13, 2, v2
	v_add_nc_u32_e32 v20, 8, v5
	v_mul_u32_u24_e32 v15, 0x84, v5
	s_mov_b32 s3, exec_lo
	v_mad_u32_u24 v21, 0x84, v5, v13
	s_waitcnt vmcnt(0) lgkmcnt(0)
	ds_write_b32 v21, v17
	v_cmpx_gt_i32_e64 s20, v20
	s_cbranch_execz .LBB147_17
; %bb.16:
	s_lshl_b64 s[14:15], s[12:13], 5
	v_add_co_u32 v20, s2, v10, s14
	v_add_co_ci_u32_e64 v21, null, s15, v11, s2
	flat_load_dword v14, v[20:21]
.LBB147_17:
	s_or_b32 exec_lo, exec_lo, s3
	v_add_nc_u32_e32 v17, 16, v5
	v_add_nc_u32_e32 v13, v15, v13
	v_mov_b32_e32 v15, 0
	v_cmp_gt_i32_e64 s2, s20, v17
	v_mov_b32_e32 v17, 0
	s_waitcnt vmcnt(0) lgkmcnt(0)
	ds_write_b32 v13, v14 offset:1056
	s_and_saveexec_b32 s3, s2
	s_cbranch_execz .LBB147_19
; %bb.18:
	s_lshl_b64 s[14:15], s[12:13], 6
	v_add_co_u32 v20, s2, v10, s14
	v_add_co_ci_u32_e64 v21, null, s15, v11, s2
	flat_load_dword v17, v[20:21]
.LBB147_19:
	s_or_b32 exec_lo, exec_lo, s3
	v_add_nc_u32_e32 v14, 24, v5
	s_mov_b32 s3, exec_lo
	s_waitcnt vmcnt(0) lgkmcnt(0)
	ds_write_b32 v13, v17 offset:2112
	v_cmpx_gt_i32_e64 s20, v14
	s_cbranch_execz .LBB147_21
; %bb.20:
	v_mad_u64_u32 v[14:15], null, 0x60, s12, v[10:11]
	v_mad_u64_u32 v[20:21], null, 0x60, s13, v[15:16]
	v_mov_b32_e32 v15, v20
	flat_load_dword v15, v[14:15]
.LBB147_21:
	s_or_b32 exec_lo, exec_lo, s3
	v_add_co_u32 v10, s2, v10, v12
	v_add_co_ci_u32_e64 v11, null, 0, v11, s2
	s_waitcnt vmcnt(0) lgkmcnt(0)
	ds_write_b32 v13, v15 offset:3168
	v_sub_co_u32 v10, s2, v10, s4
	v_subrev_co_ci_u32_e64 v11, null, s5, v11, s2
	v_add_co_u32 v10, s2, v10, 4
	v_add_co_ci_u32_e64 v11, null, 0, v11, s2
	v_cndmask_b32_e32 v3, v10, v3, vcc_lo
	v_cndmask_b32_e32 v4, v11, v4, vcc_lo
.LBB147_22:
	v_lshlrev_b32_e32 v13, 2, v2
	v_lshlrev_b32_e32 v12, 2, v5
	s_waitcnt lgkmcnt(0)
	s_barrier
	buffer_gl0_inv
	v_lshl_or_b32 v14, v2, 7, v13
	v_cmp_lt_u32_e64 s3, v12, v2
	v_mad_u32_u24 v11, 0x210, v5, v13
	s_and_saveexec_b32 s2, s3
	s_cbranch_execz .LBB147_24
; %bb.23:
	ds_read_b32 v10, v11
	v_lshl_add_u32 v15, v12, 2, v14
	s_waitcnt lgkmcnt(0)
	ds_write_b32 v15, v10
.LBB147_24:
	s_or_b32 exec_lo, exec_lo, s2
	v_or_b32_e32 v10, 1, v12
	v_cmp_lt_u32_e64 s4, v10, v2
	v_mad_u32_u24 v15, 0x84, v10, v13
	s_and_saveexec_b32 s2, s4
	s_cbranch_execz .LBB147_26
; %bb.25:
	ds_read_b32 v17, v15
	v_lshl_add_u32 v20, v12, 2, v14
	s_waitcnt lgkmcnt(0)
	ds_write_b32 v20, v17 offset:4
.LBB147_26:
	s_or_b32 exec_lo, exec_lo, s2
	v_or_b32_e32 v17, 2, v12
	v_cmp_lt_u32_e64 s5, v17, v2
	s_and_saveexec_b32 s2, s5
	s_cbranch_execz .LBB147_28
; %bb.27:
	v_mad_u32_u24 v17, 0x84, v17, v13
	v_lshl_add_u32 v20, v12, 2, v14
	ds_read_b32 v17, v17
	s_waitcnt lgkmcnt(0)
	ds_write_b32 v20, v17 offset:8
.LBB147_28:
	s_or_b32 exec_lo, exec_lo, s2
	v_or_b32_e32 v20, 3, v12
	s_mov_b32 s2, exec_lo
                                        ; implicit-def: $vgpr17
	v_cmp_lt_u32_e64 s7, v20, v2
	v_cmpx_ge_u32_e64 v20, v2
	s_xor_b32 s2, exec_lo, s2
; %bb.29:
	v_mul_u32_u24_e32 v17, 0x84, v20
                                        ; implicit-def: $vgpr14
                                        ; implicit-def: $vgpr20
; %bb.30:
	s_andn2_saveexec_b32 s2, s2
	s_cbranch_execz .LBB147_32
; %bb.31:
	v_mad_u32_u24 v17, 0x84, v20, v13
	v_lshl_add_u32 v14, v12, 2, v14
	ds_read_b32 v21, v17
	v_mul_u32_u24_e32 v17, 0x84, v20
	s_waitcnt lgkmcnt(0)
	ds_write_b32 v14, v21 offset:12
.LBB147_32:
	s_or_b32 exec_lo, exec_lo, s2
	v_lshlrev_b32_e32 v14, 2, v12
	s_waitcnt lgkmcnt(0)
	s_barrier
	buffer_gl0_inv
	ds_read_b32 v26, v11
	ds_read_b128 v[20:23], v14 offset:4544
	ds_read2_b32 v[24:25], v15 offset1:33
	v_add_nc_u32_e32 v11, v13, v17
	v_mul_u32_u24_e32 v17, 33, v2
	v_cmp_gt_u32_e64 s2, 32, v16
	ds_read_b32 v15, v11
	v_lshlrev_b32_e32 v17, 2, v17
	s_waitcnt lgkmcnt(0)
	s_barrier
	buffer_gl0_inv
	v_fma_f32 v26, v26, v20, 0
	v_lshl_add_u32 v20, v5, 2, v17
	v_fmac_f32_e32 v26, v24, v21
	v_mov_b32_e32 v24, 0
	v_fmac_f32_e32 v26, v25, v22
	v_fmac_f32_e32 v26, v15, v23
	ds_write_b32 v20, v26
	s_waitcnt lgkmcnt(0)
	s_barrier
	buffer_gl0_inv
	s_and_saveexec_b32 s9, s2
	s_cbranch_execz .LBB147_34
; %bb.33:
	ds_read2_b32 v[21:22], v17 offset1:1
	ds_read2_b32 v[23:24], v17 offset0:2 offset1:3
	ds_read2_b32 v[25:26], v17 offset0:4 offset1:5
	;; [unrolled: 1-line block ×3, first 2 shown]
	s_waitcnt lgkmcnt(3)
	v_add_f32_e32 v15, v21, v22
	s_waitcnt lgkmcnt(2)
	v_add_f32_e32 v15, v15, v23
	v_add_f32_e32 v15, v15, v24
	s_waitcnt lgkmcnt(1)
	v_add_f32_e32 v15, v15, v25
	;; [unrolled: 3-line block ×3, first 2 shown]
	v_add_f32_e32 v24, v15, v28
.LBB147_34:
	s_or_b32 exec_lo, exec_lo, s9
	s_lshl_b64 s[14:15], s[12:13], 7
	v_cndmask_b32_e64 v15, 0, 1, s8
	v_add_co_u32 v3, vcc_lo, v3, s14
	v_add_co_ci_u32_e64 v4, null, s15, v4, vcc_lo
	s_lshl_b64 s[26:27], s[12:13], 5
	v_add_co_u32 v21, vcc_lo, 0x80, v3
	v_add_co_ci_u32_e64 v22, null, 0, v4, vcc_lo
	s_andn2_b32 vcc_lo, exec_lo, s8
	s_mov_b32 s8, -1
	s_barrier
	buffer_gl0_inv
	s_cbranch_vccnz .LBB147_36
; %bb.35:
	v_add_co_u32 v25, vcc_lo, v3, s26
	v_add_co_ci_u32_e64 v26, null, s27, v4, vcc_lo
	s_mov_b32 s8, 0
	v_add_co_u32 v27, vcc_lo, v25, s26
	v_add_co_ci_u32_e64 v28, null, s27, v26, vcc_lo
	v_add_co_u32 v29, vcc_lo, v27, s26
	v_add_co_ci_u32_e64 v30, null, s27, v28, vcc_lo
	s_clause 0x3
	flat_load_dword v23, v[3:4] offset:128
	flat_load_dword v25, v[25:26] offset:128
	;; [unrolled: 1-line block ×4, first 2 shown]
	v_mad_u32_u24 v28, 0x84, v5, v13
	s_waitcnt vmcnt(3) lgkmcnt(3)
	ds_write_b32 v28, v23
	s_waitcnt vmcnt(2) lgkmcnt(3)
	ds_write_b32 v28, v25 offset:1056
	s_waitcnt vmcnt(1) lgkmcnt(3)
	ds_write_b32 v28, v26 offset:2112
	s_waitcnt vmcnt(0) lgkmcnt(3)
	ds_write_b32 v28, v27 offset:3168
.LBB147_36:
	s_andn2_b32 vcc_lo, exec_lo, s8
	s_cbranch_vccnz .LBB147_46
; %bb.37:
	v_lshlrev_b32_e32 v23, 2, v2
	s_ashr_i32 s21, s20, 31
	v_or_b32_e32 v25, 32, v2
	s_lshl_b64 s[28:29], s[20:21], 2
	v_mov_b32_e32 v26, 0
	v_sub_co_u32 v3, vcc_lo, v3, v23
	v_subrev_co_ci_u32_e64 v4, null, 0, v4, vcc_lo
	v_mov_b32_e32 v27, 0
	v_add_co_u32 v3, vcc_lo, v3, s28
	v_add_co_ci_u32_e64 v4, null, s29, v4, vcc_lo
	s_sub_i32 s9, s20, 32
	v_add_co_u32 v3, vcc_lo, v3, -4
	v_add_co_ci_u32_e64 v4, null, -1, v4, vcc_lo
	v_cmp_gt_i32_e32 vcc_lo, s20, v25
	s_mov_b32 s21, exec_lo
	v_cndmask_b32_e32 v4, v4, v22, vcc_lo
	v_cndmask_b32_e32 v3, v3, v21, vcc_lo
	v_cmpx_gt_i32_e64 s9, v5
	s_cbranch_execz .LBB147_39
; %bb.38:
	flat_load_dword v27, v[3:4]
.LBB147_39:
	s_or_b32 exec_lo, exec_lo, s21
	v_add_nc_u32_e32 v28, 8, v5
	v_mul_u32_u24_e32 v25, 0x84, v5
	v_mad_u32_u24 v29, 0x84, v5, v13
	s_mov_b32 s21, exec_lo
	s_waitcnt vmcnt(0) lgkmcnt(0)
	ds_write_b32 v29, v27
	v_cmpx_gt_i32_e64 s9, v28
	s_cbranch_execz .LBB147_41
; %bb.40:
	v_add_co_u32 v26, s8, v3, s26
	v_add_co_ci_u32_e64 v27, null, s27, v4, s8
	flat_load_dword v26, v[26:27]
.LBB147_41:
	s_or_b32 exec_lo, exec_lo, s21
	v_add_nc_u32_e32 v28, 16, v5
	v_add_nc_u32_e32 v25, v25, v13
	v_mov_b32_e32 v27, 0
	v_cmp_gt_i32_e64 s8, s9, v28
	v_mov_b32_e32 v28, 0
	s_waitcnt vmcnt(0) lgkmcnt(0)
	ds_write_b32 v25, v26 offset:1056
	s_and_saveexec_b32 s21, s8
	s_cbranch_execz .LBB147_43
; %bb.42:
	s_lshl_b64 s[34:35], s[12:13], 6
	v_add_co_u32 v28, s8, v3, s34
	v_add_co_ci_u32_e64 v29, null, s35, v4, s8
	flat_load_dword v28, v[28:29]
.LBB147_43:
	s_or_b32 exec_lo, exec_lo, s21
	v_add_nc_u32_e32 v26, 24, v5
	s_waitcnt vmcnt(0) lgkmcnt(0)
	ds_write_b32 v25, v28 offset:2112
	v_cmp_gt_i32_e64 s8, s9, v26
	s_and_saveexec_b32 s9, s8
	s_cbranch_execz .LBB147_45
; %bb.44:
	v_mad_u64_u32 v[26:27], null, 0x60, s12, v[3:4]
	v_mad_u64_u32 v[27:28], null, 0x60, s13, v[27:28]
	flat_load_dword v27, v[26:27]
.LBB147_45:
	s_or_b32 exec_lo, exec_lo, s9
	v_add_co_u32 v3, s8, v3, v23
	v_add_co_ci_u32_e64 v4, null, 0, v4, s8
	s_waitcnt vmcnt(0) lgkmcnt(0)
	ds_write_b32 v25, v27 offset:3168
	v_sub_co_u32 v3, s8, v3, s28
	v_subrev_co_ci_u32_e64 v4, null, s29, v4, s8
	v_add_co_u32 v3, s8, 0x84, v3
	v_add_co_ci_u32_e64 v4, null, 0, v4, s8
	v_cndmask_b32_e32 v21, v3, v21, vcc_lo
	v_cndmask_b32_e32 v22, v4, v22, vcc_lo
.LBB147_46:
	v_mul_u32_u24_e32 v3, 0x210, v5
	v_add_nc_u32_e32 v14, 0x11c0, v14
	v_mul_u32_u24_e32 v4, 0x84, v10
	s_waitcnt lgkmcnt(0)
	s_barrier
	v_add_nc_u32_e32 v3, v13, v3
	buffer_gl0_inv
	s_and_saveexec_b32 s8, s3
	s_cbranch_execnz .LBB147_55
; %bb.47:
	s_or_b32 exec_lo, exec_lo, s8
	v_add_nc_u32_e32 v4, v13, v4
	s_and_saveexec_b32 s3, s4
	s_cbranch_execnz .LBB147_56
.LBB147_48:
	s_or_b32 exec_lo, exec_lo, s3
	s_and_saveexec_b32 s3, s5
	s_cbranch_execnz .LBB147_57
.LBB147_49:
	s_or_b32 exec_lo, exec_lo, s3
	s_and_saveexec_b32 s3, s7
	s_cbranch_execz .LBB147_51
.LBB147_50:
	ds_read_b32 v10, v11
	v_lshl_add_u32 v23, v12, 2, v17
	s_waitcnt lgkmcnt(0)
	ds_write_b32 v23, v10 offset:12
.LBB147_51:
	s_or_b32 exec_lo, exec_lo, s3
	s_waitcnt lgkmcnt(0)
	s_barrier
	buffer_gl0_inv
	ds_read_b32 v10, v3
	ds_read_b128 v[25:28], v14 offset:128
	ds_read2_b32 v[3:4], v4 offset1:33
	ds_read_b32 v11, v11
	v_cmp_eq_u32_e64 s3, 1, v5
	s_waitcnt lgkmcnt(0)
	s_barrier
	buffer_gl0_inv
	v_fma_f32 v10, v10, v25, 0
	v_fmac_f32_e32 v10, v3, v26
	v_fmac_f32_e32 v10, v4, v27
	;; [unrolled: 1-line block ×3, first 2 shown]
	ds_write_b32 v20, v10
	s_waitcnt lgkmcnt(0)
	s_barrier
	buffer_gl0_inv
	s_and_saveexec_b32 s4, s3
	s_cbranch_execz .LBB147_53
; %bb.52:
	ds_read2_b32 v[3:4], v17 offset1:1
	ds_read2_b32 v[10:11], v17 offset0:2 offset1:3
	ds_read2_b32 v[23:24], v17 offset0:4 offset1:5
	;; [unrolled: 1-line block ×3, first 2 shown]
	s_waitcnt lgkmcnt(3)
	v_add_f32_e32 v3, v3, v4
	s_waitcnt lgkmcnt(2)
	v_add_f32_e32 v3, v3, v10
	v_add_f32_e32 v3, v3, v11
	s_waitcnt lgkmcnt(1)
	v_add_f32_e32 v3, v3, v23
	;; [unrolled: 3-line block ×3, first 2 shown]
	v_add_f32_e32 v24, v3, v26
.LBB147_53:
	s_or_b32 exec_lo, exec_lo, s4
	s_lshl_b64 s[4:5], s[26:27], 2
	v_cmp_ne_u32_e32 vcc_lo, 1, v15
	v_sub_co_u32 v10, s4, v21, s4
	v_subrev_co_ci_u32_e64 v11, null, s5, v22, s4
	s_barrier
	buffer_gl0_inv
	s_cbranch_vccnz .LBB147_58
; %bb.54:
	v_add_co_u32 v3, vcc_lo, v10, s26
	v_add_co_ci_u32_e64 v4, null, s27, v11, vcc_lo
	flat_load_dword v23, v[10:11]
	v_add_co_u32 v21, vcc_lo, v3, s26
	v_add_co_ci_u32_e64 v22, null, s27, v4, vcc_lo
	s_movk_i32 s4, 0x420
	v_add_co_u32 v25, vcc_lo, v21, s26
	v_add_co_ci_u32_e64 v26, null, s27, v22, vcc_lo
	s_movk_i32 s5, 0x840
	s_clause 0x2
	flat_load_dword v4, v[3:4]
	flat_load_dword v27, v[21:22]
	;; [unrolled: 1-line block ×3, first 2 shown]
	v_mad_u32_u24 v3, 0x84, v5, v13
	v_mad_u32_u24 v22, 0x84, v5, s4
	s_movk_i32 s4, 0xc60
	v_mad_u32_u24 v25, 0x84, v5, s5
	v_mul_u32_u24_e32 v15, 0x84, v5
	v_add_nc_u32_e32 v21, 8, v5
	v_add_nc_u32_e32 v29, v13, v22
	;; [unrolled: 1-line block ×4, first 2 shown]
	s_waitcnt vmcnt(3) lgkmcnt(3)
	ds_write_b32 v3, v23
	v_mad_u32_u24 v3, 0x84, v5, s4
	v_add_nc_u32_e32 v23, 16, v5
	s_waitcnt vmcnt(2) lgkmcnt(3)
	ds_write_b32 v29, v4
	s_waitcnt vmcnt(1) lgkmcnt(3)
	ds_write_b32 v30, v27
	v_add_nc_u32_e32 v31, v13, v3
	s_waitcnt vmcnt(0) lgkmcnt(3)
	ds_write_b32 v31, v28
	s_cbranch_execz .LBB147_59
	s_branch .LBB147_68
.LBB147_55:
	ds_read_b32 v10, v3
	v_lshl_add_u32 v23, v12, 2, v17
	s_waitcnt lgkmcnt(0)
	ds_write_b32 v23, v10
	s_or_b32 exec_lo, exec_lo, s8
	v_add_nc_u32_e32 v4, v13, v4
	s_and_saveexec_b32 s3, s4
	s_cbranch_execz .LBB147_48
.LBB147_56:
	ds_read_b32 v10, v4
	v_lshl_add_u32 v23, v12, 2, v17
	s_waitcnt lgkmcnt(0)
	ds_write_b32 v23, v10 offset:4
	s_or_b32 exec_lo, exec_lo, s3
	s_and_saveexec_b32 s3, s5
	s_cbranch_execz .LBB147_49
.LBB147_57:
	ds_read_b32 v10, v4 offset:132
	v_lshl_add_u32 v23, v12, 2, v17
	s_waitcnt lgkmcnt(0)
	ds_write_b32 v23, v10 offset:8
	s_or_b32 exec_lo, exec_lo, s3
	s_and_saveexec_b32 s3, s7
	s_cbranch_execnz .LBB147_50
	s_branch .LBB147_51
.LBB147_58:
                                        ; implicit-def: $vgpr15
                                        ; implicit-def: $vgpr21
                                        ; implicit-def: $vgpr22
                                        ; implicit-def: $vgpr23
                                        ; implicit-def: $vgpr25
                                        ; implicit-def: $vgpr26
                                        ; implicit-def: $vgpr3
.LBB147_59:
	v_or_b32_e32 v3, 32, v2
	s_ashr_i32 s21, s20, 31
	v_mov_b32_e32 v25, 0
	s_lshl_b64 s[8:9], s[20:21], 2
	v_mov_b32_e32 v22, 0
	v_lshlrev_b32_e32 v4, 2, v3
	s_mov_b32 s5, exec_lo
	v_sub_co_u32 v4, vcc_lo, v10, v4
	v_subrev_co_ci_u32_e64 v15, null, 0, v11, vcc_lo
	v_add_co_u32 v4, vcc_lo, v4, s8
	v_add_co_ci_u32_e64 v15, null, s9, v15, vcc_lo
	v_add_co_u32 v21, vcc_lo, v4, -4
	v_add_co_ci_u32_e64 v4, null, -1, v15, vcc_lo
	v_cmp_gt_i32_e32 vcc_lo, s20, v3
	v_cndmask_b32_e32 v4, v4, v11, vcc_lo
	v_cndmask_b32_e32 v3, v21, v10, vcc_lo
	v_cmpx_gt_i32_e64 s20, v5
	s_cbranch_execz .LBB147_61
; %bb.60:
	flat_load_dword v22, v[3:4]
.LBB147_61:
	s_or_b32 exec_lo, exec_lo, s5
	v_add_nc_u32_e32 v21, 8, v5
	v_mul_u32_u24_e32 v15, 0x84, v5
	v_mad_u32_u24 v23, 0x84, v5, v13
	s_mov_b32 s5, exec_lo
	s_waitcnt vmcnt(0) lgkmcnt(0)
	ds_write_b32 v23, v22
	v_cmpx_gt_i32_e64 s20, v21
	s_cbranch_execz .LBB147_63
; %bb.62:
	v_add_co_u32 v22, s4, v3, s26
	v_add_co_ci_u32_e64 v23, null, s27, v4, s4
	flat_load_dword v25, v[22:23]
.LBB147_63:
	s_or_b32 exec_lo, exec_lo, s5
	v_add_nc_u32_e32 v22, 0x420, v15
	v_add_nc_u32_e32 v23, 16, v5
	v_mov_b32_e32 v27, 0
	v_mov_b32_e32 v28, 0
	s_mov_b32 s5, exec_lo
	v_add_nc_u32_e32 v26, v13, v22
	s_waitcnt vmcnt(0) lgkmcnt(0)
	ds_write_b32 v26, v25
	v_cmpx_gt_i32_e64 s20, v23
	s_cbranch_execz .LBB147_65
; %bb.64:
	s_lshl_b64 s[26:27], s[12:13], 6
	v_add_co_u32 v25, s4, v3, s26
	v_add_co_ci_u32_e64 v26, null, s27, v4, s4
	flat_load_dword v28, v[25:26]
.LBB147_65:
	s_or_b32 exec_lo, exec_lo, s5
	v_add_nc_u32_e32 v25, 0x420, v22
	v_add_nc_u32_e32 v26, 24, v5
	s_mov_b32 s5, exec_lo
	v_add_nc_u32_e32 v5, v13, v25
	s_waitcnt vmcnt(0) lgkmcnt(0)
	ds_write_b32 v5, v28
	v_cmpx_gt_i32_e64 s20, v26
	s_cbranch_execz .LBB147_67
; %bb.66:
	v_mad_u64_u32 v[27:28], null, 0x60, s12, v[3:4]
	v_mov_b32_e32 v5, v28
	v_mad_u64_u32 v[28:29], null, 0x60, s13, v[5:6]
	flat_load_dword v27, v[27:28]
.LBB147_67:
	s_or_b32 exec_lo, exec_lo, s5
	v_lshlrev_b32_e32 v2, 2, v2
	v_add_co_u32 v2, s4, v3, v2
	v_add_co_ci_u32_e64 v3, null, 0, v4, s4
	v_sub_co_u32 v2, s4, v2, s8
	v_subrev_co_ci_u32_e64 v4, null, s9, v3, s4
	v_add_nc_u32_e32 v3, 0x420, v25
	v_add_co_u32 v2, s4, 0x84, v2
	v_add_co_ci_u32_e64 v4, null, 0, v4, s4
	v_add_nc_u32_e32 v5, v13, v3
	v_cndmask_b32_e32 v10, v2, v10, vcc_lo
	v_cndmask_b32_e32 v11, v4, v11, vcc_lo
	s_waitcnt vmcnt(0) lgkmcnt(0)
	ds_write_b32 v5, v27
.LBB147_68:
	v_add_nc_u32_e32 v2, v13, v15
	v_add_nc_u32_e32 v4, v13, v22
	v_lshlrev_b32_e32 v5, 2, v21
	s_waitcnt lgkmcnt(0)
	s_barrier
	buffer_gl0_inv
	ds_read_b32 v15, v2
	ds_read_b32 v21, v12 offset:4544
	ds_read_b32 v22, v4
	v_lshlrev_b32_e32 v4, 2, v23
	ds_read_b32 v23, v5 offset:4544
	v_add_nc_u32_e32 v2, v13, v25
	v_add_nc_u32_e32 v3, v13, v3
	v_lshlrev_b32_e32 v5, 2, v26
	ds_read_b32 v25, v2
	ds_read_b32 v26, v4 offset:4544
	ds_read_b32 v27, v3
	ds_read_b32 v28, v5 offset:4544
	v_lshl_add_u32 v12, v12, 2, v17
	ds_read_b128 v[2:5], v14 offset:128
	s_waitcnt lgkmcnt(7)
	v_fma_f32 v21, v15, v21, 0
	ds_read2_b32 v[14:15], v12 offset1:1
	ds_read2_b32 v[12:13], v12 offset0:2 offset1:3
	s_waitcnt lgkmcnt(0)
	s_barrier
	buffer_gl0_inv
	v_fmac_f32_e32 v21, v22, v23
	v_fmac_f32_e32 v21, v25, v26
	;; [unrolled: 1-line block ×3, first 2 shown]
	ds_write_b32 v20, v21
	s_waitcnt lgkmcnt(0)
	s_barrier
	buffer_gl0_inv
	s_and_saveexec_b32 s4, s3
	s_cbranch_execz .LBB147_70
; %bb.69:
	ds_read2_b32 v[21:22], v17 offset1:1
	ds_read2_b32 v[25:26], v17 offset0:2 offset1:3
	ds_read2_b32 v[27:28], v17 offset0:4 offset1:5
	;; [unrolled: 1-line block ×3, first 2 shown]
	s_waitcnt lgkmcnt(3)
	v_add_f32_e32 v21, v24, v21
	v_add_f32_e32 v21, v21, v22
	s_waitcnt lgkmcnt(2)
	v_add_f32_e32 v21, v21, v25
	v_add_f32_e32 v21, v21, v26
	;; [unrolled: 3-line block ×4, first 2 shown]
.LBB147_70:
	s_or_b32 exec_lo, exec_lo, s4
	v_fma_f32 v2, v14, v2, 0
	s_barrier
	buffer_gl0_inv
	v_fmac_f32_e32 v2, v15, v3
	v_fmac_f32_e32 v2, v12, v4
	;; [unrolled: 1-line block ×3, first 2 shown]
	ds_write_b32 v20, v2
	s_waitcnt lgkmcnt(0)
	s_barrier
	buffer_gl0_inv
	s_and_saveexec_b32 s3, s2
	s_cbranch_execz .LBB147_72
; %bb.71:
	ds_read2_b32 v[2:3], v17 offset1:1
	ds_read2_b32 v[4:5], v17 offset0:2 offset1:3
	ds_read2_b32 v[12:13], v17 offset0:4 offset1:5
	;; [unrolled: 1-line block ×3, first 2 shown]
	s_waitcnt lgkmcnt(3)
	v_add_f32_e32 v2, v24, v2
	v_add_f32_e32 v2, v2, v3
	s_waitcnt lgkmcnt(2)
	v_add_f32_e32 v2, v2, v4
	v_add_f32_e32 v2, v2, v5
	;; [unrolled: 3-line block ×4, first 2 shown]
.LBB147_72:
	s_or_b32 exec_lo, exec_lo, s3
	s_mul_hi_u32 s2, s17, s16
	s_mul_i32 s31, s31, s16
	s_mul_i32 s3, s17, s16
	s_add_i32 s2, s2, s31
	s_mul_hi_u32 s5, s3, s30
	s_mul_i32 s4, s2, s30
	s_mul_i32 s2, s3, s30
	s_add_i32 s3, s5, s4
	s_mul_i32 s4, s17, s6
	s_lshl_b64 s[2:3], s[2:3], 2
	v_cmp_le_i32_e32 vcc_lo, s20, v0
	s_add_u32 s7, s22, s2
	s_addc_u32 s8, s23, s3
	s_ashr_i32 s5, s4, 31
	v_lshlrev_b32_e32 v25, 2, v0
	s_lshl_b64 s[2:3], s[4:5], 2
	s_add_u32 s7, s7, s2
	s_addc_u32 s22, s8, s3
	s_and_b32 vcc_lo, s33, vcc_lo
	s_cmp_lt_i32 s6, 1
	s_barrier
	buffer_gl0_inv
	s_cbranch_scc1 .LBB147_79
; %bb.73:
	v_lshlrev_b32_e32 v4, 2, v1
	s_ashr_i32 s21, s20, 31
	s_mul_i32 s3, s10, s19
	s_lshl_b64 s[8:9], s[20:21], 2
	s_mul_hi_u32 s5, s10, s18
	v_mad_u64_u32 v[2:3], null, s12, v4, 0
	s_mul_i32 s16, s11, s18
	s_add_i32 s3, s5, s3
	s_mul_i32 s4, s10, s18
	s_add_i32 s5, s3, s16
	s_mul_i32 s3, s13, 12
	s_mul_hi_u32 s18, s12, 12
	v_mad_u64_u32 v[3:4], null, s13, v4, v[3:4]
	v_sub_co_u32 v4, s2, v10, s24
	v_subrev_co_ci_u32_e64 v10, null, s25, v11, s2
	s_add_i32 s20, s18, s3
	v_add_co_u32 v4, s2, 0xffffff80, v4
	v_add_co_ci_u32_e64 v10, null, -1, v10, s2
	v_lshlrev_b64 v[2:3], 2, v[2:3]
	v_sub_co_u32 v4, s2, v4, v8
	v_sub_co_ci_u32_e64 v8, null, v10, v9, s2
	s_mul_i32 s3, s13, 0x48
	v_add_co_u32 v2, s2, v4, v2
	v_add_co_ci_u32_e64 v3, null, v8, v3, s2
	s_mul_hi_u32 s23, s12, 0x48
	v_add_co_u32 v4, s2, v2, s8
	v_add_co_ci_u32_e64 v8, null, s9, v3, s2
	v_add_co_u32 v2, s2, v2, v25
	v_add_co_ci_u32_e64 v3, null, 0, v3, s2
	v_add_co_u32 v4, s2, v4, -4
	v_add_co_ci_u32_e64 v8, null, -1, v8, s2
	s_add_i32 s23, s23, s3
	s_mul_i32 s3, s13, 0x4c
	s_mul_hi_u32 s25, s12, 0x4c
	s_mul_hi_u32 s27, s12, 0x88
	s_add_i32 s25, s25, s3
	s_mul_i32 s3, s13, 0x88
	s_mul_hi_u32 s29, s12, 0x8c
	s_add_i32 s27, s27, s3
	s_mul_i32 s3, s13, 0x8c
	v_and_b32_e32 v5, 15, v0
	v_cndmask_b32_e32 v23, v3, v8, vcc_lo
	v_cndmask_b32_e32 v22, v2, v4, vcc_lo
	v_lshrrev_b32_e32 v2, 2, v16
	v_and_b32_e32 v3, 48, v0
	s_lshl_b64 s[4:5], s[4:5], 2
	s_add_i32 s29, s29, s3
	s_mul_i32 s3, s13, 0xc0
	s_mul_hi_u32 s31, s12, 0xc0
	v_sub_co_u32 v26, s2, v6, s4
	s_add_i32 s31, s31, s3
	s_mul_i32 s3, s13, 0xc8
	s_mul_hi_u32 s34, s12, 0xc8
	v_subrev_co_ci_u32_e64 v27, null, s5, v7, s2
	v_and_b32_e32 v2, 0x1ffc, v2
	v_mul_u32_u24_e32 v4, 0x10c, v5
	v_lshlrev_b32_e32 v3, 2, v3
	v_or_b32_e32 v6, 60, v25
	v_and_b32_e32 v7, 0x7ff0, v16
	s_add_i32 s34, s34, s3
	s_mul_i32 s3, s13, 0xcc
	s_mul_hi_u32 s36, s12, 0xcc
	s_mul_hi_u32 s38, s12, 0xc4
	s_add_i32 s36, s36, s3
	s_mul_i32 s3, s13, 0xc4
	s_mul_hi_u32 s40, s12, 0x84
	s_add_i32 s38, s38, s3
	s_mul_i32 s3, s13, 0x84
	v_mov_b32_e32 v21, 0
	v_add_nc_u32_e32 v28, 0x10c0, v25
	v_lshl_add_u32 v29, v1, 4, 0x10c0
	v_add_nc_u32_e32 v30, 0x11c0, v25
	v_mad_u32_u24 v31, 0x430, v1, v25
	v_mad_u32_u24 v32, 0x10c, v5, v2
	v_cmp_gt_u32_e64 s2, 64, v16
	v_mad_u32_u24 v33, 0x10c, v5, v3
	v_mad_u32_u24 v34, 0x10c, v5, v6
	v_add_nc_u32_e32 v35, v4, v7
	s_lshl_b64 s[4:5], s[12:13], 2
	s_lshl_b64 s[8:9], s[12:13], 3
	s_lshl_b64 s[16:17], s[12:13], 8
	s_lshl_b64 s[18:19], s[12:13], 6
	s_add_i32 s40, s40, s3
	s_mul_i32 s3, s13, 0x44
	s_mul_hi_u32 s13, s12, 0x44
	s_mul_i32 s21, s12, 12
	s_mul_i32 s24, s12, 0x48
	;; [unrolled: 1-line block ×10, first 2 shown]
	s_add_i32 s13, s13, s3
	s_mulk_i32 s12, 0x44
	s_mov_b32 s42, 0
	s_branch .LBB147_75
.LBB147_74:                             ;   in Loop: Header=BB147_75 Depth=1
	s_or_b32 exec_lo, exec_lo, s43
	v_fmac_f32_e32 v24, v39, v2
	v_add_co_u32 v22, s3, v22, s16
	v_add_co_ci_u32_e64 v23, null, s17, v23, s3
	v_fmac_f32_e32 v24, v37, v3
	s_add_i32 s6, s6, -1
	s_add_i32 s42, s42, 64
	s_cmp_eq_u32 s6, 0
	s_waitcnt_vscnt null, 0x0
	v_fmac_f32_e32 v24, v36, v4
	s_barrier
	buffer_gl0_inv
	v_fmac_f32_e32 v24, v38, v5
	v_fmac_f32_e32 v24, v43, v6
	;; [unrolled: 1-line block ×13, first 2 shown]
	s_cbranch_scc1 .LBB147_79
.LBB147_75:                             ; =>This Inner Loop Header: Depth=1
	s_and_saveexec_b32 s43, s1
	s_cbranch_execz .LBB147_77
; %bb.76:                               ;   in Loop: Header=BB147_75 Depth=1
	s_mul_i32 s3, s11, s42
	s_mul_hi_u32 s45, s10, s42
	s_mul_i32 s44, s10, s42
	s_add_i32 s45, s45, s3
	s_lshl_b64 s[44:45], s[44:45], 2
	v_add_co_u32 v2, s3, v26, s44
	v_add_co_ci_u32_e64 v3, null, s45, v27, s3
	flat_load_dword v2, v[2:3]
	s_waitcnt vmcnt(0) lgkmcnt(0)
	ds_write_b32 v28, v2
.LBB147_77:                             ;   in Loop: Header=BB147_75 Depth=1
	s_or_b32 exec_lo, exec_lo, s43
	v_add_co_u32 v2, s3, v22, s4
	v_add_co_ci_u32_e64 v3, null, s5, v23, s3
	v_add_co_u32 v4, s3, v22, s8
	v_add_co_ci_u32_e64 v5, null, s9, v23, s3
	;; [unrolled: 2-line block ×3, first 2 shown]
	s_waitcnt lgkmcnt(0)
	s_barrier
	buffer_gl0_inv
	s_clause 0x3
	flat_load_dword v39, v[22:23]
	flat_load_dword v37, v[2:3]
	;; [unrolled: 1-line block ×4, first 2 shown]
	ds_read_b32 v12, v30
	ds_read_b128 v[2:5], v29
	v_add_co_u32 v6, s3, v22, s18
	v_add_co_ci_u32_e64 v7, null, s19, v23, s3
	v_add_co_u32 v8, s3, v22, s12
	v_add_co_ci_u32_e64 v9, null, s13, v23, s3
	;; [unrolled: 2-line block ×3, first 2 shown]
	s_waitcnt vmcnt(3) lgkmcnt(1)
	v_mul_f32_e32 v14, v39, v12
	s_waitcnt vmcnt(2)
	v_mul_f32_e32 v15, v37, v12
	s_waitcnt vmcnt(1)
	;; [unrolled: 2-line block ×3, first 2 shown]
	v_mul_f32_e32 v17, v38, v12
	v_add_co_u32 v12, s3, v22, s26
	v_add_co_ci_u32_e64 v13, null, s25, v23, s3
	ds_write2_b32 v31, v14, v15 offset1:67
	ds_write2_b32 v31, v16, v17 offset0:134 offset1:201
	s_waitcnt lgkmcnt(0)
	s_barrier
	buffer_gl0_inv
	ds_read2_b32 v[52:53], v35 offset1:1
	ds_read2_b32 v[54:55], v35 offset0:2 offset1:3
	s_waitcnt lgkmcnt(0)
	s_barrier
	buffer_gl0_inv
	s_clause 0x3
	flat_load_dword v43, v[6:7]
	flat_load_dword v41, v[8:9]
	;; [unrolled: 1-line block ×4, first 2 shown]
	ds_read_b32 v16, v30
	ds_read_b128 v[6:9], v29 offset:64
	v_add_co_u32 v10, s3, v22, s14
	v_add_co_ci_u32_e64 v11, null, s15, v23, s3
	v_add_co_u32 v12, s3, v22, s41
	v_add_co_ci_u32_e64 v13, null, s40, v23, s3
	;; [unrolled: 2-line block ×3, first 2 shown]
	s_waitcnt vmcnt(3) lgkmcnt(1)
	v_mul_f32_e32 v20, v43, v16
	s_waitcnt vmcnt(2)
	v_mul_f32_e32 v44, v41, v16
	s_waitcnt vmcnt(1)
	;; [unrolled: 2-line block ×3, first 2 shown]
	v_mul_f32_e32 v46, v42, v16
	v_add_co_u32 v16, s3, v22, s30
	v_add_co_ci_u32_e64 v17, null, s29, v23, s3
	ds_write2_b32 v31, v20, v44 offset1:67
	ds_write2_b32 v31, v45, v46 offset0:134 offset1:201
	s_waitcnt lgkmcnt(0)
	s_barrier
	buffer_gl0_inv
	ds_read2_b32 v[56:57], v35 offset1:1
	ds_read2_b32 v[58:59], v35 offset0:2 offset1:3
	s_waitcnt lgkmcnt(0)
	s_barrier
	buffer_gl0_inv
	s_clause 0x3
	flat_load_dword v47, v[10:11]
	flat_load_dword v45, v[12:13]
	;; [unrolled: 1-line block ×4, first 2 shown]
	ds_read_b32 v20, v30
	ds_read_b128 v[10:13], v29 offset:128
	v_add_co_u32 v14, s3, v22, s33
	v_add_co_ci_u32_e64 v15, null, s31, v23, s3
	v_add_co_u32 v16, s3, v22, s39
	v_add_co_ci_u32_e64 v17, null, s38, v23, s3
	;; [unrolled: 2-line block ×4, first 2 shown]
	s_waitcnt vmcnt(3) lgkmcnt(1)
	v_mul_f32_e32 v50, v47, v20
	s_waitcnt vmcnt(2)
	v_mul_f32_e32 v51, v45, v20
	s_waitcnt vmcnt(1)
	;; [unrolled: 2-line block ×3, first 2 shown]
	v_mul_f32_e32 v20, v46, v20
	ds_write2_b32 v31, v50, v51 offset1:67
	ds_write2_b32 v31, v62, v20 offset0:134 offset1:201
	s_waitcnt lgkmcnt(0)
	s_barrier
	buffer_gl0_inv
	ds_read2_b32 v[62:63], v35 offset1:1
	ds_read2_b32 v[64:65], v35 offset0:2 offset1:3
	s_waitcnt lgkmcnt(0)
	s_barrier
	buffer_gl0_inv
	s_clause 0x3
	flat_load_dword v51, v[14:15]
	flat_load_dword v50, v[16:17]
	;; [unrolled: 1-line block ×4, first 2 shown]
	ds_read_b32 v20, v30
	ds_read_b128 v[14:17], v29 offset:192
	s_waitcnt vmcnt(3) lgkmcnt(1)
	v_mul_f32_e32 v60, v51, v20
	s_waitcnt vmcnt(2)
	v_mul_f32_e32 v61, v50, v20
	s_waitcnt vmcnt(1)
	;; [unrolled: 2-line block ×3, first 2 shown]
	v_mul_f32_e32 v20, v48, v20
	ds_write2_b32 v31, v60, v61 offset1:67
	ds_write2_b32 v31, v66, v20 offset0:134 offset1:201
	s_waitcnt lgkmcnt(0)
	s_barrier
	buffer_gl0_inv
	ds_read2_b32 v[60:61], v35 offset1:1
	ds_read2_b32 v[66:67], v35 offset0:2 offset1:3
	v_add_f32_e32 v20, 0, v52
	v_add_f32_e32 v52, 0, v56
	v_add_f32_e32 v56, 0, v62
	s_waitcnt lgkmcnt(0)
	s_barrier
	v_add_f32_e32 v20, v20, v53
	v_add_f32_e32 v52, v52, v57
	;; [unrolled: 1-line block ×3, first 2 shown]
	buffer_gl0_inv
	v_add_f32_e32 v20, v20, v54
	v_add_f32_e32 v52, v52, v58
	;; [unrolled: 1-line block ×10, first 2 shown]
	ds_write2_b32 v32, v20, v52 offset1:16
	ds_write2_b32 v32, v53, v54 offset0:32 offset1:48
	s_waitcnt lgkmcnt(0)
	s_barrier
	buffer_gl0_inv
	s_and_saveexec_b32 s43, s2
	s_cbranch_execz .LBB147_74
; %bb.78:                               ;   in Loop: Header=BB147_75 Depth=1
	ds_read2_b32 v[52:53], v33 offset1:1
	ds_read2_b32 v[54:55], v33 offset0:2 offset1:3
	ds_read2_b32 v[56:57], v33 offset0:4 offset1:5
	;; [unrolled: 1-line block ×3, first 2 shown]
	s_waitcnt lgkmcnt(3)
	v_add_f32_e32 v20, v52, v53
	ds_read2_b32 v[52:53], v33 offset0:8 offset1:9
	s_waitcnt lgkmcnt(3)
	v_add_f32_e32 v20, v20, v54
	v_add_f32_e32 v20, v20, v55
	ds_read2_b32 v[54:55], v33 offset0:10 offset1:11
	s_waitcnt lgkmcnt(3)
	v_add_f32_e32 v20, v20, v56
	v_add_f32_e32 v20, v20, v57
	s_waitcnt lgkmcnt(2)
	v_add_f32_e32 v20, v20, v58
	ds_read2_b32 v[56:57], v33 offset0:12 offset1:13
	ds_read_b32 v58, v33 offset:56
	v_add_f32_e32 v20, v20, v59
	s_waitcnt lgkmcnt(3)
	v_add_f32_e32 v20, v20, v52
	v_add_f32_e32 v20, v20, v53
	s_waitcnt lgkmcnt(2)
	v_add_f32_e32 v20, v20, v54
	ds_read_b32 v54, v34
	v_add_f32_e32 v20, v20, v55
	s_waitcnt lgkmcnt(2)
	v_add_f32_e32 v20, v20, v56
	v_add_f32_e32 v52, v20, v57
	v_add_nc_u32_e32 v20, s42, v0
	s_waitcnt lgkmcnt(1)
	v_add_f32_e32 v55, v52, v58
	v_lshlrev_b64 v[52:53], 2, v[20:21]
	s_waitcnt lgkmcnt(0)
	v_add_f32_e32 v20, v55, v54
	v_add_co_u32 v52, s3, s7, v52
	v_add_co_ci_u32_e64 v53, null, s22, v53, s3
	global_store_dword v[52:53], v20, off
	s_branch .LBB147_74
.LBB147_79:
	v_mad_u32_u24 v0, 0x10c, v1, v25
	s_nor_b32 s0, s0, vcc_lo
	ds_write_b32 v0, v24
	s_waitcnt lgkmcnt(0)
	s_barrier
	buffer_gl0_inv
	s_and_saveexec_b32 s1, s0
	s_cbranch_execz .LBB147_4
; %bb.80:
	ds_read2_b32 v[0:1], v25 offset1:67
	ds_read2_b32 v[2:3], v25 offset0:134 offset1:201
	s_waitcnt lgkmcnt(1)
	v_add_f32_e32 v0, v0, v1
	s_waitcnt lgkmcnt(0)
	v_add_f32_e32 v2, v0, v2
	v_lshlrev_b64 v[0:1], 2, v[18:19]
	v_add_f32_e32 v2, v2, v3
	v_add_co_u32 v0, vcc_lo, s7, v0
	v_add_co_ci_u32_e64 v1, null, s22, v1, vcc_lo
	global_store_dword v[0:1], v2, off
	s_endpgm
	.section	.rodata,"a",@progbits
	.p2align	6, 0x0
	.amdhsa_kernel _ZL26rocblas_hemvn_kernel_lowerILb0ELi64ELi4ELi33ELi32ELi16ElPKfPKS1_PfEviT6_lT7_lT5_lS6_lS7_lS5_lT8_i
		.amdhsa_group_segment_fixed_size 4800
		.amdhsa_private_segment_fixed_size 0
		.amdhsa_kernarg_size 376
		.amdhsa_user_sgpr_count 6
		.amdhsa_user_sgpr_private_segment_buffer 1
		.amdhsa_user_sgpr_dispatch_ptr 0
		.amdhsa_user_sgpr_queue_ptr 0
		.amdhsa_user_sgpr_kernarg_segment_ptr 1
		.amdhsa_user_sgpr_dispatch_id 0
		.amdhsa_user_sgpr_flat_scratch_init 0
		.amdhsa_user_sgpr_private_segment_size 0
		.amdhsa_wavefront_size32 1
		.amdhsa_uses_dynamic_stack 0
		.amdhsa_system_sgpr_private_segment_wavefront_offset 0
		.amdhsa_system_sgpr_workgroup_id_x 1
		.amdhsa_system_sgpr_workgroup_id_y 0
		.amdhsa_system_sgpr_workgroup_id_z 1
		.amdhsa_system_sgpr_workgroup_info 0
		.amdhsa_system_vgpr_workitem_id 1
		.amdhsa_next_free_vgpr 68
		.amdhsa_next_free_sgpr 46
		.amdhsa_reserve_vcc 1
		.amdhsa_reserve_flat_scratch 1
		.amdhsa_float_round_mode_32 0
		.amdhsa_float_round_mode_16_64 0
		.amdhsa_float_denorm_mode_32 3
		.amdhsa_float_denorm_mode_16_64 3
		.amdhsa_dx10_clamp 1
		.amdhsa_ieee_mode 1
		.amdhsa_fp16_overflow 0
		.amdhsa_workgroup_processor_mode 1
		.amdhsa_memory_ordered 1
		.amdhsa_forward_progress 1
		.amdhsa_shared_vgpr_count 0
		.amdhsa_exception_fp_ieee_invalid_op 0
		.amdhsa_exception_fp_denorm_src 0
		.amdhsa_exception_fp_ieee_div_zero 0
		.amdhsa_exception_fp_ieee_overflow 0
		.amdhsa_exception_fp_ieee_underflow 0
		.amdhsa_exception_fp_ieee_inexact 0
		.amdhsa_exception_int_div_zero 0
	.end_amdhsa_kernel
	.section	.text._ZL26rocblas_hemvn_kernel_lowerILb0ELi64ELi4ELi33ELi32ELi16ElPKfPKS1_PfEviT6_lT7_lT5_lS6_lS7_lS5_lT8_i,"axG",@progbits,_ZL26rocblas_hemvn_kernel_lowerILb0ELi64ELi4ELi33ELi32ELi16ElPKfPKS1_PfEviT6_lT7_lT5_lS6_lS7_lS5_lT8_i,comdat
.Lfunc_end147:
	.size	_ZL26rocblas_hemvn_kernel_lowerILb0ELi64ELi4ELi33ELi32ELi16ElPKfPKS1_PfEviT6_lT7_lT5_lS6_lS7_lS5_lT8_i, .Lfunc_end147-_ZL26rocblas_hemvn_kernel_lowerILb0ELi64ELi4ELi33ELi32ELi16ElPKfPKS1_PfEviT6_lT7_lT5_lS6_lS7_lS5_lT8_i
                                        ; -- End function
	.set _ZL26rocblas_hemvn_kernel_lowerILb0ELi64ELi4ELi33ELi32ELi16ElPKfPKS1_PfEviT6_lT7_lT5_lS6_lS7_lS5_lT8_i.num_vgpr, 68
	.set _ZL26rocblas_hemvn_kernel_lowerILb0ELi64ELi4ELi33ELi32ELi16ElPKfPKS1_PfEviT6_lT7_lT5_lS6_lS7_lS5_lT8_i.num_agpr, 0
	.set _ZL26rocblas_hemvn_kernel_lowerILb0ELi64ELi4ELi33ELi32ELi16ElPKfPKS1_PfEviT6_lT7_lT5_lS6_lS7_lS5_lT8_i.numbered_sgpr, 46
	.set _ZL26rocblas_hemvn_kernel_lowerILb0ELi64ELi4ELi33ELi32ELi16ElPKfPKS1_PfEviT6_lT7_lT5_lS6_lS7_lS5_lT8_i.num_named_barrier, 0
	.set _ZL26rocblas_hemvn_kernel_lowerILb0ELi64ELi4ELi33ELi32ELi16ElPKfPKS1_PfEviT6_lT7_lT5_lS6_lS7_lS5_lT8_i.private_seg_size, 0
	.set _ZL26rocblas_hemvn_kernel_lowerILb0ELi64ELi4ELi33ELi32ELi16ElPKfPKS1_PfEviT6_lT7_lT5_lS6_lS7_lS5_lT8_i.uses_vcc, 1
	.set _ZL26rocblas_hemvn_kernel_lowerILb0ELi64ELi4ELi33ELi32ELi16ElPKfPKS1_PfEviT6_lT7_lT5_lS6_lS7_lS5_lT8_i.uses_flat_scratch, 1
	.set _ZL26rocblas_hemvn_kernel_lowerILb0ELi64ELi4ELi33ELi32ELi16ElPKfPKS1_PfEviT6_lT7_lT5_lS6_lS7_lS5_lT8_i.has_dyn_sized_stack, 0
	.set _ZL26rocblas_hemvn_kernel_lowerILb0ELi64ELi4ELi33ELi32ELi16ElPKfPKS1_PfEviT6_lT7_lT5_lS6_lS7_lS5_lT8_i.has_recursion, 0
	.set _ZL26rocblas_hemvn_kernel_lowerILb0ELi64ELi4ELi33ELi32ELi16ElPKfPKS1_PfEviT6_lT7_lT5_lS6_lS7_lS5_lT8_i.has_indirect_call, 0
	.section	.AMDGPU.csdata,"",@progbits
; Kernel info:
; codeLenInByte = 6276
; TotalNumSgprs: 48
; NumVgprs: 68
; ScratchSize: 0
; MemoryBound: 0
; FloatMode: 240
; IeeeMode: 1
; LDSByteSize: 4800 bytes/workgroup (compile time only)
; SGPRBlocks: 0
; VGPRBlocks: 8
; NumSGPRsForWavesPerEU: 48
; NumVGPRsForWavesPerEU: 68
; Occupancy: 12
; WaveLimiterHint : 1
; COMPUTE_PGM_RSRC2:SCRATCH_EN: 0
; COMPUTE_PGM_RSRC2:USER_SGPR: 6
; COMPUTE_PGM_RSRC2:TRAP_HANDLER: 0
; COMPUTE_PGM_RSRC2:TGID_X_EN: 1
; COMPUTE_PGM_RSRC2:TGID_Y_EN: 0
; COMPUTE_PGM_RSRC2:TGID_Z_EN: 1
; COMPUTE_PGM_RSRC2:TIDIG_COMP_CNT: 1
	.section	.text._ZL36rocblas_hemvn_kernel_lower_block_sumILi64ElPKfPKPffEviT1_lS5_lT2_lT0_lPT3_i,"axG",@progbits,_ZL36rocblas_hemvn_kernel_lower_block_sumILi64ElPKfPKPffEviT1_lS5_lT2_lT0_lPT3_i,comdat
	.globl	_ZL36rocblas_hemvn_kernel_lower_block_sumILi64ElPKfPKPffEviT1_lS5_lT2_lT0_lPT3_i ; -- Begin function _ZL36rocblas_hemvn_kernel_lower_block_sumILi64ElPKfPKPffEviT1_lS5_lT2_lT0_lPT3_i
	.p2align	8
	.type	_ZL36rocblas_hemvn_kernel_lower_block_sumILi64ElPKfPKPffEviT1_lS5_lT2_lT0_lPT3_i,@function
_ZL36rocblas_hemvn_kernel_lower_block_sumILi64ElPKfPKPffEviT1_lS5_lT2_lT0_lPT3_i: ; @_ZL36rocblas_hemvn_kernel_lower_block_sumILi64ElPKfPKPffEviT1_lS5_lT2_lT0_lPT3_i
; %bb.0:
	s_load_dwordx8 s[12:19], s[4:5], 0x8
	s_mov_b32 s9, 0
	s_waitcnt lgkmcnt(0)
	s_mul_i32 s1, s15, s7
	s_mul_hi_u32 s2, s14, s7
	s_mul_i32 s0, s14, s7
	s_add_i32 s1, s2, s1
	s_mul_i32 s2, s19, s7
	s_lshl_b64 s[0:1], s[0:1], 2
	s_mul_hi_u32 s3, s18, s7
	s_add_u32 s0, s12, s0
	s_addc_u32 s1, s13, s1
	s_add_i32 s3, s3, s2
	s_mul_i32 s2, s18, s7
	s_lshl_b64 s[2:3], s[2:3], 2
	s_add_u32 s2, s16, s2
	s_addc_u32 s3, s17, s3
	s_load_dword s13, s[0:1], 0x0
	s_load_dword s14, s[2:3], 0x0
	s_waitcnt lgkmcnt(0)
	v_cmp_eq_f32_e64 s0, s13, 0
	v_cmp_eq_f32_e64 s1, s14, 1.0
	s_and_b32 s0, s0, s1
	s_and_b32 vcc_lo, exec_lo, s0
	s_cbranch_vccnz .LBB148_19
; %bb.1:
	s_clause 0x1
	s_load_dwordx2 s[16:17], s[4:5], 0x28
	s_load_dword s10, s[4:5], 0x0
	s_mov_b32 s8, s7
	s_load_dwordx4 s[0:3], s[4:5], 0x30
	s_lshl_b64 s[18:19], s[8:9], 3
	v_lshl_or_b32 v0, s6, 6, v0
	v_cmp_neq_f32_e64 s11, s13, 0
	s_waitcnt lgkmcnt(0)
	s_add_u32 s16, s16, s18
	s_addc_u32 s17, s17, s19
	s_lshl_b64 s[0:1], s[0:1], 2
	s_load_dwordx2 s[16:17], s[16:17], 0x0
	s_waitcnt lgkmcnt(0)
	s_add_u32 s7, s16, s0
	v_cmp_gt_i32_e64 s0, s10, v0
	s_addc_u32 s12, s17, s1
	s_and_b32 vcc_lo, exec_lo, s11
	s_cbranch_vccnz .LBB148_6
; %bb.2:
	s_mov_b32 s1, 0
                                        ; implicit-def: $vgpr3
                                        ; implicit-def: $vgpr1_vgpr2
	s_and_saveexec_b32 s11, s0
	s_cbranch_execz .LBB148_7
; %bb.3:
	v_ashrrev_i32_e32 v3, 31, v0
	v_mul_lo_u32 v4, s3, v0
	v_mad_u64_u32 v[1:2], null, s2, v0, 0
	v_cmp_eq_f32_e64 s0, s14, 0
	v_mul_lo_u32 v5, s2, v3
	v_mov_b32_e32 v3, 0
	s_and_b32 vcc_lo, exec_lo, s0
	v_add3_u32 v2, v2, v5, v4
	s_cbranch_vccnz .LBB148_5
; %bb.4:
	v_lshlrev_b64 v[3:4], 2, v[1:2]
	v_add_co_u32 v3, vcc_lo, s7, v3
	v_add_co_ci_u32_e64 v4, null, s12, v4, vcc_lo
	flat_load_dword v3, v[3:4]
	s_waitcnt vmcnt(0) lgkmcnt(0)
	v_mul_f32_e32 v3, s14, v3
.LBB148_5:
	s_mov_b32 s9, exec_lo
	s_or_b32 exec_lo, exec_lo, s11
	s_and_b32 vcc_lo, exec_lo, s1
	s_cbranch_vccnz .LBB148_8
	s_branch .LBB148_17
.LBB148_6:
                                        ; implicit-def: $vgpr3
                                        ; implicit-def: $vgpr1_vgpr2
	s_cbranch_execnz .LBB148_8
	s_branch .LBB148_17
.LBB148_7:
	s_or_b32 exec_lo, exec_lo, s11
	s_and_b32 vcc_lo, exec_lo, s1
	s_cbranch_vccz .LBB148_17
.LBB148_8:
	s_mov_b32 s15, exec_lo
                                        ; implicit-def: $vgpr3
                                        ; implicit-def: $vgpr1_vgpr2
	v_cmpx_gt_i32_e64 s10, v0
	s_cbranch_execz .LBB148_16
; %bb.9:
	s_load_dword s16, s[4:5], 0x58
	v_mov_b32_e32 v4, 0
	s_waitcnt lgkmcnt(0)
	s_cmp_ge_i32 s6, s16
	s_cbranch_scc1 .LBB148_12
; %bb.10:
	s_load_dwordx2 s[0:1], s[4:5], 0x48
	v_mad_u64_u32 v[1:2], null, s10, s6, v[0:1]
	s_ashr_i32 s11, s10, 31
	s_mul_hi_u32 s4, s10, s8
	s_mul_i32 s5, s11, s8
	s_mul_i32 s8, s10, s8
	s_add_i32 s4, s4, s5
	s_mul_hi_u32 s5, s8, s16
	v_ashrrev_i32_e32 v2, 31, v1
	s_mul_i32 s17, s4, s16
	s_mul_i32 s4, s8, s16
	s_add_i32 s5, s5, s17
	v_mov_b32_e32 v4, 0
	v_lshlrev_b64 v[1:2], 2, v[1:2]
	s_lshl_b64 s[4:5], s[4:5], 2
	s_waitcnt lgkmcnt(0)
	s_add_u32 s0, s0, s4
	s_addc_u32 s1, s1, s5
	v_add_co_u32 v1, vcc_lo, s0, v1
	v_add_co_ci_u32_e64 v2, null, s1, v2, vcc_lo
	s_lshl_b64 s[0:1], s[10:11], 2
.LBB148_11:                             ; =>This Inner Loop Header: Depth=1
	global_load_dword v3, v[1:2], off
	v_add_co_u32 v1, vcc_lo, v1, s0
	v_add_co_ci_u32_e64 v2, null, s1, v2, vcc_lo
	s_add_i32 s6, s6, 1
	s_cmp_ge_i32 s6, s16
	s_waitcnt vmcnt(0)
	v_add_f32_e32 v4, v4, v3
	s_cbranch_scc0 .LBB148_11
.LBB148_12:
	v_ashrrev_i32_e32 v1, 31, v0
	v_mul_lo_u32 v5, s3, v0
	v_cmp_eq_f32_e64 s0, s14, 0
	v_mul_lo_u32 v6, s2, v1
	s_and_b32 vcc_lo, exec_lo, s0
	s_mov_b32 s0, 0
	s_cbranch_vccz .LBB148_20
; %bb.13:
	v_mad_u64_u32 v[1:2], null, s2, v0, 0
	v_mul_f32_e32 v3, s13, v4
	v_add3_u32 v2, v2, v6, v5
	s_andn2_b32 vcc_lo, exec_lo, s0
	s_cbranch_vccnz .LBB148_15
.LBB148_14:
	v_mad_u64_u32 v[1:2], null, s2, v0, 0
	v_add3_u32 v2, v2, v6, v5
	v_lshlrev_b64 v[5:6], 2, v[1:2]
	v_add_co_u32 v5, vcc_lo, s7, v5
	v_add_co_ci_u32_e64 v6, null, s12, v6, vcc_lo
	flat_load_dword v0, v[5:6]
	s_waitcnt vmcnt(0) lgkmcnt(0)
	v_mul_f32_e32 v3, s14, v0
	v_fmac_f32_e32 v3, s13, v4
.LBB148_15:
	s_or_b32 s9, s9, exec_lo
.LBB148_16:
	s_or_b32 exec_lo, exec_lo, s15
.LBB148_17:
	s_and_saveexec_b32 s0, s9
	s_cbranch_execz .LBB148_19
; %bb.18:
	v_lshlrev_b64 v[0:1], 2, v[1:2]
	v_add_co_u32 v0, vcc_lo, s7, v0
	v_add_co_ci_u32_e64 v1, null, s12, v1, vcc_lo
	flat_store_dword v[0:1], v3
.LBB148_19:
	s_endpgm
.LBB148_20:
                                        ; implicit-def: $vgpr3
                                        ; implicit-def: $vgpr1_vgpr2
	s_branch .LBB148_14
	.section	.rodata,"a",@progbits
	.p2align	6, 0x0
	.amdhsa_kernel _ZL36rocblas_hemvn_kernel_lower_block_sumILi64ElPKfPKPffEviT1_lS5_lT2_lT0_lPT3_i
		.amdhsa_group_segment_fixed_size 0
		.amdhsa_private_segment_fixed_size 0
		.amdhsa_kernarg_size 344
		.amdhsa_user_sgpr_count 6
		.amdhsa_user_sgpr_private_segment_buffer 1
		.amdhsa_user_sgpr_dispatch_ptr 0
		.amdhsa_user_sgpr_queue_ptr 0
		.amdhsa_user_sgpr_kernarg_segment_ptr 1
		.amdhsa_user_sgpr_dispatch_id 0
		.amdhsa_user_sgpr_flat_scratch_init 0
		.amdhsa_user_sgpr_private_segment_size 0
		.amdhsa_wavefront_size32 1
		.amdhsa_uses_dynamic_stack 0
		.amdhsa_system_sgpr_private_segment_wavefront_offset 0
		.amdhsa_system_sgpr_workgroup_id_x 1
		.amdhsa_system_sgpr_workgroup_id_y 0
		.amdhsa_system_sgpr_workgroup_id_z 1
		.amdhsa_system_sgpr_workgroup_info 0
		.amdhsa_system_vgpr_workitem_id 0
		.amdhsa_next_free_vgpr 7
		.amdhsa_next_free_sgpr 20
		.amdhsa_reserve_vcc 1
		.amdhsa_reserve_flat_scratch 0
		.amdhsa_float_round_mode_32 0
		.amdhsa_float_round_mode_16_64 0
		.amdhsa_float_denorm_mode_32 3
		.amdhsa_float_denorm_mode_16_64 3
		.amdhsa_dx10_clamp 1
		.amdhsa_ieee_mode 1
		.amdhsa_fp16_overflow 0
		.amdhsa_workgroup_processor_mode 1
		.amdhsa_memory_ordered 1
		.amdhsa_forward_progress 1
		.amdhsa_shared_vgpr_count 0
		.amdhsa_exception_fp_ieee_invalid_op 0
		.amdhsa_exception_fp_denorm_src 0
		.amdhsa_exception_fp_ieee_div_zero 0
		.amdhsa_exception_fp_ieee_overflow 0
		.amdhsa_exception_fp_ieee_underflow 0
		.amdhsa_exception_fp_ieee_inexact 0
		.amdhsa_exception_int_div_zero 0
	.end_amdhsa_kernel
	.section	.text._ZL36rocblas_hemvn_kernel_lower_block_sumILi64ElPKfPKPffEviT1_lS5_lT2_lT0_lPT3_i,"axG",@progbits,_ZL36rocblas_hemvn_kernel_lower_block_sumILi64ElPKfPKPffEviT1_lS5_lT2_lT0_lPT3_i,comdat
.Lfunc_end148:
	.size	_ZL36rocblas_hemvn_kernel_lower_block_sumILi64ElPKfPKPffEviT1_lS5_lT2_lT0_lPT3_i, .Lfunc_end148-_ZL36rocblas_hemvn_kernel_lower_block_sumILi64ElPKfPKPffEviT1_lS5_lT2_lT0_lPT3_i
                                        ; -- End function
	.set _ZL36rocblas_hemvn_kernel_lower_block_sumILi64ElPKfPKPffEviT1_lS5_lT2_lT0_lPT3_i.num_vgpr, 7
	.set _ZL36rocblas_hemvn_kernel_lower_block_sumILi64ElPKfPKPffEviT1_lS5_lT2_lT0_lPT3_i.num_agpr, 0
	.set _ZL36rocblas_hemvn_kernel_lower_block_sumILi64ElPKfPKPffEviT1_lS5_lT2_lT0_lPT3_i.numbered_sgpr, 20
	.set _ZL36rocblas_hemvn_kernel_lower_block_sumILi64ElPKfPKPffEviT1_lS5_lT2_lT0_lPT3_i.num_named_barrier, 0
	.set _ZL36rocblas_hemvn_kernel_lower_block_sumILi64ElPKfPKPffEviT1_lS5_lT2_lT0_lPT3_i.private_seg_size, 0
	.set _ZL36rocblas_hemvn_kernel_lower_block_sumILi64ElPKfPKPffEviT1_lS5_lT2_lT0_lPT3_i.uses_vcc, 1
	.set _ZL36rocblas_hemvn_kernel_lower_block_sumILi64ElPKfPKPffEviT1_lS5_lT2_lT0_lPT3_i.uses_flat_scratch, 0
	.set _ZL36rocblas_hemvn_kernel_lower_block_sumILi64ElPKfPKPffEviT1_lS5_lT2_lT0_lPT3_i.has_dyn_sized_stack, 0
	.set _ZL36rocblas_hemvn_kernel_lower_block_sumILi64ElPKfPKPffEviT1_lS5_lT2_lT0_lPT3_i.has_recursion, 0
	.set _ZL36rocblas_hemvn_kernel_lower_block_sumILi64ElPKfPKPffEviT1_lS5_lT2_lT0_lPT3_i.has_indirect_call, 0
	.section	.AMDGPU.csdata,"",@progbits
; Kernel info:
; codeLenInByte = 744
; TotalNumSgprs: 22
; NumVgprs: 7
; ScratchSize: 0
; MemoryBound: 0
; FloatMode: 240
; IeeeMode: 1
; LDSByteSize: 0 bytes/workgroup (compile time only)
; SGPRBlocks: 0
; VGPRBlocks: 0
; NumSGPRsForWavesPerEU: 22
; NumVGPRsForWavesPerEU: 7
; Occupancy: 16
; WaveLimiterHint : 1
; COMPUTE_PGM_RSRC2:SCRATCH_EN: 0
; COMPUTE_PGM_RSRC2:USER_SGPR: 6
; COMPUTE_PGM_RSRC2:TRAP_HANDLER: 0
; COMPUTE_PGM_RSRC2:TGID_X_EN: 1
; COMPUTE_PGM_RSRC2:TGID_Y_EN: 0
; COMPUTE_PGM_RSRC2:TGID_Z_EN: 1
; COMPUTE_PGM_RSRC2:TIDIG_COMP_CNT: 0
	.section	.text._ZL26rocblas_hemvn_kernel_lowerILb0ELi64ELi4ELi33ELi32ELi16EiPKfPKS1_PfEviT6_lT7_lT5_lS6_lS7_lS5_lT8_i,"axG",@progbits,_ZL26rocblas_hemvn_kernel_lowerILb0ELi64ELi4ELi33ELi32ELi16EiPKfPKS1_PfEviT6_lT7_lT5_lS6_lS7_lS5_lT8_i,comdat
	.globl	_ZL26rocblas_hemvn_kernel_lowerILb0ELi64ELi4ELi33ELi32ELi16EiPKfPKS1_PfEviT6_lT7_lT5_lS6_lS7_lS5_lT8_i ; -- Begin function _ZL26rocblas_hemvn_kernel_lowerILb0ELi64ELi4ELi33ELi32ELi16EiPKfPKS1_PfEviT6_lT7_lT5_lS6_lS7_lS5_lT8_i
	.p2align	8
	.type	_ZL26rocblas_hemvn_kernel_lowerILb0ELi64ELi4ELi33ELi32ELi16EiPKfPKS1_PfEviT6_lT7_lT5_lS6_lS7_lS5_lT8_i,@function
_ZL26rocblas_hemvn_kernel_lowerILb0ELi64ELi4ELi33ELi32ELi16EiPKfPKS1_PfEviT6_lT7_lT5_lS6_lS7_lS5_lT8_i: ; @_ZL26rocblas_hemvn_kernel_lowerILb0ELi64ELi4ELi33ELi32ELi16EiPKfPKS1_PfEviT6_lT7_lT5_lS6_lS7_lS5_lT8_i
; %bb.0:
	s_load_dwordx2 s[2:3], s[4:5], 0x84
	s_add_u32 s0, s4, 0x78
	s_mov_b32 s16, s7
	s_addc_u32 s1, s5, 0
	s_waitcnt lgkmcnt(0)
	s_lshr_b32 s7, s2, 16
	s_and_b32 s2, s2, 0xffff
	s_and_b32 s3, s3, 0xffff
	s_mul_i32 s2, s7, s2
	s_mul_i32 s2, s2, s3
	s_cmpk_lg_i32 s2, 0x100
	s_cbranch_scc1 .LBB149_4
; %bb.1:
	s_clause 0x1
	s_load_dwordx8 s[8:15], s[4:5], 0x8
	s_load_dwordx4 s[20:23], s[4:5], 0x58
	s_mov_b32 s17, 0
	s_waitcnt lgkmcnt(0)
	s_mul_i32 s3, s11, s16
	s_mul_hi_u32 s7, s10, s16
	s_mul_i32 s2, s10, s16
	s_add_i32 s3, s7, s3
	s_mul_i32 s7, s23, s16
	s_lshl_b64 s[2:3], s[2:3], 2
	s_mul_hi_u32 s10, s22, s16
	s_add_u32 s2, s8, s2
	s_addc_u32 s3, s9, s3
	s_add_i32 s9, s10, s7
	s_mul_i32 s8, s22, s16
	s_lshl_b64 s[8:9], s[8:9], 2
	s_add_u32 s8, s20, s8
	s_addc_u32 s9, s21, s9
	s_load_dword s2, s[2:3], 0x0
	s_load_dword s3, s[8:9], 0x0
	s_waitcnt lgkmcnt(0)
	v_cmp_eq_f32_e64 s2, s2, 0
	v_cmp_eq_f32_e64 s3, s3, 1.0
	s_and_b32 s3, s2, s3
	s_and_b32 vcc_lo, exec_lo, s3
	s_cbranch_vccnz .LBB149_4
; %bb.2:
	v_mov_b32_e32 v2, v1
	s_and_b32 vcc_lo, exec_lo, s2
	s_cbranch_vccz .LBB149_5
; %bb.3:
	s_cbranch_execz .LBB149_6
.LBB149_4:
	s_endpgm
.LBB149_5:
.LBB149_6:
	s_load_dwordx4 s[8:11], s[4:5], 0x38
	s_lshl_b64 s[2:3], s[16:17], 3
	s_load_dword s17, s[4:5], 0x48
	s_add_u32 s18, s12, s2
	s_addc_u32 s19, s13, s3
	s_waitcnt lgkmcnt(0)
	s_add_u32 s2, s8, s2
	s_addc_u32 s3, s9, s3
	s_lshl_b64 s[8:9], s[10:11], 2
	s_load_dwordx2 s[2:3], s[2:3], 0x0
	s_load_dword s26, s[4:5], 0x0
	s_load_dword s27, s[0:1], 0x0
	s_waitcnt lgkmcnt(0)
	s_add_u32 s7, s2, s8
	s_addc_u32 s8, s3, s9
	s_lshl_b32 s12, s6, 6
	s_load_dwordx2 s[20:21], s[4:5], 0x68
	s_load_dwordx2 s[2:3], s[18:19], 0x0
	v_add_nc_u32_e32 v19, s12, v0
	s_ashr_i32 s28, s26, 31
	s_add_i32 s9, s27, -1
	s_lshr_b32 s0, s28, 26
	v_mul_lo_u32 v3, s17, v19
	s_add_i32 s1, s26, s0
	v_cmp_ne_u32_e64 s0, 0, v2
	s_andn2_b32 s1, s1, 63
	s_sub_i32 s10, s26, s1
	v_cmp_eq_u32_e64 s1, 0, v2
	s_cmp_eq_u32 s6, s9
	v_ashrrev_i32_e32 v4, 31, v3
	s_cselect_b32 s18, s10, 0
	v_lshlrev_b64 v[3:4], 2, v[3:4]
	v_add_co_u32 v7, vcc_lo, s7, v3
	v_add_co_ci_u32_e64 v8, null, s8, v4, vcc_lo
	s_and_saveexec_b32 s7, s1
	s_cbranch_execz .LBB149_10
; %bb.7:
	v_cmp_gt_i32_e32 vcc_lo, s18, v0
	s_cmp_eq_u32 s18, 0
	v_mov_b32_e32 v1, 0
	s_cselect_b32 s8, -1, 0
	s_or_b32 s9, s8, vcc_lo
	s_and_saveexec_b32 s8, s9
	s_cbranch_execz .LBB149_9
; %bb.8:
	flat_load_dword v1, v[7:8]
.LBB149_9:
	s_or_b32 exec_lo, exec_lo, s8
	v_lshlrev_b32_e32 v3, 2, v0
	s_waitcnt vmcnt(0) lgkmcnt(0)
	ds_write_b32 v3, v1 offset:4544
.LBB149_10:
	s_or_b32 exec_lo, exec_lo, s7
	s_load_dword s10, s[4:5], 0x28
	v_lshl_add_u32 v17, v2, 6, v0
	v_and_b32_e32 v1, 31, v0
	s_lshl_b64 s[4:5], s[14:15], 2
	s_waitcnt lgkmcnt(0)
	s_add_u32 s4, s2, s4
	v_lshrrev_b32_e32 v13, 5, v17
	s_addc_u32 s5, s3, s5
	s_ashr_i32 s13, s12, 31
	s_lshl_b64 s[2:3], s[12:13], 2
	s_add_u32 s4, s4, s2
	s_addc_u32 s5, s5, s3
	v_mad_u64_u32 v[3:4], null, s10, v13, v[1:2]
	s_mul_i32 s2, s10, s12
	s_ashr_i32 s3, s2, 31
	s_lshl_b64 s[14:15], s[2:3], 2
	s_cmp_lg_u32 s18, 0
	v_ashrrev_i32_e32 v4, 31, v3
	s_cselect_b32 s13, -1, 0
	s_cmp_eq_u32 s18, 0
	s_mov_b32 s2, -1
	s_cselect_b32 s8, -1, 0
	v_lshlrev_b64 v[9:10], 2, v[3:4]
	v_add_co_u32 v3, vcc_lo, s4, v9
	v_add_co_ci_u32_e64 v4, null, s5, v10, vcc_lo
	v_add_co_u32 v3, vcc_lo, v3, s14
	v_add_co_ci_u32_e64 v4, null, s15, v4, vcc_lo
	s_and_b32 vcc_lo, exec_lo, s13
	s_cbranch_vccnz .LBB149_12
; %bb.11:
	s_lshl_b32 s2, s10, 3
	s_ashr_i32 s11, s10, 31
	s_ashr_i32 s3, s2, 31
	s_lshl_b64 s[2:3], s[2:3], 2
	v_add_co_u32 v5, vcc_lo, v3, s2
	v_add_co_ci_u32_e64 v6, null, s3, v4, vcc_lo
	s_lshl_b64 s[2:3], s[10:11], 5
	v_add_co_u32 v11, vcc_lo, v5, s2
	v_add_co_ci_u32_e64 v12, null, s3, v6, vcc_lo
	v_add_co_u32 v14, vcc_lo, v11, s2
	v_add_co_ci_u32_e64 v15, null, s3, v12, vcc_lo
	s_clause 0x3
	flat_load_dword v16, v[3:4]
	flat_load_dword v5, v[5:6]
	;; [unrolled: 1-line block ×4, first 2 shown]
	v_mul_u32_u24_e32 v12, 0x84, v13
	s_mov_b32 s2, 0
	v_lshl_add_u32 v12, v1, 2, v12
	s_waitcnt vmcnt(3) lgkmcnt(3)
	ds_write_b32 v12, v16
	s_waitcnt vmcnt(2) lgkmcnt(3)
	ds_write_b32 v12, v5 offset:1056
	s_waitcnt vmcnt(1) lgkmcnt(3)
	ds_write_b32 v12, v6 offset:2112
	;; [unrolled: 2-line block ×3, first 2 shown]
.LBB149_12:
	v_lshlrev_b32_e32 v14, 2, v1
	s_andn2_b32 vcc_lo, exec_lo, s2
	s_cbranch_vccnz .LBB149_22
; %bb.13:
	v_sub_co_u32 v5, vcc_lo, v3, v14
	s_ashr_i32 s19, s18, 31
	v_subrev_co_ci_u32_e64 v6, null, 0, v4, vcc_lo
	s_lshl_b64 s[4:5], s[18:19], 2
	v_mov_b32_e32 v15, 0
	v_add_co_u32 v5, vcc_lo, v5, s4
	v_add_co_ci_u32_e64 v6, null, s5, v6, vcc_lo
	v_mov_b32_e32 v12, 0
	v_add_co_u32 v5, vcc_lo, v5, -4
	v_add_co_ci_u32_e64 v6, null, -1, v6, vcc_lo
	v_cmp_gt_i32_e32 vcc_lo, s18, v1
	s_mov_b32 s3, exec_lo
	v_cndmask_b32_e32 v6, v6, v4, vcc_lo
	v_cndmask_b32_e32 v5, v5, v3, vcc_lo
	v_cmpx_gt_i32_e64 s18, v13
	s_cbranch_execz .LBB149_15
; %bb.14:
	flat_load_dword v12, v[5:6]
.LBB149_15:
	s_or_b32 exec_lo, exec_lo, s3
	v_add_nc_u32_e32 v16, 8, v13
	v_mul_u32_u24_e32 v11, 0x84, v13
	v_mad_u32_u24 v18, 0x84, v13, v14
	s_mov_b32 s3, exec_lo
	s_waitcnt vmcnt(0) lgkmcnt(0)
	ds_write_b32 v18, v12
	v_cmpx_gt_i32_e64 s18, v16
	s_cbranch_execz .LBB149_17
; %bb.16:
	s_lshl_b32 s22, s10, 3
	s_ashr_i32 s23, s22, 31
	s_lshl_b64 s[22:23], s[22:23], 2
	v_add_co_u32 v15, s2, v5, s22
	v_add_co_ci_u32_e64 v16, null, s23, v6, s2
	flat_load_dword v15, v[15:16]
.LBB149_17:
	s_or_b32 exec_lo, exec_lo, s3
	v_add_nc_u32_e32 v16, 16, v13
	v_add_nc_u32_e32 v11, v11, v14
	v_mov_b32_e32 v12, 0
	v_cmp_gt_i32_e64 s2, s18, v16
	v_mov_b32_e32 v16, 0
	s_waitcnt vmcnt(0) lgkmcnt(0)
	ds_write_b32 v11, v15 offset:1056
	s_and_saveexec_b32 s3, s2
	s_cbranch_execz .LBB149_19
; %bb.18:
	s_lshl_b32 s22, s10, 4
	s_ashr_i32 s23, s22, 31
	s_lshl_b64 s[22:23], s[22:23], 2
	v_add_co_u32 v15, s2, v5, s22
	v_add_co_ci_u32_e64 v16, null, s23, v6, s2
	flat_load_dword v16, v[15:16]
.LBB149_19:
	s_or_b32 exec_lo, exec_lo, s3
	v_add_nc_u32_e32 v15, 24, v13
	s_mov_b32 s3, exec_lo
	s_waitcnt vmcnt(0) lgkmcnt(0)
	ds_write_b32 v11, v16 offset:2112
	v_cmpx_gt_i32_e64 s18, v15
	s_cbranch_execz .LBB149_21
; %bb.20:
	s_mul_i32 s22, s10, 24
	s_ashr_i32 s23, s22, 31
	s_lshl_b64 s[22:23], s[22:23], 2
	v_add_co_u32 v15, s2, v5, s22
	v_add_co_ci_u32_e64 v16, null, s23, v6, s2
	flat_load_dword v12, v[15:16]
.LBB149_21:
	s_or_b32 exec_lo, exec_lo, s3
	v_add_co_u32 v5, s2, v5, v14
	v_add_co_ci_u32_e64 v6, null, 0, v6, s2
	s_waitcnt vmcnt(0) lgkmcnt(0)
	ds_write_b32 v11, v12 offset:3168
	v_sub_co_u32 v5, s2, v5, s4
	v_subrev_co_ci_u32_e64 v6, null, s5, v6, s2
	v_add_co_u32 v5, s2, v5, 4
	v_add_co_ci_u32_e64 v6, null, 0, v6, s2
	v_cndmask_b32_e32 v3, v5, v3, vcc_lo
	v_cndmask_b32_e32 v4, v6, v4, vcc_lo
.LBB149_22:
	v_lshlrev_b32_e32 v5, 2, v13
	v_lshl_or_b32 v6, v1, 7, v14
	v_mad_u32_u24 v12, 0x210, v13, v14
	s_waitcnt lgkmcnt(0)
	s_barrier
	v_cmp_lt_u32_e64 s3, v5, v1
	buffer_gl0_inv
	s_and_saveexec_b32 s2, s3
	s_cbranch_execz .LBB149_24
; %bb.23:
	ds_read_b32 v11, v12
	v_lshl_add_u32 v15, v5, 2, v6
	s_waitcnt lgkmcnt(0)
	ds_write_b32 v15, v11
.LBB149_24:
	s_or_b32 exec_lo, exec_lo, s2
	v_or_b32_e32 v11, 1, v5
	v_cmp_lt_u32_e64 s4, v11, v1
	v_mad_u32_u24 v15, 0x84, v11, v14
	s_and_saveexec_b32 s2, s4
	s_cbranch_execz .LBB149_26
; %bb.25:
	ds_read_b32 v16, v15
	v_lshl_add_u32 v18, v5, 2, v6
	s_waitcnt lgkmcnt(0)
	ds_write_b32 v18, v16 offset:4
.LBB149_26:
	s_or_b32 exec_lo, exec_lo, s2
	v_or_b32_e32 v16, 2, v5
	v_cmp_lt_u32_e64 s5, v16, v1
	s_and_saveexec_b32 s2, s5
	s_cbranch_execz .LBB149_28
; %bb.27:
	v_mad_u32_u24 v16, 0x84, v16, v14
	v_lshl_add_u32 v18, v5, 2, v6
	ds_read_b32 v16, v16
	s_waitcnt lgkmcnt(0)
	ds_write_b32 v18, v16 offset:8
.LBB149_28:
	s_or_b32 exec_lo, exec_lo, s2
	v_or_b32_e32 v18, 3, v5
	s_mov_b32 s2, exec_lo
                                        ; implicit-def: $vgpr16
	v_cmp_lt_u32_e64 s7, v18, v1
	v_cmpx_ge_u32_e64 v18, v1
	s_xor_b32 s2, exec_lo, s2
; %bb.29:
	v_mul_u32_u24_e32 v16, 0x84, v18
                                        ; implicit-def: $vgpr6
                                        ; implicit-def: $vgpr18
; %bb.30:
	s_andn2_saveexec_b32 s2, s2
	s_cbranch_execz .LBB149_32
; %bb.31:
	v_mad_u32_u24 v16, 0x84, v18, v14
	v_lshl_add_u32 v6, v5, 2, v6
	ds_read_b32 v20, v16
	v_mul_u32_u24_e32 v16, 0x84, v18
	s_waitcnt lgkmcnt(0)
	ds_write_b32 v6, v20 offset:12
.LBB149_32:
	s_or_b32 exec_lo, exec_lo, s2
	v_lshlrev_b32_e32 v6, 2, v5
	s_waitcnt lgkmcnt(0)
	s_barrier
	buffer_gl0_inv
	ds_read_b32 v18, v12
	ds_read_b128 v[20:23], v6 offset:4544
	ds_read2_b32 v[24:25], v15 offset1:33
	v_add_nc_u32_e32 v12, v14, v16
	v_cmp_gt_u32_e64 s2, 32, v17
	ds_read_b32 v15, v12
	s_waitcnt lgkmcnt(0)
	s_barrier
	buffer_gl0_inv
	v_fma_f32 v16, v18, v20, 0
	v_mul_u32_u24_e32 v18, 33, v1
	v_fmac_f32_e32 v16, v24, v21
	v_lshlrev_b32_e32 v18, 2, v18
	v_fmac_f32_e32 v16, v25, v22
	v_mov_b32_e32 v22, 0
	v_lshl_add_u32 v20, v13, 2, v18
	v_fmac_f32_e32 v16, v15, v23
	ds_write_b32 v20, v16
	s_waitcnt lgkmcnt(0)
	s_barrier
	buffer_gl0_inv
	s_and_saveexec_b32 s9, s2
	s_cbranch_execz .LBB149_34
; %bb.33:
	ds_read2_b32 v[15:16], v18 offset1:1
	ds_read2_b32 v[21:22], v18 offset0:2 offset1:3
	ds_read2_b32 v[23:24], v18 offset0:4 offset1:5
	;; [unrolled: 1-line block ×3, first 2 shown]
	s_waitcnt lgkmcnt(3)
	v_add_f32_e32 v15, v15, v16
	s_waitcnt lgkmcnt(2)
	v_add_f32_e32 v15, v15, v21
	v_add_f32_e32 v15, v15, v22
	s_waitcnt lgkmcnt(1)
	v_add_f32_e32 v15, v15, v23
	v_add_f32_e32 v15, v15, v24
	s_waitcnt lgkmcnt(0)
	v_add_f32_e32 v15, v15, v25
	v_add_f32_e32 v22, v15, v26
.LBB149_34:
	s_or_b32 exec_lo, exec_lo, s9
	s_lshl_b32 s22, s10, 5
	v_cndmask_b32_e64 v15, 0, 1, s8
	s_ashr_i32 s23, s22, 31
	s_lshl_b64 s[22:23], s[22:23], 2
	s_barrier
	v_add_co_u32 v3, vcc_lo, v3, s22
	v_add_co_ci_u32_e64 v4, null, s23, v4, vcc_lo
	buffer_gl0_inv
	v_add_co_u32 v16, vcc_lo, 0x80, v3
	v_add_co_ci_u32_e64 v21, null, 0, v4, vcc_lo
	s_andn2_b32 vcc_lo, exec_lo, s8
	s_mov_b32 s8, -1
	s_cbranch_vccnz .LBB149_36
; %bb.35:
	s_lshl_b32 s8, s10, 3
	s_ashr_i32 s11, s10, 31
	s_ashr_i32 s9, s8, 31
	s_lshl_b64 s[8:9], s[8:9], 2
	v_add_co_u32 v23, vcc_lo, v3, s8
	v_add_co_ci_u32_e64 v24, null, s9, v4, vcc_lo
	s_lshl_b64 s[8:9], s[10:11], 5
	v_add_co_u32 v25, vcc_lo, v23, s8
	v_add_co_ci_u32_e64 v26, null, s9, v24, vcc_lo
	v_add_co_u32 v27, vcc_lo, v25, s8
	v_add_co_ci_u32_e64 v28, null, s9, v26, vcc_lo
	s_clause 0x3
	flat_load_dword v29, v[3:4] offset:128
	flat_load_dword v23, v[23:24] offset:128
	;; [unrolled: 1-line block ×4, first 2 shown]
	v_mad_u32_u24 v26, 0x84, v13, v14
	s_mov_b32 s8, 0
	s_waitcnt vmcnt(3) lgkmcnt(3)
	ds_write_b32 v26, v29
	s_waitcnt vmcnt(2) lgkmcnt(3)
	ds_write_b32 v26, v23 offset:1056
	s_waitcnt vmcnt(1) lgkmcnt(3)
	ds_write_b32 v26, v24 offset:2112
	;; [unrolled: 2-line block ×3, first 2 shown]
.LBB149_36:
	s_andn2_b32 vcc_lo, exec_lo, s8
	s_cbranch_vccnz .LBB149_46
; %bb.37:
	v_sub_co_u32 v3, vcc_lo, v3, v14
	s_ashr_i32 s19, s18, 31
	v_subrev_co_ci_u32_e64 v4, null, 0, v4, vcc_lo
	s_lshl_b64 s[24:25], s[18:19], 2
	v_or_b32_e32 v23, 32, v1
	v_add_co_u32 v3, vcc_lo, v3, s24
	v_add_co_ci_u32_e64 v4, null, s25, v4, vcc_lo
	v_mov_b32_e32 v24, 0
	v_add_co_u32 v3, vcc_lo, v3, -4
	v_add_co_ci_u32_e64 v4, null, -1, v4, vcc_lo
	v_cmp_gt_i32_e32 vcc_lo, s18, v23
	v_mov_b32_e32 v25, 0
	s_sub_i32 s9, s18, 32
	s_mov_b32 s11, exec_lo
	v_cndmask_b32_e32 v4, v4, v21, vcc_lo
	v_cndmask_b32_e32 v3, v3, v16, vcc_lo
	v_cmpx_gt_i32_e64 s9, v13
	s_cbranch_execz .LBB149_39
; %bb.38:
	flat_load_dword v25, v[3:4]
.LBB149_39:
	s_or_b32 exec_lo, exec_lo, s11
	v_add_nc_u32_e32 v26, 8, v13
	v_mul_u32_u24_e32 v23, 0x84, v13
	v_mad_u32_u24 v27, 0x84, v13, v14
	s_mov_b32 s11, exec_lo
	s_waitcnt vmcnt(0) lgkmcnt(0)
	ds_write_b32 v27, v25
	v_cmpx_gt_i32_e64 s9, v26
	s_cbranch_execz .LBB149_41
; %bb.40:
	s_lshl_b32 s30, s10, 3
	s_ashr_i32 s31, s30, 31
	s_lshl_b64 s[30:31], s[30:31], 2
	v_add_co_u32 v24, s8, v3, s30
	v_add_co_ci_u32_e64 v25, null, s31, v4, s8
	flat_load_dword v24, v[24:25]
.LBB149_41:
	s_or_b32 exec_lo, exec_lo, s11
	v_add_nc_u32_e32 v26, 16, v13
	v_add_nc_u32_e32 v23, v23, v14
	v_mov_b32_e32 v25, 0
	v_cmp_gt_i32_e64 s8, s9, v26
	v_mov_b32_e32 v26, 0
	s_waitcnt vmcnt(0) lgkmcnt(0)
	ds_write_b32 v23, v24 offset:1056
	s_and_saveexec_b32 s11, s8
	s_cbranch_execz .LBB149_43
; %bb.42:
	s_lshl_b32 s30, s10, 4
	s_ashr_i32 s31, s30, 31
	s_lshl_b64 s[30:31], s[30:31], 2
	v_add_co_u32 v26, s8, v3, s30
	v_add_co_ci_u32_e64 v27, null, s31, v4, s8
	flat_load_dword v26, v[26:27]
.LBB149_43:
	s_or_b32 exec_lo, exec_lo, s11
	v_add_nc_u32_e32 v24, 24, v13
	s_waitcnt vmcnt(0) lgkmcnt(0)
	ds_write_b32 v23, v26 offset:2112
	v_cmp_gt_i32_e64 s8, s9, v24
	s_and_saveexec_b32 s9, s8
	s_cbranch_execz .LBB149_45
; %bb.44:
	s_mul_i32 s30, s10, 24
	s_ashr_i32 s31, s30, 31
	s_lshl_b64 s[30:31], s[30:31], 2
	v_add_co_u32 v24, s8, v3, s30
	v_add_co_ci_u32_e64 v25, null, s31, v4, s8
	flat_load_dword v25, v[24:25]
.LBB149_45:
	s_or_b32 exec_lo, exec_lo, s9
	v_add_co_u32 v3, s8, v3, v14
	v_add_co_ci_u32_e64 v4, null, 0, v4, s8
	s_waitcnt vmcnt(0) lgkmcnt(0)
	ds_write_b32 v23, v25 offset:3168
	v_sub_co_u32 v3, s8, v3, s24
	v_subrev_co_ci_u32_e64 v4, null, s25, v4, s8
	v_add_co_u32 v3, s8, 0x84, v3
	v_add_co_ci_u32_e64 v4, null, 0, v4, s8
	v_cndmask_b32_e32 v16, v3, v16, vcc_lo
	v_cndmask_b32_e32 v21, v4, v21, vcc_lo
.LBB149_46:
	v_mul_u32_u24_e32 v3, 0x210, v13
	v_add_nc_u32_e32 v6, 0x11c0, v6
	v_mul_u32_u24_e32 v4, 0x84, v11
	s_waitcnt lgkmcnt(0)
	s_barrier
	v_add_nc_u32_e32 v3, v14, v3
	buffer_gl0_inv
	s_and_saveexec_b32 s8, s3
	s_cbranch_execnz .LBB149_55
; %bb.47:
	s_or_b32 exec_lo, exec_lo, s8
	v_add_nc_u32_e32 v4, v14, v4
	s_and_saveexec_b32 s3, s4
	s_cbranch_execnz .LBB149_56
.LBB149_48:
	s_or_b32 exec_lo, exec_lo, s3
	s_and_saveexec_b32 s3, s5
	s_cbranch_execnz .LBB149_57
.LBB149_49:
	s_or_b32 exec_lo, exec_lo, s3
	s_and_saveexec_b32 s3, s7
	s_cbranch_execz .LBB149_51
.LBB149_50:
	ds_read_b32 v11, v12
	v_lshl_add_u32 v23, v5, 2, v18
	s_waitcnt lgkmcnt(0)
	ds_write_b32 v23, v11 offset:12
.LBB149_51:
	s_or_b32 exec_lo, exec_lo, s3
	s_waitcnt lgkmcnt(0)
	s_barrier
	buffer_gl0_inv
	ds_read_b32 v11, v3
	ds_read_b128 v[23:26], v6 offset:128
	ds_read2_b32 v[3:4], v4 offset1:33
	ds_read_b32 v12, v12
	v_cmp_eq_u32_e64 s3, 1, v13
	s_waitcnt lgkmcnt(0)
	s_barrier
	buffer_gl0_inv
	v_fma_f32 v11, v11, v23, 0
	v_fmac_f32_e32 v11, v3, v24
	v_fmac_f32_e32 v11, v4, v25
	;; [unrolled: 1-line block ×3, first 2 shown]
	ds_write_b32 v20, v11
	s_waitcnt lgkmcnt(0)
	s_barrier
	buffer_gl0_inv
	s_and_saveexec_b32 s4, s3
	s_cbranch_execz .LBB149_53
; %bb.52:
	ds_read2_b32 v[3:4], v18 offset1:1
	ds_read2_b32 v[11:12], v18 offset0:2 offset1:3
	ds_read2_b32 v[22:23], v18 offset0:4 offset1:5
	;; [unrolled: 1-line block ×3, first 2 shown]
	s_waitcnt lgkmcnt(3)
	v_add_f32_e32 v3, v3, v4
	s_waitcnt lgkmcnt(2)
	v_add_f32_e32 v3, v3, v11
	v_add_f32_e32 v3, v3, v12
	s_waitcnt lgkmcnt(1)
	v_add_f32_e32 v3, v3, v22
	;; [unrolled: 3-line block ×3, first 2 shown]
	v_add_f32_e32 v22, v3, v25
.LBB149_53:
	s_or_b32 exec_lo, exec_lo, s4
	v_cmp_ne_u32_e32 vcc_lo, 1, v15
	v_sub_co_u32 v11, s4, v16, s22
	v_subrev_co_ci_u32_e64 v12, null, s23, v21, s4
	s_barrier
	buffer_gl0_inv
	s_cbranch_vccnz .LBB149_58
; %bb.54:
	s_lshl_b32 s4, s10, 3
	s_ashr_i32 s11, s10, 31
	s_ashr_i32 s5, s4, 31
	flat_load_dword v25, v[11:12]
	s_lshl_b64 s[4:5], s[4:5], 2
	v_add_co_u32 v3, vcc_lo, v11, s4
	v_add_co_ci_u32_e64 v4, null, s5, v12, vcc_lo
	s_lshl_b64 s[4:5], s[10:11], 5
	v_add_co_u32 v15, vcc_lo, v3, s4
	v_add_co_ci_u32_e64 v16, null, s5, v4, vcc_lo
	v_add_co_u32 v23, vcc_lo, v15, s4
	v_add_co_ci_u32_e64 v24, null, s5, v16, vcc_lo
	s_clause 0x2
	flat_load_dword v4, v[3:4]
	flat_load_dword v26, v[15:16]
	;; [unrolled: 1-line block ×3, first 2 shown]
	v_mad_u32_u24 v3, 0x84, v13, v14
	s_movk_i32 s4, 0x420
	s_movk_i32 s5, 0x840
	v_mad_u32_u24 v21, 0x84, v13, s4
	s_movk_i32 s4, 0xc60
	v_mad_u32_u24 v24, 0x84, v13, s5
	v_mul_u32_u24_e32 v15, 0x84, v13
	v_add_nc_u32_e32 v16, 8, v13
	v_add_nc_u32_e32 v28, v14, v21
	;; [unrolled: 1-line block ×4, first 2 shown]
	s_waitcnt vmcnt(3) lgkmcnt(3)
	ds_write_b32 v3, v25
	v_mad_u32_u24 v3, 0x84, v13, s4
	v_add_nc_u32_e32 v25, 24, v13
	s_waitcnt vmcnt(2) lgkmcnt(3)
	ds_write_b32 v28, v4
	s_waitcnt vmcnt(1) lgkmcnt(3)
	ds_write_b32 v29, v26
	v_add_nc_u32_e32 v30, v14, v3
	s_waitcnt vmcnt(0) lgkmcnt(3)
	ds_write_b32 v30, v27
	s_cbranch_execz .LBB149_59
	s_branch .LBB149_68
.LBB149_55:
	ds_read_b32 v11, v3
	v_lshl_add_u32 v23, v5, 2, v18
	s_waitcnt lgkmcnt(0)
	ds_write_b32 v23, v11
	s_or_b32 exec_lo, exec_lo, s8
	v_add_nc_u32_e32 v4, v14, v4
	s_and_saveexec_b32 s3, s4
	s_cbranch_execz .LBB149_48
.LBB149_56:
	ds_read_b32 v11, v4
	v_lshl_add_u32 v23, v5, 2, v18
	s_waitcnt lgkmcnt(0)
	ds_write_b32 v23, v11 offset:4
	s_or_b32 exec_lo, exec_lo, s3
	s_and_saveexec_b32 s3, s5
	s_cbranch_execz .LBB149_49
.LBB149_57:
	ds_read_b32 v11, v4 offset:132
	v_lshl_add_u32 v23, v5, 2, v18
	s_waitcnt lgkmcnt(0)
	ds_write_b32 v23, v11 offset:8
	s_or_b32 exec_lo, exec_lo, s3
	s_and_saveexec_b32 s3, s7
	s_cbranch_execnz .LBB149_50
	s_branch .LBB149_51
.LBB149_58:
                                        ; implicit-def: $vgpr15
                                        ; implicit-def: $vgpr16
                                        ; implicit-def: $vgpr21
                                        ; implicit-def: $vgpr23
                                        ; implicit-def: $vgpr24
                                        ; implicit-def: $vgpr25
                                        ; implicit-def: $vgpr3
.LBB149_59:
	v_or_b32_e32 v1, 32, v1
	s_ashr_i32 s19, s18, 31
	v_mov_b32_e32 v24, 0
	s_lshl_b64 s[8:9], s[18:19], 2
	s_mov_b32 s5, exec_lo
	v_lshlrev_b32_e32 v3, 2, v1
	v_sub_co_u32 v3, vcc_lo, v11, v3
	v_subrev_co_ci_u32_e64 v4, null, 0, v12, vcc_lo
	v_add_co_u32 v3, vcc_lo, v3, s8
	v_add_co_ci_u32_e64 v4, null, s9, v4, vcc_lo
	v_add_co_u32 v3, vcc_lo, v3, -4
	v_add_co_ci_u32_e64 v4, null, -1, v4, vcc_lo
	v_cmp_gt_i32_e32 vcc_lo, s18, v1
	v_mov_b32_e32 v1, 0
	v_cndmask_b32_e32 v4, v4, v12, vcc_lo
	v_cndmask_b32_e32 v3, v3, v11, vcc_lo
	v_cmpx_gt_i32_e64 s18, v13
	s_cbranch_execz .LBB149_61
; %bb.60:
	flat_load_dword v1, v[3:4]
.LBB149_61:
	s_or_b32 exec_lo, exec_lo, s5
	v_add_nc_u32_e32 v16, 8, v13
	v_mul_u32_u24_e32 v15, 0x84, v13
	v_mad_u32_u24 v21, 0x84, v13, v14
	s_mov_b32 s5, exec_lo
	s_waitcnt vmcnt(0) lgkmcnt(0)
	ds_write_b32 v21, v1
	v_cmpx_gt_i32_e64 s18, v16
	s_cbranch_execz .LBB149_63
; %bb.62:
	s_lshl_b32 s22, s10, 3
	s_ashr_i32 s23, s22, 31
	s_lshl_b64 s[22:23], s[22:23], 2
	v_add_co_u32 v23, s4, v3, s22
	v_add_co_ci_u32_e64 v24, null, s23, v4, s4
	flat_load_dword v24, v[23:24]
.LBB149_63:
	s_or_b32 exec_lo, exec_lo, s5
	v_add_nc_u32_e32 v21, 0x420, v15
	v_add_nc_u32_e32 v23, 16, v13
	v_mov_b32_e32 v1, 0
	v_mov_b32_e32 v26, 0
	s_mov_b32 s5, exec_lo
	v_add_nc_u32_e32 v25, v14, v21
	s_waitcnt vmcnt(0) lgkmcnt(0)
	ds_write_b32 v25, v24
	v_cmpx_gt_i32_e64 s18, v23
	s_cbranch_execz .LBB149_65
; %bb.64:
	s_lshl_b32 s22, s10, 4
	s_ashr_i32 s23, s22, 31
	s_lshl_b64 s[22:23], s[22:23], 2
	v_add_co_u32 v24, s4, v3, s22
	v_add_co_ci_u32_e64 v25, null, s23, v4, s4
	flat_load_dword v26, v[24:25]
.LBB149_65:
	s_or_b32 exec_lo, exec_lo, s5
	v_add_nc_u32_e32 v24, 0x420, v21
	v_add_nc_u32_e32 v25, 24, v13
	s_mov_b32 s5, exec_lo
	v_add_nc_u32_e32 v13, v14, v24
	s_waitcnt vmcnt(0) lgkmcnt(0)
	ds_write_b32 v13, v26
	v_cmpx_gt_i32_e64 s18, v25
	s_cbranch_execz .LBB149_67
; %bb.66:
	s_mul_i32 s22, s10, 24
	s_ashr_i32 s23, s22, 31
	s_lshl_b64 s[22:23], s[22:23], 2
	v_add_co_u32 v26, s4, v3, s22
	v_add_co_ci_u32_e64 v27, null, s23, v4, s4
	flat_load_dword v1, v[26:27]
.LBB149_67:
	s_or_b32 exec_lo, exec_lo, s5
	v_add_co_u32 v3, s4, v3, v14
	v_add_co_ci_u32_e64 v4, null, 0, v4, s4
	v_sub_co_u32 v13, s4, v3, s8
	v_subrev_co_ci_u32_e64 v4, null, s9, v4, s4
	v_add_nc_u32_e32 v3, 0x420, v24
	v_add_co_u32 v13, s4, 0x84, v13
	v_add_co_ci_u32_e64 v4, null, 0, v4, s4
	v_add_nc_u32_e32 v26, v14, v3
	v_cndmask_b32_e32 v11, v13, v11, vcc_lo
	v_cndmask_b32_e32 v12, v4, v12, vcc_lo
	s_waitcnt vmcnt(0) lgkmcnt(0)
	ds_write_b32 v26, v1
.LBB149_68:
	v_add_nc_u32_e32 v1, v14, v15
	v_add_nc_u32_e32 v4, v14, v21
	v_lshlrev_b32_e32 v13, 2, v16
	s_waitcnt lgkmcnt(0)
	s_barrier
	buffer_gl0_inv
	ds_read_b32 v1, v1
	ds_read_b32 v15, v5 offset:4544
	ds_read_b32 v21, v4
	v_lshlrev_b32_e32 v16, 2, v23
	ds_read_b32 v23, v13 offset:4544
	v_add_nc_u32_e32 v4, v14, v24
	v_add_nc_u32_e32 v3, v14, v3
	v_lshlrev_b32_e32 v13, 2, v25
	ds_read_b32 v24, v4
	ds_read_b32 v25, v16 offset:4544
	ds_read_b32 v26, v3
	ds_read_b32 v27, v13 offset:4544
	v_lshl_add_u32 v13, v5, 2, v18
	ds_read_b128 v[3:6], v6 offset:128
	s_waitcnt lgkmcnt(7)
	v_fma_f32 v1, v1, v15, 0
	ds_read2_b32 v[15:16], v13 offset1:1
	ds_read2_b32 v[13:14], v13 offset0:2 offset1:3
	s_waitcnt lgkmcnt(0)
	s_barrier
	buffer_gl0_inv
	v_fmac_f32_e32 v1, v21, v23
	v_fmac_f32_e32 v1, v24, v25
	;; [unrolled: 1-line block ×3, first 2 shown]
	ds_write_b32 v20, v1
	s_waitcnt lgkmcnt(0)
	s_barrier
	buffer_gl0_inv
	s_and_saveexec_b32 s4, s3
	s_cbranch_execz .LBB149_70
; %bb.69:
	ds_read2_b32 v[23:24], v18 offset1:1
	ds_read2_b32 v[25:26], v18 offset0:2 offset1:3
	ds_read2_b32 v[27:28], v18 offset0:4 offset1:5
	;; [unrolled: 1-line block ×3, first 2 shown]
	s_waitcnt lgkmcnt(3)
	v_add_f32_e32 v1, v22, v23
	v_add_f32_e32 v1, v1, v24
	s_waitcnt lgkmcnt(2)
	v_add_f32_e32 v1, v1, v25
	v_add_f32_e32 v1, v1, v26
	s_waitcnt lgkmcnt(1)
	v_add_f32_e32 v1, v1, v27
	v_add_f32_e32 v1, v1, v28
	s_waitcnt lgkmcnt(0)
	v_add_f32_e32 v1, v1, v29
	v_add_f32_e32 v22, v1, v30
.LBB149_70:
	s_or_b32 exec_lo, exec_lo, s4
	v_fma_f32 v1, v15, v3, 0
	s_barrier
	buffer_gl0_inv
	v_fmac_f32_e32 v1, v16, v4
	v_fmac_f32_e32 v1, v13, v5
	;; [unrolled: 1-line block ×3, first 2 shown]
	ds_write_b32 v20, v1
	s_waitcnt lgkmcnt(0)
	s_barrier
	buffer_gl0_inv
	s_and_saveexec_b32 s3, s2
	s_cbranch_execz .LBB149_72
; %bb.71:
	ds_read2_b32 v[3:4], v18 offset1:1
	ds_read2_b32 v[5:6], v18 offset0:2 offset1:3
	ds_read2_b32 v[13:14], v18 offset0:4 offset1:5
	;; [unrolled: 1-line block ×3, first 2 shown]
	s_waitcnt lgkmcnt(3)
	v_add_f32_e32 v1, v22, v3
	v_add_f32_e32 v1, v1, v4
	s_waitcnt lgkmcnt(2)
	v_add_f32_e32 v1, v1, v5
	v_add_f32_e32 v1, v1, v6
	;; [unrolled: 3-line block ×4, first 2 shown]
.LBB149_72:
	s_or_b32 exec_lo, exec_lo, s3
	s_mul_hi_u32 s2, s26, s16
	s_mul_i32 s28, s28, s16
	s_mul_i32 s3, s26, s16
	s_add_i32 s2, s2, s28
	s_mul_hi_u32 s5, s3, s27
	s_mul_i32 s4, s2, s27
	s_mul_i32 s2, s3, s27
	s_add_i32 s3, s5, s4
	s_mul_i32 s4, s26, s6
	s_lshl_b64 s[2:3], s[2:3], 2
	v_cmp_le_i32_e32 vcc_lo, s18, v0
	s_add_u32 s7, s20, s2
	s_addc_u32 s8, s21, s3
	s_ashr_i32 s5, s4, 31
	v_lshlrev_b32_e32 v23, 2, v0
	s_lshl_b64 s[2:3], s[4:5], 2
	s_add_u32 s7, s7, s2
	s_addc_u32 s20, s8, s3
	s_and_b32 vcc_lo, s13, vcc_lo
	s_cmp_lt_i32 s6, 1
	s_barrier
	buffer_gl0_inv
	s_cbranch_scc1 .LBB149_79
; %bb.73:
	v_mul_lo_u32 v1, v2, s10
	v_sub_co_u32 v6, s2, v11, s14
	v_subrev_co_ci_u32_e64 v11, null, s15, v12, s2
	s_ashr_i32 s19, s18, 31
	v_add_co_u32 v6, s2, 0xffffff80, v6
	v_lshl_add_u32 v3, v1, 2, v0
	v_add_co_ci_u32_e64 v11, null, -1, v11, s2
	v_sub_co_u32 v6, s2, v6, v9
	v_ashrrev_i32_e32 v4, 31, v3
	v_sub_co_ci_u32_e64 v9, null, v11, v10, s2
	s_mul_i32 s4, s17, s12
	v_and_b32_e32 v5, 15, v0
	v_lshlrev_b64 v[3:4], 2, v[3:4]
	s_ashr_i32 s5, s4, 31
	v_mov_b32_e32 v1, 0
	s_lshl_b64 s[4:5], s[4:5], 2
	v_add_nc_u32_e32 v26, 0x10c0, v23
	v_lshl_add_u32 v27, v2, 4, 0x10c0
	v_add_co_u32 v3, s2, v6, v3
	v_add_co_ci_u32_e64 v4, null, v9, v4, s2
	v_add_nc_u32_e32 v28, 0x11c0, v23
	v_sub_co_u32 v6, s2, v3, v23
	v_subrev_co_ci_u32_e64 v9, null, 0, v4, s2
	s_lshl_b64 s[2:3], s[18:19], 2
	v_mad_u32_u24 v29, 0x430, v2, v23
	v_add_co_u32 v6, s2, v6, s2
	v_add_co_ci_u32_e64 v9, null, s3, v9, s2
	s_ashr_i32 s11, s10, 31
	v_add_co_u32 v6, s2, v6, -4
	v_add_co_ci_u32_e64 v9, null, -1, v9, s2
	v_sub_co_u32 v24, s2, v7, s4
	v_cndmask_b32_e32 v20, v3, v6, vcc_lo
	v_cndmask_b32_e32 v21, v4, v9, vcc_lo
	v_lshrrev_b32_e32 v3, 2, v17
	v_and_b32_e32 v4, 48, v0
	v_subrev_co_ci_u32_e64 v25, null, s5, v8, s2
	v_mul_u32_u24_e32 v6, 0x10c, v5
	v_and_b32_e32 v3, 0x1ffc, v3
	v_lshlrev_b32_e32 v4, 2, v4
	v_and_b32_e32 v7, 0x7ff0, v17
	v_or_b32_e32 v8, 60, v23
	v_cmp_gt_u32_e64 s2, 64, v17
	v_mad_u32_u24 v30, 0x10c, v5, v3
	v_mad_u32_u24 v31, 0x10c, v5, v4
	v_add_nc_u32_e32 v33, v6, v7
	v_mad_u32_u24 v32, 0x10c, v5, v8
	s_lshl_b32 s18, s17, 6
	s_lshl_b64 s[4:5], s[10:11], 2
	s_lshl_b64 s[8:9], s[10:11], 3
	;; [unrolled: 1-line block ×3, first 2 shown]
	s_mul_hi_i32 s19, s10, 12
	s_mul_i32 s21, s10, 12
	s_lshl_b64 s[14:15], s[10:11], 6
	s_mul_hi_i32 s22, s10, 0x48
	s_mul_i32 s23, s10, 0x48
	s_mul_hi_i32 s24, s10, 0x4c
	s_mul_i32 s25, s10, 0x4c
	s_lshl_b64 s[16:17], s[10:11], 7
	s_mul_hi_i32 s26, s10, 0x88
	s_mul_i32 s27, s10, 0x88
	s_mul_hi_i32 s28, s10, 0x8c
	s_mul_i32 s29, s10, 0x8c
	;; [unrolled: 2-line block ×8, first 2 shown]
	s_mov_b32 s10, 0
	s_branch .LBB149_75
.LBB149_74:                             ;   in Loop: Header=BB149_75 Depth=1
	s_or_b32 exec_lo, exec_lo, s11
	v_fmac_f32_e32 v22, v37, v3
	v_add_co_u32 v20, s3, v20, s12
	v_add_co_ci_u32_e64 v21, null, s13, v21, s3
	v_fmac_f32_e32 v22, v35, v4
	v_add_nc_u32_e32 v0, 64, v0
	s_add_i32 s6, s6, -1
	s_add_i32 s10, s10, s18
	s_cmp_eq_u32 s6, 0
	v_fmac_f32_e32 v22, v34, v5
	s_waitcnt_vscnt null, 0x0
	s_barrier
	buffer_gl0_inv
	v_fmac_f32_e32 v22, v36, v6
	v_fmac_f32_e32 v22, v41, v7
	v_fmac_f32_e32 v22, v39, v8
	v_fmac_f32_e32 v22, v38, v9
	v_fmac_f32_e32 v22, v40, v10
	v_fmac_f32_e32 v22, v45, v11
	v_fmac_f32_e32 v22, v43, v12
	v_fmac_f32_e32 v22, v42, v13
	v_fmac_f32_e32 v22, v44, v14
	v_fmac_f32_e32 v22, v49, v15
	v_fmac_f32_e32 v22, v48, v16
	v_fmac_f32_e32 v22, v47, v17
	v_fmac_f32_e32 v22, v46, v18
	s_cbranch_scc1 .LBB149_79
.LBB149_75:                             ; =>This Inner Loop Header: Depth=1
	s_and_saveexec_b32 s43, s1
	s_cbranch_execz .LBB149_77
; %bb.76:                               ;   in Loop: Header=BB149_75 Depth=1
	s_ashr_i32 s11, s10, 31
	s_lshl_b64 s[44:45], s[10:11], 2
	v_add_co_u32 v3, s3, v24, s44
	v_add_co_ci_u32_e64 v4, null, s45, v25, s3
	flat_load_dword v3, v[3:4]
	s_waitcnt vmcnt(0) lgkmcnt(0)
	ds_write_b32 v26, v3
.LBB149_77:                             ;   in Loop: Header=BB149_75 Depth=1
	s_or_b32 exec_lo, exec_lo, s43
	v_add_co_u32 v3, s3, v20, s4
	v_add_co_ci_u32_e64 v4, null, s5, v21, s3
	v_add_co_u32 v5, s3, v20, s8
	v_add_co_ci_u32_e64 v6, null, s9, v21, s3
	;; [unrolled: 2-line block ×3, first 2 shown]
	s_waitcnt lgkmcnt(0)
	s_barrier
	buffer_gl0_inv
	s_clause 0x3
	flat_load_dword v37, v[20:21]
	flat_load_dword v35, v[3:4]
	;; [unrolled: 1-line block ×4, first 2 shown]
	ds_read_b32 v13, v28
	ds_read_b128 v[3:6], v27
	v_add_co_u32 v7, s3, v20, s14
	v_add_co_ci_u32_e64 v8, null, s15, v21, s3
	v_add_co_u32 v9, s3, v20, s42
	v_add_co_ci_u32_e64 v10, null, s41, v21, s3
	v_add_co_u32 v11, s3, v20, s23
	v_add_co_ci_u32_e64 v12, null, s22, v21, s3
	s_waitcnt vmcnt(3) lgkmcnt(1)
	v_mul_f32_e32 v15, v37, v13
	s_waitcnt vmcnt(2)
	v_mul_f32_e32 v16, v35, v13
	s_waitcnt vmcnt(1)
	;; [unrolled: 2-line block ×3, first 2 shown]
	v_mul_f32_e32 v18, v36, v13
	v_add_co_u32 v13, s3, v20, s25
	v_add_co_ci_u32_e64 v14, null, s24, v21, s3
	ds_write2_b32 v29, v15, v16 offset1:67
	ds_write2_b32 v29, v17, v18 offset0:134 offset1:201
	s_waitcnt lgkmcnt(0)
	s_barrier
	buffer_gl0_inv
	ds_read2_b32 v[50:51], v33 offset1:1
	ds_read2_b32 v[52:53], v33 offset0:2 offset1:3
	s_waitcnt lgkmcnt(0)
	s_barrier
	buffer_gl0_inv
	s_clause 0x3
	flat_load_dword v41, v[7:8]
	flat_load_dword v39, v[9:10]
	;; [unrolled: 1-line block ×4, first 2 shown]
	ds_read_b32 v17, v28
	ds_read_b128 v[7:10], v27 offset:64
	v_add_co_u32 v11, s3, v20, s16
	v_add_co_ci_u32_e64 v12, null, s17, v21, s3
	v_add_co_u32 v13, s3, v20, s40
	v_add_co_ci_u32_e64 v14, null, s39, v21, s3
	;; [unrolled: 2-line block ×3, first 2 shown]
	v_add_f32_e32 v50, 0, v50
	v_add_f32_e32 v50, v50, v51
	;; [unrolled: 1-line block ×4, first 2 shown]
	s_waitcnt vmcnt(3) lgkmcnt(1)
	v_mul_f32_e32 v42, v41, v17
	s_waitcnt vmcnt(2)
	v_mul_f32_e32 v43, v39, v17
	s_waitcnt vmcnt(1)
	;; [unrolled: 2-line block ×3, first 2 shown]
	v_mul_f32_e32 v45, v40, v17
	v_add_co_u32 v17, s3, v20, s29
	v_add_co_ci_u32_e64 v18, null, s28, v21, s3
	ds_write2_b32 v29, v42, v43 offset1:67
	ds_write2_b32 v29, v44, v45 offset0:134 offset1:201
	s_waitcnt lgkmcnt(0)
	s_barrier
	buffer_gl0_inv
	ds_read2_b32 v[54:55], v33 offset1:1
	ds_read2_b32 v[56:57], v33 offset0:2 offset1:3
	s_waitcnt lgkmcnt(0)
	s_barrier
	buffer_gl0_inv
	s_clause 0x3
	flat_load_dword v45, v[11:12]
	flat_load_dword v43, v[13:14]
	;; [unrolled: 1-line block ×4, first 2 shown]
	ds_read_b32 v48, v28
	ds_read_b128 v[11:14], v27 offset:128
	v_add_co_u32 v15, s3, v20, s31
	v_add_co_ci_u32_e64 v16, null, s30, v21, s3
	v_add_co_u32 v17, s3, v20, s38
	v_add_co_ci_u32_e64 v18, null, s37, v21, s3
	;; [unrolled: 2-line block ×4, first 2 shown]
	v_add_f32_e32 v54, 0, v54
	v_add_f32_e32 v51, v54, v55
	;; [unrolled: 1-line block ×4, first 2 shown]
	s_waitcnt vmcnt(3) lgkmcnt(1)
	v_mul_f32_e32 v49, v45, v48
	s_waitcnt vmcnt(2)
	v_mul_f32_e32 v60, v43, v48
	s_waitcnt vmcnt(1)
	;; [unrolled: 2-line block ×3, first 2 shown]
	v_mul_f32_e32 v48, v44, v48
	ds_write2_b32 v29, v49, v60 offset1:67
	ds_write2_b32 v29, v61, v48 offset0:134 offset1:201
	s_waitcnt lgkmcnt(0)
	s_barrier
	buffer_gl0_inv
	ds_read2_b32 v[60:61], v33 offset1:1
	ds_read2_b32 v[62:63], v33 offset0:2 offset1:3
	s_waitcnt lgkmcnt(0)
	s_barrier
	buffer_gl0_inv
	s_clause 0x3
	flat_load_dword v49, v[15:16]
	flat_load_dword v48, v[17:18]
	;; [unrolled: 1-line block ×4, first 2 shown]
	ds_read_b32 v58, v28
	ds_read_b128 v[15:18], v27 offset:192
	v_add_f32_e32 v60, 0, v60
	v_add_f32_e32 v54, v60, v61
	;; [unrolled: 1-line block ×4, first 2 shown]
	s_waitcnt vmcnt(3) lgkmcnt(1)
	v_mul_f32_e32 v59, v49, v58
	s_waitcnt vmcnt(2)
	v_mul_f32_e32 v64, v48, v58
	s_waitcnt vmcnt(1)
	;; [unrolled: 2-line block ×3, first 2 shown]
	v_mul_f32_e32 v58, v46, v58
	ds_write2_b32 v29, v59, v64 offset1:67
	ds_write2_b32 v29, v65, v58 offset0:134 offset1:201
	s_waitcnt lgkmcnt(0)
	s_barrier
	buffer_gl0_inv
	ds_read2_b32 v[58:59], v33 offset1:1
	ds_read2_b32 v[64:65], v33 offset0:2 offset1:3
	s_waitcnt lgkmcnt(0)
	s_barrier
	buffer_gl0_inv
	v_add_f32_e32 v58, 0, v58
	v_add_f32_e32 v55, v58, v59
	;; [unrolled: 1-line block ×4, first 2 shown]
	ds_write2_b32 v30, v50, v51 offset1:16
	ds_write2_b32 v30, v52, v53 offset0:32 offset1:48
	s_waitcnt lgkmcnt(0)
	s_barrier
	buffer_gl0_inv
	s_and_saveexec_b32 s11, s2
	s_cbranch_execz .LBB149_74
; %bb.78:                               ;   in Loop: Header=BB149_75 Depth=1
	ds_read2_b32 v[50:51], v31 offset1:1
	ds_read2_b32 v[52:53], v31 offset0:2 offset1:3
	ds_read2_b32 v[54:55], v31 offset0:4 offset1:5
	;; [unrolled: 1-line block ×3, first 2 shown]
	s_waitcnt lgkmcnt(3)
	v_add_f32_e32 v50, v50, v51
	s_waitcnt lgkmcnt(2)
	v_add_f32_e32 v50, v50, v52
	v_add_f32_e32 v52, v50, v53
	ds_read2_b32 v[50:51], v31 offset0:8 offset1:9
	s_waitcnt lgkmcnt(2)
	v_add_f32_e32 v52, v52, v54
	v_add_f32_e32 v54, v52, v55
	ds_read2_b32 v[52:53], v31 offset0:10 offset1:11
	;; [unrolled: 4-line block ×3, first 2 shown]
	ds_read_b32 v57, v31 offset:56
	s_waitcnt lgkmcnt(3)
	v_add_f32_e32 v50, v56, v50
	v_add_f32_e32 v50, v50, v51
	s_waitcnt lgkmcnt(2)
	v_add_f32_e32 v50, v50, v52
	ds_read_b32 v52, v32
	v_add_f32_e32 v50, v50, v53
	s_waitcnt lgkmcnt(2)
	v_add_f32_e32 v50, v50, v54
	v_add_f32_e32 v50, v50, v55
	s_waitcnt lgkmcnt(1)
	v_add_f32_e32 v53, v50, v57
	v_lshlrev_b64 v[50:51], 2, v[0:1]
	s_waitcnt lgkmcnt(0)
	v_add_f32_e32 v52, v53, v52
	v_add_co_u32 v50, s3, s7, v50
	v_add_co_ci_u32_e64 v51, null, s20, v51, s3
	global_store_dword v[50:51], v52, off
	s_branch .LBB149_74
.LBB149_79:
	v_mad_u32_u24 v0, 0x10c, v2, v23
	s_nor_b32 s0, s0, vcc_lo
	ds_write_b32 v0, v22
	s_waitcnt lgkmcnt(0)
	s_barrier
	buffer_gl0_inv
	s_and_saveexec_b32 s1, s0
	s_cbranch_execz .LBB149_4
; %bb.80:
	ds_read2_b32 v[0:1], v23 offset1:67
	ds_read2_b32 v[2:3], v23 offset0:134 offset1:201
	v_ashrrev_i32_e32 v20, 31, v19
	s_waitcnt lgkmcnt(1)
	v_add_f32_e32 v0, v0, v1
	s_waitcnt lgkmcnt(0)
	v_add_f32_e32 v2, v0, v2
	v_lshlrev_b64 v[0:1], 2, v[19:20]
	v_add_f32_e32 v2, v2, v3
	v_add_co_u32 v0, vcc_lo, s7, v0
	v_add_co_ci_u32_e64 v1, null, s20, v1, vcc_lo
	global_store_dword v[0:1], v2, off
	s_endpgm
	.section	.rodata,"a",@progbits
	.p2align	6, 0x0
	.amdhsa_kernel _ZL26rocblas_hemvn_kernel_lowerILb0ELi64ELi4ELi33ELi32ELi16EiPKfPKS1_PfEviT6_lT7_lT5_lS6_lS7_lS5_lT8_i
		.amdhsa_group_segment_fixed_size 4800
		.amdhsa_private_segment_fixed_size 0
		.amdhsa_kernarg_size 376
		.amdhsa_user_sgpr_count 6
		.amdhsa_user_sgpr_private_segment_buffer 1
		.amdhsa_user_sgpr_dispatch_ptr 0
		.amdhsa_user_sgpr_queue_ptr 0
		.amdhsa_user_sgpr_kernarg_segment_ptr 1
		.amdhsa_user_sgpr_dispatch_id 0
		.amdhsa_user_sgpr_flat_scratch_init 0
		.amdhsa_user_sgpr_private_segment_size 0
		.amdhsa_wavefront_size32 1
		.amdhsa_uses_dynamic_stack 0
		.amdhsa_system_sgpr_private_segment_wavefront_offset 0
		.amdhsa_system_sgpr_workgroup_id_x 1
		.amdhsa_system_sgpr_workgroup_id_y 0
		.amdhsa_system_sgpr_workgroup_id_z 1
		.amdhsa_system_sgpr_workgroup_info 0
		.amdhsa_system_vgpr_workitem_id 1
		.amdhsa_next_free_vgpr 66
		.amdhsa_next_free_sgpr 46
		.amdhsa_reserve_vcc 1
		.amdhsa_reserve_flat_scratch 1
		.amdhsa_float_round_mode_32 0
		.amdhsa_float_round_mode_16_64 0
		.amdhsa_float_denorm_mode_32 3
		.amdhsa_float_denorm_mode_16_64 3
		.amdhsa_dx10_clamp 1
		.amdhsa_ieee_mode 1
		.amdhsa_fp16_overflow 0
		.amdhsa_workgroup_processor_mode 1
		.amdhsa_memory_ordered 1
		.amdhsa_forward_progress 1
		.amdhsa_shared_vgpr_count 0
		.amdhsa_exception_fp_ieee_invalid_op 0
		.amdhsa_exception_fp_denorm_src 0
		.amdhsa_exception_fp_ieee_div_zero 0
		.amdhsa_exception_fp_ieee_overflow 0
		.amdhsa_exception_fp_ieee_underflow 0
		.amdhsa_exception_fp_ieee_inexact 0
		.amdhsa_exception_int_div_zero 0
	.end_amdhsa_kernel
	.section	.text._ZL26rocblas_hemvn_kernel_lowerILb0ELi64ELi4ELi33ELi32ELi16EiPKfPKS1_PfEviT6_lT7_lT5_lS6_lS7_lS5_lT8_i,"axG",@progbits,_ZL26rocblas_hemvn_kernel_lowerILb0ELi64ELi4ELi33ELi32ELi16EiPKfPKS1_PfEviT6_lT7_lT5_lS6_lS7_lS5_lT8_i,comdat
.Lfunc_end149:
	.size	_ZL26rocblas_hemvn_kernel_lowerILb0ELi64ELi4ELi33ELi32ELi16EiPKfPKS1_PfEviT6_lT7_lT5_lS6_lS7_lS5_lT8_i, .Lfunc_end149-_ZL26rocblas_hemvn_kernel_lowerILb0ELi64ELi4ELi33ELi32ELi16EiPKfPKS1_PfEviT6_lT7_lT5_lS6_lS7_lS5_lT8_i
                                        ; -- End function
	.set _ZL26rocblas_hemvn_kernel_lowerILb0ELi64ELi4ELi33ELi32ELi16EiPKfPKS1_PfEviT6_lT7_lT5_lS6_lS7_lS5_lT8_i.num_vgpr, 66
	.set _ZL26rocblas_hemvn_kernel_lowerILb0ELi64ELi4ELi33ELi32ELi16EiPKfPKS1_PfEviT6_lT7_lT5_lS6_lS7_lS5_lT8_i.num_agpr, 0
	.set _ZL26rocblas_hemvn_kernel_lowerILb0ELi64ELi4ELi33ELi32ELi16EiPKfPKS1_PfEviT6_lT7_lT5_lS6_lS7_lS5_lT8_i.numbered_sgpr, 46
	.set _ZL26rocblas_hemvn_kernel_lowerILb0ELi64ELi4ELi33ELi32ELi16EiPKfPKS1_PfEviT6_lT7_lT5_lS6_lS7_lS5_lT8_i.num_named_barrier, 0
	.set _ZL26rocblas_hemvn_kernel_lowerILb0ELi64ELi4ELi33ELi32ELi16EiPKfPKS1_PfEviT6_lT7_lT5_lS6_lS7_lS5_lT8_i.private_seg_size, 0
	.set _ZL26rocblas_hemvn_kernel_lowerILb0ELi64ELi4ELi33ELi32ELi16EiPKfPKS1_PfEviT6_lT7_lT5_lS6_lS7_lS5_lT8_i.uses_vcc, 1
	.set _ZL26rocblas_hemvn_kernel_lowerILb0ELi64ELi4ELi33ELi32ELi16EiPKfPKS1_PfEviT6_lT7_lT5_lS6_lS7_lS5_lT8_i.uses_flat_scratch, 1
	.set _ZL26rocblas_hemvn_kernel_lowerILb0ELi64ELi4ELi33ELi32ELi16EiPKfPKS1_PfEviT6_lT7_lT5_lS6_lS7_lS5_lT8_i.has_dyn_sized_stack, 0
	.set _ZL26rocblas_hemvn_kernel_lowerILb0ELi64ELi4ELi33ELi32ELi16EiPKfPKS1_PfEviT6_lT7_lT5_lS6_lS7_lS5_lT8_i.has_recursion, 0
	.set _ZL26rocblas_hemvn_kernel_lowerILb0ELi64ELi4ELi33ELi32ELi16EiPKfPKS1_PfEviT6_lT7_lT5_lS6_lS7_lS5_lT8_i.has_indirect_call, 0
	.section	.AMDGPU.csdata,"",@progbits
; Kernel info:
; codeLenInByte = 6188
; TotalNumSgprs: 48
; NumVgprs: 66
; ScratchSize: 0
; MemoryBound: 0
; FloatMode: 240
; IeeeMode: 1
; LDSByteSize: 4800 bytes/workgroup (compile time only)
; SGPRBlocks: 0
; VGPRBlocks: 8
; NumSGPRsForWavesPerEU: 48
; NumVGPRsForWavesPerEU: 66
; Occupancy: 12
; WaveLimiterHint : 1
; COMPUTE_PGM_RSRC2:SCRATCH_EN: 0
; COMPUTE_PGM_RSRC2:USER_SGPR: 6
; COMPUTE_PGM_RSRC2:TRAP_HANDLER: 0
; COMPUTE_PGM_RSRC2:TGID_X_EN: 1
; COMPUTE_PGM_RSRC2:TGID_Y_EN: 0
; COMPUTE_PGM_RSRC2:TGID_Z_EN: 1
; COMPUTE_PGM_RSRC2:TIDIG_COMP_CNT: 1
	.section	.text._ZL36rocblas_hemvn_kernel_lower_block_sumILi64EiPKfPKPffEviT1_lS5_lT2_lT0_lPT3_i,"axG",@progbits,_ZL36rocblas_hemvn_kernel_lower_block_sumILi64EiPKfPKPffEviT1_lS5_lT2_lT0_lPT3_i,comdat
	.globl	_ZL36rocblas_hemvn_kernel_lower_block_sumILi64EiPKfPKPffEviT1_lS5_lT2_lT0_lPT3_i ; -- Begin function _ZL36rocblas_hemvn_kernel_lower_block_sumILi64EiPKfPKPffEviT1_lS5_lT2_lT0_lPT3_i
	.p2align	8
	.type	_ZL36rocblas_hemvn_kernel_lower_block_sumILi64EiPKfPKPffEviT1_lS5_lT2_lT0_lPT3_i,@function
_ZL36rocblas_hemvn_kernel_lower_block_sumILi64EiPKfPKPffEviT1_lS5_lT2_lT0_lPT3_i: ; @_ZL36rocblas_hemvn_kernel_lower_block_sumILi64EiPKfPKPffEviT1_lS5_lT2_lT0_lPT3_i
; %bb.0:
	s_load_dwordx8 s[8:15], s[4:5], 0x8
	s_mov_b32 s2, s7
	s_waitcnt lgkmcnt(0)
	s_mul_i32 s1, s11, s7
	s_mul_hi_u32 s3, s10, s7
	s_mul_i32 s0, s10, s7
	s_add_i32 s1, s3, s1
	s_mul_i32 s3, s15, s7
	s_lshl_b64 s[0:1], s[0:1], 2
	s_mul_hi_u32 s7, s14, s7
	s_add_u32 s0, s8, s0
	s_addc_u32 s1, s9, s1
	s_add_i32 s9, s7, s3
	s_mul_i32 s8, s14, s2
	s_mov_b32 s3, 0
	s_lshl_b64 s[8:9], s[8:9], 2
	s_add_u32 s8, s12, s8
	s_addc_u32 s9, s13, s9
	s_load_dword s11, s[0:1], 0x0
	s_load_dword s12, s[8:9], 0x0
	s_waitcnt lgkmcnt(0)
	v_cmp_eq_f32_e64 s0, s11, 0
	v_cmp_eq_f32_e64 s1, s12, 1.0
	s_and_b32 s0, s0, s1
	s_and_b32 vcc_lo, exec_lo, s0
	s_cbranch_vccnz .LBB150_19
; %bb.1:
	s_load_dwordx4 s[16:19], s[4:5], 0x28
	s_lshl_b64 s[0:1], s[2:3], 3
	s_clause 0x1
	s_load_dword s13, s[4:5], 0x38
	s_load_dword s8, s[4:5], 0x0
	v_lshl_or_b32 v0, s6, 6, v0
	v_cmp_neq_f32_e64 s9, s11, 0
	s_waitcnt lgkmcnt(0)
	s_add_u32 s0, s16, s0
	s_addc_u32 s1, s17, s1
	s_lshl_b64 s[14:15], s[18:19], 2
	s_load_dwordx2 s[0:1], s[0:1], 0x0
	s_waitcnt lgkmcnt(0)
	s_add_u32 s7, s0, s14
	v_cmp_gt_i32_e64 s0, s8, v0
	s_addc_u32 s10, s1, s15
	s_and_b32 vcc_lo, exec_lo, s9
	s_cbranch_vccnz .LBB150_6
; %bb.2:
	s_mov_b32 s1, 0
                                        ; implicit-def: $vgpr3
                                        ; implicit-def: $vgpr1_vgpr2
	s_and_saveexec_b32 s9, s0
	s_cbranch_execz .LBB150_7
; %bb.3:
	v_mul_lo_u32 v1, s13, v0
	v_cmp_eq_f32_e64 s0, s12, 0
	v_mov_b32_e32 v3, 0
	s_and_b32 vcc_lo, exec_lo, s0
	v_ashrrev_i32_e32 v2, 31, v1
	s_cbranch_vccnz .LBB150_5
; %bb.4:
	v_lshlrev_b64 v[3:4], 2, v[1:2]
	v_add_co_u32 v3, vcc_lo, s7, v3
	v_add_co_ci_u32_e64 v4, null, s10, v4, vcc_lo
	flat_load_dword v3, v[3:4]
	s_waitcnt vmcnt(0) lgkmcnt(0)
	v_mul_f32_e32 v3, s12, v3
.LBB150_5:
	s_mov_b32 s3, exec_lo
	s_or_b32 exec_lo, exec_lo, s9
	s_and_b32 vcc_lo, exec_lo, s1
	s_cbranch_vccnz .LBB150_8
	s_branch .LBB150_17
.LBB150_6:
                                        ; implicit-def: $vgpr3
                                        ; implicit-def: $vgpr1_vgpr2
	s_cbranch_execnz .LBB150_8
	s_branch .LBB150_17
.LBB150_7:
	s_or_b32 exec_lo, exec_lo, s9
	s_and_b32 vcc_lo, exec_lo, s1
	s_cbranch_vccz .LBB150_17
.LBB150_8:
	s_mov_b32 s14, exec_lo
                                        ; implicit-def: $vgpr3
                                        ; implicit-def: $vgpr1_vgpr2
	v_cmpx_gt_i32_e64 s8, v0
	s_cbranch_execz .LBB150_16
; %bb.9:
	s_load_dword s15, s[4:5], 0x58
	v_mov_b32_e32 v4, 0
	s_waitcnt lgkmcnt(0)
	s_cmp_ge_i32 s6, s15
	s_cbranch_scc1 .LBB150_12
; %bb.10:
	s_load_dwordx2 s[0:1], s[4:5], 0x48
	v_mad_u64_u32 v[1:2], null, s8, s6, v[0:1]
	s_ashr_i32 s9, s8, 31
	s_mul_hi_u32 s4, s8, s2
	s_mul_i32 s5, s9, s2
	s_mul_i32 s2, s8, s2
	s_add_i32 s4, s4, s5
	s_mul_hi_u32 s5, s2, s15
	v_ashrrev_i32_e32 v2, 31, v1
	s_mul_i32 s16, s4, s15
	s_mul_i32 s4, s2, s15
	s_add_i32 s5, s5, s16
	v_mov_b32_e32 v4, 0
	v_lshlrev_b64 v[1:2], 2, v[1:2]
	s_lshl_b64 s[4:5], s[4:5], 2
	s_waitcnt lgkmcnt(0)
	s_add_u32 s0, s0, s4
	s_addc_u32 s1, s1, s5
	v_add_co_u32 v1, vcc_lo, s0, v1
	v_add_co_ci_u32_e64 v2, null, s1, v2, vcc_lo
	s_lshl_b64 s[0:1], s[8:9], 2
.LBB150_11:                             ; =>This Inner Loop Header: Depth=1
	global_load_dword v3, v[1:2], off
	v_add_co_u32 v1, vcc_lo, v1, s0
	v_add_co_ci_u32_e64 v2, null, s1, v2, vcc_lo
	s_add_i32 s6, s6, 1
	s_cmp_ge_i32 s6, s15
	s_waitcnt vmcnt(0)
	v_add_f32_e32 v4, v4, v3
	s_cbranch_scc0 .LBB150_11
.LBB150_12:
	v_mul_lo_u32 v1, s13, v0
	v_cmp_eq_f32_e64 s0, s12, 0
	s_and_b32 vcc_lo, exec_lo, s0
	s_mov_b32 s0, 0
	v_ashrrev_i32_e32 v2, 31, v1
	s_cbranch_vccz .LBB150_20
; %bb.13:
	v_mul_f32_e32 v3, s11, v4
	s_andn2_b32 vcc_lo, exec_lo, s0
	s_cbranch_vccnz .LBB150_15
.LBB150_14:
	v_lshlrev_b64 v[5:6], 2, v[1:2]
	v_add_co_u32 v5, vcc_lo, s7, v5
	v_add_co_ci_u32_e64 v6, null, s10, v6, vcc_lo
	flat_load_dword v0, v[5:6]
	s_waitcnt vmcnt(0) lgkmcnt(0)
	v_mul_f32_e32 v3, s12, v0
	v_fmac_f32_e32 v3, s11, v4
.LBB150_15:
	s_or_b32 s3, s3, exec_lo
.LBB150_16:
	s_or_b32 exec_lo, exec_lo, s14
.LBB150_17:
	s_and_saveexec_b32 s0, s3
	s_cbranch_execz .LBB150_19
; %bb.18:
	v_lshlrev_b64 v[0:1], 2, v[1:2]
	v_add_co_u32 v0, vcc_lo, s7, v0
	v_add_co_ci_u32_e64 v1, null, s10, v1, vcc_lo
	flat_store_dword v[0:1], v3
.LBB150_19:
	s_endpgm
.LBB150_20:
                                        ; implicit-def: $vgpr3
	s_branch .LBB150_14
	.section	.rodata,"a",@progbits
	.p2align	6, 0x0
	.amdhsa_kernel _ZL36rocblas_hemvn_kernel_lower_block_sumILi64EiPKfPKPffEviT1_lS5_lT2_lT0_lPT3_i
		.amdhsa_group_segment_fixed_size 0
		.amdhsa_private_segment_fixed_size 0
		.amdhsa_kernarg_size 344
		.amdhsa_user_sgpr_count 6
		.amdhsa_user_sgpr_private_segment_buffer 1
		.amdhsa_user_sgpr_dispatch_ptr 0
		.amdhsa_user_sgpr_queue_ptr 0
		.amdhsa_user_sgpr_kernarg_segment_ptr 1
		.amdhsa_user_sgpr_dispatch_id 0
		.amdhsa_user_sgpr_flat_scratch_init 0
		.amdhsa_user_sgpr_private_segment_size 0
		.amdhsa_wavefront_size32 1
		.amdhsa_uses_dynamic_stack 0
		.amdhsa_system_sgpr_private_segment_wavefront_offset 0
		.amdhsa_system_sgpr_workgroup_id_x 1
		.amdhsa_system_sgpr_workgroup_id_y 0
		.amdhsa_system_sgpr_workgroup_id_z 1
		.amdhsa_system_sgpr_workgroup_info 0
		.amdhsa_system_vgpr_workitem_id 0
		.amdhsa_next_free_vgpr 7
		.amdhsa_next_free_sgpr 20
		.amdhsa_reserve_vcc 1
		.amdhsa_reserve_flat_scratch 0
		.amdhsa_float_round_mode_32 0
		.amdhsa_float_round_mode_16_64 0
		.amdhsa_float_denorm_mode_32 3
		.amdhsa_float_denorm_mode_16_64 3
		.amdhsa_dx10_clamp 1
		.amdhsa_ieee_mode 1
		.amdhsa_fp16_overflow 0
		.amdhsa_workgroup_processor_mode 1
		.amdhsa_memory_ordered 1
		.amdhsa_forward_progress 1
		.amdhsa_shared_vgpr_count 0
		.amdhsa_exception_fp_ieee_invalid_op 0
		.amdhsa_exception_fp_denorm_src 0
		.amdhsa_exception_fp_ieee_div_zero 0
		.amdhsa_exception_fp_ieee_overflow 0
		.amdhsa_exception_fp_ieee_underflow 0
		.amdhsa_exception_fp_ieee_inexact 0
		.amdhsa_exception_int_div_zero 0
	.end_amdhsa_kernel
	.section	.text._ZL36rocblas_hemvn_kernel_lower_block_sumILi64EiPKfPKPffEviT1_lS5_lT2_lT0_lPT3_i,"axG",@progbits,_ZL36rocblas_hemvn_kernel_lower_block_sumILi64EiPKfPKPffEviT1_lS5_lT2_lT0_lPT3_i,comdat
.Lfunc_end150:
	.size	_ZL36rocblas_hemvn_kernel_lower_block_sumILi64EiPKfPKPffEviT1_lS5_lT2_lT0_lPT3_i, .Lfunc_end150-_ZL36rocblas_hemvn_kernel_lower_block_sumILi64EiPKfPKPffEviT1_lS5_lT2_lT0_lPT3_i
                                        ; -- End function
	.set _ZL36rocblas_hemvn_kernel_lower_block_sumILi64EiPKfPKPffEviT1_lS5_lT2_lT0_lPT3_i.num_vgpr, 7
	.set _ZL36rocblas_hemvn_kernel_lower_block_sumILi64EiPKfPKPffEviT1_lS5_lT2_lT0_lPT3_i.num_agpr, 0
	.set _ZL36rocblas_hemvn_kernel_lower_block_sumILi64EiPKfPKPffEviT1_lS5_lT2_lT0_lPT3_i.numbered_sgpr, 20
	.set _ZL36rocblas_hemvn_kernel_lower_block_sumILi64EiPKfPKPffEviT1_lS5_lT2_lT0_lPT3_i.num_named_barrier, 0
	.set _ZL36rocblas_hemvn_kernel_lower_block_sumILi64EiPKfPKPffEviT1_lS5_lT2_lT0_lPT3_i.private_seg_size, 0
	.set _ZL36rocblas_hemvn_kernel_lower_block_sumILi64EiPKfPKPffEviT1_lS5_lT2_lT0_lPT3_i.uses_vcc, 1
	.set _ZL36rocblas_hemvn_kernel_lower_block_sumILi64EiPKfPKPffEviT1_lS5_lT2_lT0_lPT3_i.uses_flat_scratch, 0
	.set _ZL36rocblas_hemvn_kernel_lower_block_sumILi64EiPKfPKPffEviT1_lS5_lT2_lT0_lPT3_i.has_dyn_sized_stack, 0
	.set _ZL36rocblas_hemvn_kernel_lower_block_sumILi64EiPKfPKPffEviT1_lS5_lT2_lT0_lPT3_i.has_recursion, 0
	.set _ZL36rocblas_hemvn_kernel_lower_block_sumILi64EiPKfPKPffEviT1_lS5_lT2_lT0_lPT3_i.has_indirect_call, 0
	.section	.AMDGPU.csdata,"",@progbits
; Kernel info:
; codeLenInByte = 680
; TotalNumSgprs: 22
; NumVgprs: 7
; ScratchSize: 0
; MemoryBound: 0
; FloatMode: 240
; IeeeMode: 1
; LDSByteSize: 0 bytes/workgroup (compile time only)
; SGPRBlocks: 0
; VGPRBlocks: 0
; NumSGPRsForWavesPerEU: 22
; NumVGPRsForWavesPerEU: 7
; Occupancy: 16
; WaveLimiterHint : 1
; COMPUTE_PGM_RSRC2:SCRATCH_EN: 0
; COMPUTE_PGM_RSRC2:USER_SGPR: 6
; COMPUTE_PGM_RSRC2:TRAP_HANDLER: 0
; COMPUTE_PGM_RSRC2:TGID_X_EN: 1
; COMPUTE_PGM_RSRC2:TGID_Y_EN: 0
; COMPUTE_PGM_RSRC2:TGID_Z_EN: 1
; COMPUTE_PGM_RSRC2:TIDIG_COMP_CNT: 0
	.section	.text._ZL26rocblas_hemvn_kernel_lowerILb0ELi64ELi4ELi33ELi32ELi16ElfPKPKfPfEviT6_lT7_lT5_lS6_lS7_lS5_lT8_i,"axG",@progbits,_ZL26rocblas_hemvn_kernel_lowerILb0ELi64ELi4ELi33ELi32ELi16ElfPKPKfPfEviT6_lT7_lT5_lS6_lS7_lS5_lT8_i,comdat
	.globl	_ZL26rocblas_hemvn_kernel_lowerILb0ELi64ELi4ELi33ELi32ELi16ElfPKPKfPfEviT6_lT7_lT5_lS6_lS7_lS5_lT8_i ; -- Begin function _ZL26rocblas_hemvn_kernel_lowerILb0ELi64ELi4ELi33ELi32ELi16ElfPKPKfPfEviT6_lT7_lT5_lS6_lS7_lS5_lT8_i
	.p2align	8
	.type	_ZL26rocblas_hemvn_kernel_lowerILb0ELi64ELi4ELi33ELi32ELi16ElfPKPKfPfEviT6_lT7_lT5_lS6_lS7_lS5_lT8_i,@function
_ZL26rocblas_hemvn_kernel_lowerILb0ELi64ELi4ELi33ELi32ELi16ElfPKPKfPfEviT6_lT7_lT5_lS6_lS7_lS5_lT8_i: ; @_ZL26rocblas_hemvn_kernel_lowerILb0ELi64ELi4ELi33ELi32ELi16ElfPKPKfPfEviT6_lT7_lT5_lS6_lS7_lS5_lT8_i
; %bb.0:
	s_load_dwordx2 s[0:1], s[4:5], 0x7c
	s_add_u32 s8, s4, 0x70
	s_addc_u32 s9, s5, 0
	s_waitcnt lgkmcnt(0)
	s_lshr_b32 s2, s0, 16
	s_and_b32 s0, s0, 0xffff
	s_and_b32 s1, s1, 0xffff
	s_mul_i32 s0, s2, s0
	s_mul_i32 s0, s0, s1
	s_cmpk_lg_i32 s0, 0x100
	s_cbranch_scc1 .LBB151_4
; %bb.1:
	s_clause 0x1
	s_load_dwordx2 s[20:21], s[4:5], 0x0
	s_load_dword s1, s[4:5], 0x50
	s_waitcnt lgkmcnt(0)
	v_cmp_eq_f32_e64 s0, s21, 0
	v_cmp_eq_f32_e64 s1, s1, 1.0
	s_and_b32 s1, s0, s1
	s_and_b32 vcc_lo, exec_lo, s1
	s_cbranch_vccnz .LBB151_4
; %bb.2:
	s_mov_b32 s18, s7
	s_and_b32 vcc_lo, exec_lo, s0
	s_cbranch_vccz .LBB151_5
; %bb.3:
	s_cbranch_execz .LBB151_6
.LBB151_4:
	s_endpgm
.LBB151_5:
.LBB151_6:
	s_clause 0x1
	s_load_dwordx4 s[0:3], s[4:5], 0x10
	s_load_dwordx4 s[24:27], s[4:5], 0x30
	s_mov_b32 s19, 0
	s_clause 0x1
	s_load_dwordx2 s[14:15], s[4:5], 0x20
	s_load_dwordx2 s[12:13], s[4:5], 0x40
	s_lshl_b64 s[10:11], s[18:19], 3
	s_waitcnt lgkmcnt(0)
	s_add_u32 s0, s0, s10
	s_addc_u32 s1, s1, s11
	s_add_u32 s10, s24, s10
	s_addc_u32 s11, s25, s11
	s_lshl_b64 s[16:17], s[26:27], 2
	s_load_dwordx2 s[10:11], s[10:11], 0x0
	s_waitcnt lgkmcnt(0)
	s_add_u32 s7, s10, s16
	s_addc_u32 s10, s11, s17
	s_lshl_b32 s22, s6, 6
	s_load_dword s11, s[8:9], 0x0
	v_add_nc_u32_e32 v18, s22, v0
	s_load_dwordx2 s[8:9], s[0:1], 0x0
	s_ashr_i32 s19, s20, 31
	s_lshr_b32 s0, s19, 26
	v_ashrrev_i32_e32 v19, 31, v18
	v_mul_lo_u32 v4, s13, v18
	v_mad_u64_u32 v[2:3], null, s12, v18, 0
	s_add_i32 s1, s20, s0
	v_mul_lo_u32 v5, s12, v19
	s_andn2_b32 s1, s1, 63
	v_cmp_ne_u32_e64 s0, 0, v1
	s_sub_i32 s17, s20, s1
	v_cmp_eq_u32_e64 s1, 0, v1
	v_add3_u32 v3, v3, v5, v4
	s_waitcnt lgkmcnt(0)
	s_add_i32 s16, s11, -1
	s_cmp_eq_u32 s6, s16
	v_lshlrev_b64 v[2:3], 2, v[2:3]
	s_cselect_b32 s24, s17, 0
	v_add_co_u32 v6, vcc_lo, s7, v2
	v_add_co_ci_u32_e64 v7, null, s10, v3, vcc_lo
	s_and_saveexec_b32 s7, s1
	s_cbranch_execz .LBB151_10
; %bb.7:
	v_cmp_gt_i32_e32 vcc_lo, s24, v0
	s_cmp_eq_u32 s24, 0
	v_mov_b32_e32 v2, 0
	s_cselect_b32 s10, -1, 0
	s_or_b32 s16, s10, vcc_lo
	s_and_saveexec_b32 s10, s16
	s_cbranch_execz .LBB151_9
; %bb.8:
	flat_load_dword v2, v[6:7]
.LBB151_9:
	s_or_b32 exec_lo, exec_lo, s10
	v_lshlrev_b32_e32 v3, 2, v0
	s_waitcnt vmcnt(0) lgkmcnt(0)
	ds_write_b32 v3, v2 offset:4544
.LBB151_10:
	s_or_b32 exec_lo, exec_lo, s7
	v_lshl_add_u32 v16, v1, 6, v0
	v_and_b32_e32 v2, 31, v0
	v_mov_b32_e32 v3, 0
	s_lshl_b64 s[2:3], s[2:3], 2
	s_mul_hi_u32 s7, s14, s22
	v_lshrrev_b32_e32 v5, 5, v16
	s_add_u32 s8, s8, s2
	s_addc_u32 s9, s9, s3
	s_ashr_i32 s23, s22, 31
	s_mul_i32 s10, s15, s22
	v_mad_u64_u32 v[3:4], null, s14, v5, v[2:3]
	s_lshl_b64 s[2:3], s[22:23], 2
	s_mul_i32 s16, s14, s23
	s_add_u32 s8, s8, s2
	s_addc_u32 s9, s9, s3
	s_add_i32 s3, s7, s16
	s_mul_i32 s2, s14, s22
	v_mad_u64_u32 v[8:9], null, s15, v5, v[4:5]
	s_add_i32 s3, s3, s10
	s_lshl_b64 s[26:27], s[2:3], 2
	s_cmp_lg_u32 s24, 0
	s_mov_b32 s2, -1
	s_cselect_b32 s21, -1, 0
	v_mov_b32_e32 v4, v8
	s_cmp_eq_u32 s24, 0
	s_cselect_b32 s10, -1, 0
	v_lshlrev_b64 v[8:9], 2, v[3:4]
	v_add_co_u32 v3, vcc_lo, s8, v8
	v_add_co_ci_u32_e64 v4, null, s9, v9, vcc_lo
	v_add_co_u32 v3, vcc_lo, v3, s26
	v_add_co_ci_u32_e64 v4, null, s27, v4, vcc_lo
	s_and_b32 vcc_lo, exec_lo, s21
	s_cbranch_vccnz .LBB151_12
; %bb.11:
	s_lshl_b64 s[2:3], s[14:15], 5
	v_add_co_u32 v10, vcc_lo, v3, s2
	v_add_co_ci_u32_e64 v11, null, s3, v4, vcc_lo
	v_add_co_u32 v12, vcc_lo, v10, s2
	v_add_co_ci_u32_e64 v13, null, s3, v11, vcc_lo
	;; [unrolled: 2-line block ×3, first 2 shown]
	s_clause 0x3
	flat_load_dword v17, v[3:4]
	flat_load_dword v10, v[10:11]
	;; [unrolled: 1-line block ×4, first 2 shown]
	v_mul_u32_u24_e32 v13, 0x84, v5
	s_mov_b32 s2, 0
	v_lshl_add_u32 v13, v2, 2, v13
	s_waitcnt vmcnt(3) lgkmcnt(3)
	ds_write_b32 v13, v17
	s_waitcnt vmcnt(2) lgkmcnt(3)
	ds_write_b32 v13, v10 offset:1056
	s_waitcnt vmcnt(1) lgkmcnt(3)
	ds_write_b32 v13, v11 offset:2112
	;; [unrolled: 2-line block ×3, first 2 shown]
.LBB151_12:
	s_andn2_b32 vcc_lo, exec_lo, s2
	s_cbranch_vccnz .LBB151_22
; %bb.13:
	v_lshlrev_b32_e32 v12, 2, v2
	s_ashr_i32 s25, s24, 31
	v_mov_b32_e32 v14, 0
	s_lshl_b64 s[8:9], s[24:25], 2
	v_mov_b32_e32 v17, 0
	v_sub_co_u32 v10, vcc_lo, v3, v12
	v_subrev_co_ci_u32_e64 v11, null, 0, v4, vcc_lo
	s_mov_b32 s3, exec_lo
	v_add_co_u32 v10, vcc_lo, v10, s8
	v_add_co_ci_u32_e64 v11, null, s9, v11, vcc_lo
	v_add_co_u32 v10, vcc_lo, v10, -4
	v_add_co_ci_u32_e64 v11, null, -1, v11, vcc_lo
	v_cmp_gt_i32_e32 vcc_lo, s24, v2
	v_cndmask_b32_e32 v11, v11, v4, vcc_lo
	v_cndmask_b32_e32 v10, v10, v3, vcc_lo
	v_cmpx_gt_i32_e64 s24, v5
	s_cbranch_execz .LBB151_15
; %bb.14:
	flat_load_dword v17, v[10:11]
.LBB151_15:
	s_or_b32 exec_lo, exec_lo, s3
	v_lshlrev_b32_e32 v13, 2, v2
	v_add_nc_u32_e32 v20, 8, v5
	v_mul_u32_u24_e32 v15, 0x84, v5
	s_mov_b32 s3, exec_lo
	v_mad_u32_u24 v21, 0x84, v5, v13
	s_waitcnt vmcnt(0) lgkmcnt(0)
	ds_write_b32 v21, v17
	v_cmpx_gt_i32_e64 s24, v20
	s_cbranch_execz .LBB151_17
; %bb.16:
	s_lshl_b64 s[16:17], s[14:15], 5
	v_add_co_u32 v20, s2, v10, s16
	v_add_co_ci_u32_e64 v21, null, s17, v11, s2
	flat_load_dword v14, v[20:21]
.LBB151_17:
	s_or_b32 exec_lo, exec_lo, s3
	v_add_nc_u32_e32 v17, 16, v5
	v_add_nc_u32_e32 v13, v15, v13
	v_mov_b32_e32 v15, 0
	v_cmp_gt_i32_e64 s2, s24, v17
	v_mov_b32_e32 v17, 0
	s_waitcnt vmcnt(0) lgkmcnt(0)
	ds_write_b32 v13, v14 offset:1056
	s_and_saveexec_b32 s3, s2
	s_cbranch_execz .LBB151_19
; %bb.18:
	s_lshl_b64 s[16:17], s[14:15], 6
	v_add_co_u32 v20, s2, v10, s16
	v_add_co_ci_u32_e64 v21, null, s17, v11, s2
	flat_load_dword v17, v[20:21]
.LBB151_19:
	s_or_b32 exec_lo, exec_lo, s3
	v_add_nc_u32_e32 v14, 24, v5
	s_mov_b32 s3, exec_lo
	s_waitcnt vmcnt(0) lgkmcnt(0)
	ds_write_b32 v13, v17 offset:2112
	v_cmpx_gt_i32_e64 s24, v14
	s_cbranch_execz .LBB151_21
; %bb.20:
	v_mad_u64_u32 v[14:15], null, 0x60, s14, v[10:11]
	v_mad_u64_u32 v[20:21], null, 0x60, s15, v[15:16]
	v_mov_b32_e32 v15, v20
	flat_load_dword v15, v[14:15]
.LBB151_21:
	s_or_b32 exec_lo, exec_lo, s3
	v_add_co_u32 v10, s2, v10, v12
	v_add_co_ci_u32_e64 v11, null, 0, v11, s2
	s_waitcnt vmcnt(0) lgkmcnt(0)
	ds_write_b32 v13, v15 offset:3168
	v_sub_co_u32 v10, s2, v10, s8
	v_subrev_co_ci_u32_e64 v11, null, s9, v11, s2
	v_add_co_u32 v10, s2, v10, 4
	v_add_co_ci_u32_e64 v11, null, 0, v11, s2
	v_cndmask_b32_e32 v3, v10, v3, vcc_lo
	v_cndmask_b32_e32 v4, v11, v4, vcc_lo
.LBB151_22:
	v_lshlrev_b32_e32 v13, 2, v2
	v_lshlrev_b32_e32 v12, 2, v5
	s_waitcnt lgkmcnt(0)
	s_barrier
	buffer_gl0_inv
	v_lshl_or_b32 v14, v2, 7, v13
	v_cmp_lt_u32_e64 s3, v12, v2
	v_mad_u32_u24 v11, 0x210, v5, v13
	s_and_saveexec_b32 s2, s3
	s_cbranch_execz .LBB151_24
; %bb.23:
	ds_read_b32 v10, v11
	v_lshl_add_u32 v15, v12, 2, v14
	s_waitcnt lgkmcnt(0)
	ds_write_b32 v15, v10
.LBB151_24:
	s_or_b32 exec_lo, exec_lo, s2
	v_or_b32_e32 v10, 1, v12
	v_cmp_lt_u32_e64 s7, v10, v2
	v_mad_u32_u24 v15, 0x84, v10, v13
	s_and_saveexec_b32 s2, s7
	s_cbranch_execz .LBB151_26
; %bb.25:
	ds_read_b32 v17, v15
	v_lshl_add_u32 v20, v12, 2, v14
	s_waitcnt lgkmcnt(0)
	ds_write_b32 v20, v17 offset:4
.LBB151_26:
	s_or_b32 exec_lo, exec_lo, s2
	v_or_b32_e32 v17, 2, v12
	v_cmp_lt_u32_e64 s8, v17, v2
	s_and_saveexec_b32 s2, s8
	s_cbranch_execz .LBB151_28
; %bb.27:
	v_mad_u32_u24 v17, 0x84, v17, v13
	v_lshl_add_u32 v20, v12, 2, v14
	ds_read_b32 v17, v17
	s_waitcnt lgkmcnt(0)
	ds_write_b32 v20, v17 offset:8
.LBB151_28:
	s_or_b32 exec_lo, exec_lo, s2
	v_or_b32_e32 v20, 3, v12
	s_mov_b32 s2, exec_lo
                                        ; implicit-def: $vgpr17
	v_cmp_lt_u32_e64 s9, v20, v2
	v_cmpx_ge_u32_e64 v20, v2
	s_xor_b32 s2, exec_lo, s2
; %bb.29:
	v_mul_u32_u24_e32 v17, 0x84, v20
                                        ; implicit-def: $vgpr14
                                        ; implicit-def: $vgpr20
; %bb.30:
	s_andn2_saveexec_b32 s2, s2
	s_cbranch_execz .LBB151_32
; %bb.31:
	v_mad_u32_u24 v17, 0x84, v20, v13
	v_lshl_add_u32 v14, v12, 2, v14
	ds_read_b32 v21, v17
	v_mul_u32_u24_e32 v17, 0x84, v20
	s_waitcnt lgkmcnt(0)
	ds_write_b32 v14, v21 offset:12
.LBB151_32:
	s_or_b32 exec_lo, exec_lo, s2
	v_lshlrev_b32_e32 v14, 2, v12
	s_waitcnt lgkmcnt(0)
	s_barrier
	buffer_gl0_inv
	ds_read_b32 v26, v11
	ds_read_b128 v[20:23], v14 offset:4544
	ds_read2_b32 v[24:25], v15 offset1:33
	v_add_nc_u32_e32 v11, v13, v17
	v_mul_u32_u24_e32 v17, 33, v2
	v_cmp_gt_u32_e64 s2, 32, v16
	ds_read_b32 v15, v11
	v_lshlrev_b32_e32 v17, 2, v17
	s_waitcnt lgkmcnt(0)
	s_barrier
	buffer_gl0_inv
	v_fma_f32 v26, v26, v20, 0
	v_lshl_add_u32 v20, v5, 2, v17
	v_fmac_f32_e32 v26, v24, v21
	v_mov_b32_e32 v24, 0
	v_fmac_f32_e32 v26, v25, v22
	v_fmac_f32_e32 v26, v15, v23
	ds_write_b32 v20, v26
	s_waitcnt lgkmcnt(0)
	s_barrier
	buffer_gl0_inv
	s_and_saveexec_b32 s16, s2
	s_cbranch_execz .LBB151_34
; %bb.33:
	ds_read2_b32 v[21:22], v17 offset1:1
	ds_read2_b32 v[23:24], v17 offset0:2 offset1:3
	ds_read2_b32 v[25:26], v17 offset0:4 offset1:5
	;; [unrolled: 1-line block ×3, first 2 shown]
	s_waitcnt lgkmcnt(3)
	v_add_f32_e32 v15, v21, v22
	s_waitcnt lgkmcnt(2)
	v_add_f32_e32 v15, v15, v23
	v_add_f32_e32 v15, v15, v24
	s_waitcnt lgkmcnt(1)
	v_add_f32_e32 v15, v15, v25
	;; [unrolled: 3-line block ×3, first 2 shown]
	v_add_f32_e32 v24, v15, v28
.LBB151_34:
	s_or_b32 exec_lo, exec_lo, s16
	s_lshl_b64 s[16:17], s[14:15], 7
	v_cndmask_b32_e64 v15, 0, 1, s10
	v_add_co_u32 v3, vcc_lo, v3, s16
	v_add_co_ci_u32_e64 v4, null, s17, v4, vcc_lo
	s_lshl_b64 s[28:29], s[14:15], 5
	v_add_co_u32 v21, vcc_lo, 0x80, v3
	v_add_co_ci_u32_e64 v22, null, 0, v4, vcc_lo
	s_andn2_b32 vcc_lo, exec_lo, s10
	s_mov_b32 s10, -1
	s_barrier
	buffer_gl0_inv
	s_cbranch_vccnz .LBB151_36
; %bb.35:
	v_add_co_u32 v25, vcc_lo, v3, s28
	v_add_co_ci_u32_e64 v26, null, s29, v4, vcc_lo
	s_mov_b32 s10, 0
	v_add_co_u32 v27, vcc_lo, v25, s28
	v_add_co_ci_u32_e64 v28, null, s29, v26, vcc_lo
	v_add_co_u32 v29, vcc_lo, v27, s28
	v_add_co_ci_u32_e64 v30, null, s29, v28, vcc_lo
	s_clause 0x3
	flat_load_dword v23, v[3:4] offset:128
	flat_load_dword v25, v[25:26] offset:128
	;; [unrolled: 1-line block ×4, first 2 shown]
	v_mad_u32_u24 v28, 0x84, v5, v13
	s_waitcnt vmcnt(3) lgkmcnt(3)
	ds_write_b32 v28, v23
	s_waitcnt vmcnt(2) lgkmcnt(3)
	ds_write_b32 v28, v25 offset:1056
	s_waitcnt vmcnt(1) lgkmcnt(3)
	ds_write_b32 v28, v26 offset:2112
	;; [unrolled: 2-line block ×3, first 2 shown]
.LBB151_36:
	s_andn2_b32 vcc_lo, exec_lo, s10
	s_cbranch_vccnz .LBB151_46
; %bb.37:
	v_lshlrev_b32_e32 v23, 2, v2
	s_ashr_i32 s25, s24, 31
	v_or_b32_e32 v25, 32, v2
	s_lshl_b64 s[30:31], s[24:25], 2
	v_mov_b32_e32 v26, 0
	v_sub_co_u32 v3, vcc_lo, v3, v23
	v_subrev_co_ci_u32_e64 v4, null, 0, v4, vcc_lo
	v_mov_b32_e32 v27, 0
	v_add_co_u32 v3, vcc_lo, v3, s30
	v_add_co_ci_u32_e64 v4, null, s31, v4, vcc_lo
	s_sub_i32 s25, s24, 32
	v_add_co_u32 v3, vcc_lo, v3, -4
	v_add_co_ci_u32_e64 v4, null, -1, v4, vcc_lo
	v_cmp_gt_i32_e32 vcc_lo, s24, v25
	s_mov_b32 s33, exec_lo
	v_cndmask_b32_e32 v4, v4, v22, vcc_lo
	v_cndmask_b32_e32 v3, v3, v21, vcc_lo
	v_cmpx_gt_i32_e64 s25, v5
	s_cbranch_execz .LBB151_39
; %bb.38:
	flat_load_dword v27, v[3:4]
.LBB151_39:
	s_or_b32 exec_lo, exec_lo, s33
	v_add_nc_u32_e32 v28, 8, v5
	v_mul_u32_u24_e32 v25, 0x84, v5
	v_mad_u32_u24 v29, 0x84, v5, v13
	s_mov_b32 s33, exec_lo
	s_waitcnt vmcnt(0) lgkmcnt(0)
	ds_write_b32 v29, v27
	v_cmpx_gt_i32_e64 s25, v28
	s_cbranch_execz .LBB151_41
; %bb.40:
	v_add_co_u32 v26, s10, v3, s28
	v_add_co_ci_u32_e64 v27, null, s29, v4, s10
	flat_load_dword v26, v[26:27]
.LBB151_41:
	s_or_b32 exec_lo, exec_lo, s33
	v_add_nc_u32_e32 v28, 16, v5
	v_add_nc_u32_e32 v25, v25, v13
	v_mov_b32_e32 v27, 0
	v_cmp_gt_i32_e64 s10, s25, v28
	v_mov_b32_e32 v28, 0
	s_waitcnt vmcnt(0) lgkmcnt(0)
	ds_write_b32 v25, v26 offset:1056
	s_and_saveexec_b32 s33, s10
	s_cbranch_execz .LBB151_43
; %bb.42:
	s_lshl_b64 s[34:35], s[14:15], 6
	v_add_co_u32 v28, s10, v3, s34
	v_add_co_ci_u32_e64 v29, null, s35, v4, s10
	flat_load_dword v28, v[28:29]
.LBB151_43:
	s_or_b32 exec_lo, exec_lo, s33
	v_add_nc_u32_e32 v26, 24, v5
	s_waitcnt vmcnt(0) lgkmcnt(0)
	ds_write_b32 v25, v28 offset:2112
	v_cmp_gt_i32_e64 s10, s25, v26
	s_and_saveexec_b32 s25, s10
	s_cbranch_execz .LBB151_45
; %bb.44:
	v_mad_u64_u32 v[26:27], null, 0x60, s14, v[3:4]
	v_mad_u64_u32 v[27:28], null, 0x60, s15, v[27:28]
	flat_load_dword v27, v[26:27]
.LBB151_45:
	s_or_b32 exec_lo, exec_lo, s25
	v_add_co_u32 v3, s10, v3, v23
	v_add_co_ci_u32_e64 v4, null, 0, v4, s10
	s_waitcnt vmcnt(0) lgkmcnt(0)
	ds_write_b32 v25, v27 offset:3168
	v_sub_co_u32 v3, s10, v3, s30
	v_subrev_co_ci_u32_e64 v4, null, s31, v4, s10
	v_add_co_u32 v3, s10, 0x84, v3
	v_add_co_ci_u32_e64 v4, null, 0, v4, s10
	v_cndmask_b32_e32 v21, v3, v21, vcc_lo
	v_cndmask_b32_e32 v22, v4, v22, vcc_lo
.LBB151_46:
	v_mul_u32_u24_e32 v3, 0x210, v5
	v_add_nc_u32_e32 v14, 0x11c0, v14
	v_mul_u32_u24_e32 v4, 0x84, v10
	s_waitcnt lgkmcnt(0)
	s_barrier
	v_add_nc_u32_e32 v3, v13, v3
	buffer_gl0_inv
	s_and_saveexec_b32 s10, s3
	s_cbranch_execnz .LBB151_55
; %bb.47:
	s_or_b32 exec_lo, exec_lo, s10
	v_add_nc_u32_e32 v4, v13, v4
	s_and_saveexec_b32 s3, s7
	s_cbranch_execnz .LBB151_56
.LBB151_48:
	s_or_b32 exec_lo, exec_lo, s3
	s_and_saveexec_b32 s3, s8
	s_cbranch_execnz .LBB151_57
.LBB151_49:
	s_or_b32 exec_lo, exec_lo, s3
	s_and_saveexec_b32 s3, s9
	s_cbranch_execz .LBB151_51
.LBB151_50:
	ds_read_b32 v10, v11
	v_lshl_add_u32 v23, v12, 2, v17
	s_waitcnt lgkmcnt(0)
	ds_write_b32 v23, v10 offset:12
.LBB151_51:
	s_or_b32 exec_lo, exec_lo, s3
	s_waitcnt lgkmcnt(0)
	s_barrier
	buffer_gl0_inv
	ds_read_b32 v10, v3
	ds_read_b128 v[25:28], v14 offset:128
	ds_read2_b32 v[3:4], v4 offset1:33
	ds_read_b32 v11, v11
	v_cmp_eq_u32_e64 s3, 1, v5
	s_waitcnt lgkmcnt(0)
	s_barrier
	buffer_gl0_inv
	v_fma_f32 v10, v10, v25, 0
	v_fmac_f32_e32 v10, v3, v26
	v_fmac_f32_e32 v10, v4, v27
	;; [unrolled: 1-line block ×3, first 2 shown]
	ds_write_b32 v20, v10
	s_waitcnt lgkmcnt(0)
	s_barrier
	buffer_gl0_inv
	s_and_saveexec_b32 s7, s3
	s_cbranch_execz .LBB151_53
; %bb.52:
	ds_read2_b32 v[3:4], v17 offset1:1
	ds_read2_b32 v[10:11], v17 offset0:2 offset1:3
	ds_read2_b32 v[23:24], v17 offset0:4 offset1:5
	ds_read2_b32 v[25:26], v17 offset0:6 offset1:7
	s_waitcnt lgkmcnt(3)
	v_add_f32_e32 v3, v3, v4
	s_waitcnt lgkmcnt(2)
	v_add_f32_e32 v3, v3, v10
	v_add_f32_e32 v3, v3, v11
	s_waitcnt lgkmcnt(1)
	v_add_f32_e32 v3, v3, v23
	;; [unrolled: 3-line block ×3, first 2 shown]
	v_add_f32_e32 v24, v3, v26
.LBB151_53:
	s_or_b32 exec_lo, exec_lo, s7
	s_lshl_b64 s[8:9], s[28:29], 2
	v_cmp_ne_u32_e32 vcc_lo, 1, v15
	v_sub_co_u32 v10, s7, v21, s8
	v_subrev_co_ci_u32_e64 v11, null, s9, v22, s7
	s_barrier
	buffer_gl0_inv
	s_cbranch_vccnz .LBB151_58
; %bb.54:
	v_add_co_u32 v3, vcc_lo, v10, s28
	v_add_co_ci_u32_e64 v4, null, s29, v11, vcc_lo
	flat_load_dword v23, v[10:11]
	v_add_co_u32 v21, vcc_lo, v3, s28
	v_add_co_ci_u32_e64 v22, null, s29, v4, vcc_lo
	s_movk_i32 s7, 0x420
	v_add_co_u32 v25, vcc_lo, v21, s28
	v_add_co_ci_u32_e64 v26, null, s29, v22, vcc_lo
	s_movk_i32 s8, 0x840
	s_clause 0x2
	flat_load_dword v4, v[3:4]
	flat_load_dword v27, v[21:22]
	;; [unrolled: 1-line block ×3, first 2 shown]
	v_mad_u32_u24 v3, 0x84, v5, v13
	v_mad_u32_u24 v22, 0x84, v5, s7
	s_movk_i32 s7, 0xc60
	v_mad_u32_u24 v25, 0x84, v5, s8
	v_mul_u32_u24_e32 v15, 0x84, v5
	v_add_nc_u32_e32 v21, 8, v5
	v_add_nc_u32_e32 v29, v13, v22
	;; [unrolled: 1-line block ×4, first 2 shown]
	s_waitcnt vmcnt(3) lgkmcnt(3)
	ds_write_b32 v3, v23
	v_mad_u32_u24 v3, 0x84, v5, s7
	v_add_nc_u32_e32 v23, 16, v5
	s_waitcnt vmcnt(2) lgkmcnt(3)
	ds_write_b32 v29, v4
	s_waitcnt vmcnt(1) lgkmcnt(3)
	ds_write_b32 v30, v27
	v_add_nc_u32_e32 v31, v13, v3
	s_waitcnt vmcnt(0) lgkmcnt(3)
	ds_write_b32 v31, v28
	s_cbranch_execz .LBB151_59
	s_branch .LBB151_68
.LBB151_55:
	ds_read_b32 v10, v3
	v_lshl_add_u32 v23, v12, 2, v17
	s_waitcnt lgkmcnt(0)
	ds_write_b32 v23, v10
	s_or_b32 exec_lo, exec_lo, s10
	v_add_nc_u32_e32 v4, v13, v4
	s_and_saveexec_b32 s3, s7
	s_cbranch_execz .LBB151_48
.LBB151_56:
	ds_read_b32 v10, v4
	v_lshl_add_u32 v23, v12, 2, v17
	s_waitcnt lgkmcnt(0)
	ds_write_b32 v23, v10 offset:4
	s_or_b32 exec_lo, exec_lo, s3
	s_and_saveexec_b32 s3, s8
	s_cbranch_execz .LBB151_49
.LBB151_57:
	ds_read_b32 v10, v4 offset:132
	v_lshl_add_u32 v23, v12, 2, v17
	s_waitcnt lgkmcnt(0)
	ds_write_b32 v23, v10 offset:8
	s_or_b32 exec_lo, exec_lo, s3
	s_and_saveexec_b32 s3, s9
	s_cbranch_execnz .LBB151_50
	s_branch .LBB151_51
.LBB151_58:
                                        ; implicit-def: $vgpr15
                                        ; implicit-def: $vgpr21
                                        ; implicit-def: $vgpr22
                                        ; implicit-def: $vgpr23
                                        ; implicit-def: $vgpr25
                                        ; implicit-def: $vgpr26
                                        ; implicit-def: $vgpr3
.LBB151_59:
	v_or_b32_e32 v3, 32, v2
	s_ashr_i32 s25, s24, 31
	v_mov_b32_e32 v25, 0
	s_lshl_b64 s[8:9], s[24:25], 2
	v_mov_b32_e32 v22, 0
	v_lshlrev_b32_e32 v4, 2, v3
	s_mov_b32 s10, exec_lo
	v_sub_co_u32 v4, vcc_lo, v10, v4
	v_subrev_co_ci_u32_e64 v15, null, 0, v11, vcc_lo
	v_add_co_u32 v4, vcc_lo, v4, s8
	v_add_co_ci_u32_e64 v15, null, s9, v15, vcc_lo
	v_add_co_u32 v21, vcc_lo, v4, -4
	v_add_co_ci_u32_e64 v4, null, -1, v15, vcc_lo
	v_cmp_gt_i32_e32 vcc_lo, s24, v3
	v_cndmask_b32_e32 v4, v4, v11, vcc_lo
	v_cndmask_b32_e32 v3, v21, v10, vcc_lo
	v_cmpx_gt_i32_e64 s24, v5
	s_cbranch_execz .LBB151_61
; %bb.60:
	flat_load_dword v22, v[3:4]
.LBB151_61:
	s_or_b32 exec_lo, exec_lo, s10
	v_add_nc_u32_e32 v21, 8, v5
	v_mul_u32_u24_e32 v15, 0x84, v5
	v_mad_u32_u24 v23, 0x84, v5, v13
	s_mov_b32 s10, exec_lo
	s_waitcnt vmcnt(0) lgkmcnt(0)
	ds_write_b32 v23, v22
	v_cmpx_gt_i32_e64 s24, v21
	s_cbranch_execz .LBB151_63
; %bb.62:
	v_add_co_u32 v22, s7, v3, s28
	v_add_co_ci_u32_e64 v23, null, s29, v4, s7
	flat_load_dword v25, v[22:23]
.LBB151_63:
	s_or_b32 exec_lo, exec_lo, s10
	v_add_nc_u32_e32 v22, 0x420, v15
	v_add_nc_u32_e32 v23, 16, v5
	v_mov_b32_e32 v27, 0
	v_mov_b32_e32 v28, 0
	s_mov_b32 s10, exec_lo
	v_add_nc_u32_e32 v26, v13, v22
	s_waitcnt vmcnt(0) lgkmcnt(0)
	ds_write_b32 v26, v25
	v_cmpx_gt_i32_e64 s24, v23
	s_cbranch_execz .LBB151_65
; %bb.64:
	s_lshl_b64 s[28:29], s[14:15], 6
	v_add_co_u32 v25, s7, v3, s28
	v_add_co_ci_u32_e64 v26, null, s29, v4, s7
	flat_load_dword v28, v[25:26]
.LBB151_65:
	s_or_b32 exec_lo, exec_lo, s10
	v_add_nc_u32_e32 v25, 0x420, v22
	v_add_nc_u32_e32 v26, 24, v5
	s_mov_b32 s10, exec_lo
	v_add_nc_u32_e32 v5, v13, v25
	s_waitcnt vmcnt(0) lgkmcnt(0)
	ds_write_b32 v5, v28
	v_cmpx_gt_i32_e64 s24, v26
	s_cbranch_execz .LBB151_67
; %bb.66:
	v_mad_u64_u32 v[27:28], null, 0x60, s14, v[3:4]
	v_mov_b32_e32 v5, v28
	v_mad_u64_u32 v[28:29], null, 0x60, s15, v[5:6]
	flat_load_dword v27, v[27:28]
.LBB151_67:
	s_or_b32 exec_lo, exec_lo, s10
	v_lshlrev_b32_e32 v2, 2, v2
	v_add_co_u32 v2, s7, v3, v2
	v_add_co_ci_u32_e64 v3, null, 0, v4, s7
	v_sub_co_u32 v2, s7, v2, s8
	v_subrev_co_ci_u32_e64 v4, null, s9, v3, s7
	v_add_nc_u32_e32 v3, 0x420, v25
	v_add_co_u32 v2, s7, 0x84, v2
	v_add_co_ci_u32_e64 v4, null, 0, v4, s7
	v_add_nc_u32_e32 v5, v13, v3
	v_cndmask_b32_e32 v10, v2, v10, vcc_lo
	v_cndmask_b32_e32 v11, v4, v11, vcc_lo
	s_waitcnt vmcnt(0) lgkmcnt(0)
	ds_write_b32 v5, v27
.LBB151_68:
	v_add_nc_u32_e32 v2, v13, v15
	v_add_nc_u32_e32 v4, v13, v22
	v_lshlrev_b32_e32 v5, 2, v21
	s_waitcnt lgkmcnt(0)
	s_barrier
	buffer_gl0_inv
	ds_read_b32 v15, v2
	ds_read_b32 v21, v12 offset:4544
	ds_read_b32 v22, v4
	v_lshlrev_b32_e32 v4, 2, v23
	ds_read_b32 v23, v5 offset:4544
	v_add_nc_u32_e32 v2, v13, v25
	v_add_nc_u32_e32 v3, v13, v3
	v_lshlrev_b32_e32 v5, 2, v26
	ds_read_b32 v25, v2
	ds_read_b32 v26, v4 offset:4544
	ds_read_b32 v27, v3
	ds_read_b32 v28, v5 offset:4544
	v_lshl_add_u32 v12, v12, 2, v17
	ds_read_b128 v[2:5], v14 offset:128
	s_waitcnt lgkmcnt(7)
	v_fma_f32 v21, v15, v21, 0
	ds_read2_b32 v[14:15], v12 offset1:1
	ds_read2_b32 v[12:13], v12 offset0:2 offset1:3
	s_waitcnt lgkmcnt(0)
	s_barrier
	buffer_gl0_inv
	v_fmac_f32_e32 v21, v22, v23
	v_fmac_f32_e32 v21, v25, v26
	;; [unrolled: 1-line block ×3, first 2 shown]
	ds_write_b32 v20, v21
	s_waitcnt lgkmcnt(0)
	s_barrier
	buffer_gl0_inv
	s_and_saveexec_b32 s7, s3
	s_cbranch_execz .LBB151_70
; %bb.69:
	ds_read2_b32 v[21:22], v17 offset1:1
	ds_read2_b32 v[25:26], v17 offset0:2 offset1:3
	ds_read2_b32 v[27:28], v17 offset0:4 offset1:5
	ds_read2_b32 v[29:30], v17 offset0:6 offset1:7
	s_waitcnt lgkmcnt(3)
	v_add_f32_e32 v21, v24, v21
	v_add_f32_e32 v21, v21, v22
	s_waitcnt lgkmcnt(2)
	v_add_f32_e32 v21, v21, v25
	v_add_f32_e32 v21, v21, v26
	;; [unrolled: 3-line block ×4, first 2 shown]
.LBB151_70:
	s_or_b32 exec_lo, exec_lo, s7
	v_fma_f32 v2, v14, v2, 0
	s_barrier
	buffer_gl0_inv
	v_fmac_f32_e32 v2, v15, v3
	v_fmac_f32_e32 v2, v12, v4
	;; [unrolled: 1-line block ×3, first 2 shown]
	ds_write_b32 v20, v2
	s_waitcnt lgkmcnt(0)
	s_barrier
	buffer_gl0_inv
	s_and_saveexec_b32 s3, s2
	s_cbranch_execz .LBB151_72
; %bb.71:
	ds_read2_b32 v[2:3], v17 offset1:1
	ds_read2_b32 v[4:5], v17 offset0:2 offset1:3
	ds_read2_b32 v[12:13], v17 offset0:4 offset1:5
	;; [unrolled: 1-line block ×3, first 2 shown]
	s_waitcnt lgkmcnt(3)
	v_add_f32_e32 v2, v24, v2
	v_add_f32_e32 v2, v2, v3
	s_waitcnt lgkmcnt(2)
	v_add_f32_e32 v2, v2, v4
	v_add_f32_e32 v2, v2, v5
	;; [unrolled: 3-line block ×4, first 2 shown]
.LBB151_72:
	s_or_b32 exec_lo, exec_lo, s3
	s_load_dwordx2 s[2:3], s[4:5], 0x60
	s_mul_hi_u32 s4, s20, s18
	s_mul_i32 s19, s19, s18
	s_mul_i32 s5, s20, s18
	s_add_i32 s4, s4, s19
	s_mul_hi_u32 s7, s5, s11
	s_mul_i32 s8, s4, s11
	s_mul_i32 s4, s5, s11
	s_add_i32 s5, s7, s8
	s_mul_i32 s8, s20, s6
	s_lshl_b64 s[4:5], s[4:5], 2
	v_cmp_le_i32_e32 vcc_lo, s24, v0
	v_lshlrev_b32_e32 v25, 2, v0
	s_waitcnt lgkmcnt(0)
	s_barrier
	buffer_gl0_inv
	s_add_u32 s4, s2, s4
	s_addc_u32 s5, s3, s5
	s_ashr_i32 s9, s8, 31
	s_lshl_b64 s[2:3], s[8:9], 2
	s_add_u32 s7, s4, s2
	s_addc_u32 s20, s5, s3
	s_and_b32 vcc_lo, s21, vcc_lo
	s_cmp_lt_i32 s6, 1
	s_cbranch_scc1 .LBB151_79
; %bb.73:
	v_lshlrev_b32_e32 v4, 2, v1
	s_ashr_i32 s25, s24, 31
	s_mul_i32 s3, s12, s23
	s_lshl_b64 s[8:9], s[24:25], 2
	s_mul_hi_u32 s5, s12, s22
	v_mad_u64_u32 v[2:3], null, s14, v4, 0
	s_mul_i32 s10, s13, s22
	s_add_i32 s3, s5, s3
	s_mul_hi_u32 s18, s14, 12
	s_add_i32 s5, s3, s10
	s_mul_i32 s3, s15, 12
	s_mul_hi_u32 s23, s14, 0x48
	v_mad_u64_u32 v[3:4], null, s15, v4, v[3:4]
	v_sub_co_u32 v4, s2, v10, s26
	v_subrev_co_ci_u32_e64 v10, null, s27, v11, s2
	s_add_i32 s21, s18, s3
	v_add_co_u32 v4, s2, 0xffffff80, v4
	v_add_co_ci_u32_e64 v10, null, -1, v10, s2
	v_lshlrev_b64 v[2:3], 2, v[2:3]
	v_sub_co_u32 v4, s2, v4, v8
	v_sub_co_ci_u32_e64 v8, null, v10, v9, s2
	s_mul_i32 s3, s15, 0x48
	v_add_co_u32 v2, s2, v4, v2
	v_add_co_ci_u32_e64 v3, null, v8, v3, s2
	s_add_i32 s23, s23, s3
	v_add_co_u32 v4, s2, v2, s8
	v_add_co_ci_u32_e64 v8, null, s9, v3, s2
	v_add_co_u32 v2, s2, v2, v25
	v_add_co_ci_u32_e64 v3, null, 0, v3, s2
	v_add_co_u32 v4, s2, v4, -4
	v_add_co_ci_u32_e64 v8, null, -1, v8, s2
	s_mul_i32 s3, s15, 0x4c
	s_mul_hi_u32 s25, s14, 0x4c
	s_mul_hi_u32 s27, s14, 0x88
	s_add_i32 s25, s25, s3
	s_mul_i32 s3, s15, 0x88
	s_mul_i32 s4, s12, s22
	s_add_i32 s27, s27, s3
	s_mul_i32 s3, s15, 0x8c
	s_mul_hi_u32 s29, s14, 0x8c
	v_and_b32_e32 v5, 15, v0
	v_cndmask_b32_e32 v23, v3, v8, vcc_lo
	v_cndmask_b32_e32 v22, v2, v4, vcc_lo
	v_lshrrev_b32_e32 v2, 2, v16
	v_and_b32_e32 v3, 48, v0
	s_lshl_b64 s[4:5], s[4:5], 2
	s_add_i32 s29, s29, s3
	s_mul_i32 s3, s15, 0xc0
	s_mul_hi_u32 s31, s14, 0xc0
	v_sub_co_u32 v26, s2, v6, s4
	s_add_i32 s31, s31, s3
	s_mul_i32 s3, s15, 0xc8
	s_mul_hi_u32 s34, s14, 0xc8
	v_subrev_co_ci_u32_e64 v27, null, s5, v7, s2
	v_and_b32_e32 v2, 0x1ffc, v2
	v_mul_u32_u24_e32 v4, 0x10c, v5
	v_lshlrev_b32_e32 v3, 2, v3
	v_or_b32_e32 v6, 60, v25
	v_and_b32_e32 v7, 0x7ff0, v16
	s_add_i32 s34, s34, s3
	s_mul_i32 s3, s15, 0xcc
	s_mul_hi_u32 s36, s14, 0xcc
	s_mul_hi_u32 s38, s14, 0xc4
	s_add_i32 s36, s36, s3
	s_mul_i32 s3, s15, 0xc4
	s_mul_hi_u32 s40, s14, 0x84
	s_add_i32 s38, s38, s3
	s_mul_i32 s3, s15, 0x84
	v_mov_b32_e32 v21, 0
	v_add_nc_u32_e32 v28, 0x10c0, v25
	v_lshl_add_u32 v29, v1, 4, 0x10c0
	v_add_nc_u32_e32 v30, 0x11c0, v25
	v_mad_u32_u24 v31, 0x430, v1, v25
	v_mad_u32_u24 v32, 0x10c, v5, v2
	v_cmp_gt_u32_e64 s2, 64, v16
	v_mad_u32_u24 v33, 0x10c, v5, v3
	v_mad_u32_u24 v34, 0x10c, v5, v6
	v_add_nc_u32_e32 v35, v4, v7
	s_lshl_b64 s[4:5], s[14:15], 2
	s_lshl_b64 s[8:9], s[14:15], 3
	;; [unrolled: 1-line block ×4, first 2 shown]
	s_add_i32 s40, s40, s3
	s_mul_i32 s3, s15, 0x44
	s_mul_hi_u32 s15, s14, 0x44
	s_mul_i32 s22, s14, 12
	s_mul_i32 s24, s14, 0x48
	;; [unrolled: 1-line block ×10, first 2 shown]
	s_add_i32 s15, s15, s3
	s_mulk_i32 s14, 0x44
	s_mov_b32 s42, 0
	s_branch .LBB151_75
.LBB151_74:                             ;   in Loop: Header=BB151_75 Depth=1
	s_or_b32 exec_lo, exec_lo, s43
	v_fmac_f32_e32 v24, v39, v2
	v_add_co_u32 v22, s3, v22, s10
	v_add_co_ci_u32_e64 v23, null, s11, v23, s3
	v_fmac_f32_e32 v24, v37, v3
	s_add_i32 s6, s6, -1
	s_add_i32 s42, s42, 64
	s_cmp_eq_u32 s6, 0
	s_waitcnt_vscnt null, 0x0
	v_fmac_f32_e32 v24, v36, v4
	s_barrier
	buffer_gl0_inv
	v_fmac_f32_e32 v24, v38, v5
	v_fmac_f32_e32 v24, v43, v6
	;; [unrolled: 1-line block ×13, first 2 shown]
	s_cbranch_scc1 .LBB151_79
.LBB151_75:                             ; =>This Inner Loop Header: Depth=1
	s_and_saveexec_b32 s43, s1
	s_cbranch_execz .LBB151_77
; %bb.76:                               ;   in Loop: Header=BB151_75 Depth=1
	s_mul_i32 s3, s13, s42
	s_mul_hi_u32 s45, s12, s42
	s_mul_i32 s44, s12, s42
	s_add_i32 s45, s45, s3
	s_lshl_b64 s[44:45], s[44:45], 2
	v_add_co_u32 v2, s3, v26, s44
	v_add_co_ci_u32_e64 v3, null, s45, v27, s3
	flat_load_dword v2, v[2:3]
	s_waitcnt vmcnt(0) lgkmcnt(0)
	ds_write_b32 v28, v2
.LBB151_77:                             ;   in Loop: Header=BB151_75 Depth=1
	s_or_b32 exec_lo, exec_lo, s43
	v_add_co_u32 v2, s3, v22, s4
	v_add_co_ci_u32_e64 v3, null, s5, v23, s3
	v_add_co_u32 v4, s3, v22, s8
	v_add_co_ci_u32_e64 v5, null, s9, v23, s3
	;; [unrolled: 2-line block ×3, first 2 shown]
	s_waitcnt lgkmcnt(0)
	s_barrier
	buffer_gl0_inv
	s_clause 0x3
	flat_load_dword v39, v[22:23]
	flat_load_dword v37, v[2:3]
	;; [unrolled: 1-line block ×4, first 2 shown]
	ds_read_b32 v12, v30
	ds_read_b128 v[2:5], v29
	v_add_co_u32 v6, s3, v22, s18
	v_add_co_ci_u32_e64 v7, null, s19, v23, s3
	v_add_co_u32 v8, s3, v22, s14
	v_add_co_ci_u32_e64 v9, null, s15, v23, s3
	;; [unrolled: 2-line block ×3, first 2 shown]
	s_waitcnt vmcnt(3) lgkmcnt(1)
	v_mul_f32_e32 v14, v39, v12
	s_waitcnt vmcnt(2)
	v_mul_f32_e32 v15, v37, v12
	s_waitcnt vmcnt(1)
	;; [unrolled: 2-line block ×3, first 2 shown]
	v_mul_f32_e32 v17, v38, v12
	v_add_co_u32 v12, s3, v22, s26
	v_add_co_ci_u32_e64 v13, null, s25, v23, s3
	ds_write2_b32 v31, v14, v15 offset1:67
	ds_write2_b32 v31, v16, v17 offset0:134 offset1:201
	s_waitcnt lgkmcnt(0)
	s_barrier
	buffer_gl0_inv
	ds_read2_b32 v[52:53], v35 offset1:1
	ds_read2_b32 v[54:55], v35 offset0:2 offset1:3
	s_waitcnt lgkmcnt(0)
	s_barrier
	buffer_gl0_inv
	s_clause 0x3
	flat_load_dword v43, v[6:7]
	flat_load_dword v41, v[8:9]
	;; [unrolled: 1-line block ×4, first 2 shown]
	ds_read_b32 v16, v30
	ds_read_b128 v[6:9], v29 offset:64
	v_add_co_u32 v10, s3, v22, s16
	v_add_co_ci_u32_e64 v11, null, s17, v23, s3
	v_add_co_u32 v12, s3, v22, s41
	v_add_co_ci_u32_e64 v13, null, s40, v23, s3
	;; [unrolled: 2-line block ×3, first 2 shown]
	s_waitcnt vmcnt(3) lgkmcnt(1)
	v_mul_f32_e32 v20, v43, v16
	s_waitcnt vmcnt(2)
	v_mul_f32_e32 v44, v41, v16
	s_waitcnt vmcnt(1)
	v_mul_f32_e32 v45, v40, v16
	s_waitcnt vmcnt(0)
	v_mul_f32_e32 v46, v42, v16
	v_add_co_u32 v16, s3, v22, s30
	v_add_co_ci_u32_e64 v17, null, s29, v23, s3
	ds_write2_b32 v31, v20, v44 offset1:67
	ds_write2_b32 v31, v45, v46 offset0:134 offset1:201
	s_waitcnt lgkmcnt(0)
	s_barrier
	buffer_gl0_inv
	ds_read2_b32 v[56:57], v35 offset1:1
	ds_read2_b32 v[58:59], v35 offset0:2 offset1:3
	s_waitcnt lgkmcnt(0)
	s_barrier
	buffer_gl0_inv
	s_clause 0x3
	flat_load_dword v47, v[10:11]
	flat_load_dword v45, v[12:13]
	;; [unrolled: 1-line block ×4, first 2 shown]
	ds_read_b32 v20, v30
	ds_read_b128 v[10:13], v29 offset:128
	v_add_co_u32 v14, s3, v22, s33
	v_add_co_ci_u32_e64 v15, null, s31, v23, s3
	v_add_co_u32 v16, s3, v22, s39
	v_add_co_ci_u32_e64 v17, null, s38, v23, s3
	;; [unrolled: 2-line block ×4, first 2 shown]
	s_waitcnt vmcnt(3) lgkmcnt(1)
	v_mul_f32_e32 v50, v47, v20
	s_waitcnt vmcnt(2)
	v_mul_f32_e32 v51, v45, v20
	s_waitcnt vmcnt(1)
	;; [unrolled: 2-line block ×3, first 2 shown]
	v_mul_f32_e32 v20, v46, v20
	ds_write2_b32 v31, v50, v51 offset1:67
	ds_write2_b32 v31, v62, v20 offset0:134 offset1:201
	s_waitcnt lgkmcnt(0)
	s_barrier
	buffer_gl0_inv
	ds_read2_b32 v[62:63], v35 offset1:1
	ds_read2_b32 v[64:65], v35 offset0:2 offset1:3
	s_waitcnt lgkmcnt(0)
	s_barrier
	buffer_gl0_inv
	s_clause 0x3
	flat_load_dword v51, v[14:15]
	flat_load_dword v50, v[16:17]
	;; [unrolled: 1-line block ×4, first 2 shown]
	ds_read_b32 v20, v30
	ds_read_b128 v[14:17], v29 offset:192
	s_waitcnt vmcnt(3) lgkmcnt(1)
	v_mul_f32_e32 v60, v51, v20
	s_waitcnt vmcnt(2)
	v_mul_f32_e32 v61, v50, v20
	s_waitcnt vmcnt(1)
	;; [unrolled: 2-line block ×3, first 2 shown]
	v_mul_f32_e32 v20, v48, v20
	ds_write2_b32 v31, v60, v61 offset1:67
	ds_write2_b32 v31, v66, v20 offset0:134 offset1:201
	s_waitcnt lgkmcnt(0)
	s_barrier
	buffer_gl0_inv
	ds_read2_b32 v[60:61], v35 offset1:1
	ds_read2_b32 v[66:67], v35 offset0:2 offset1:3
	v_add_f32_e32 v20, 0, v52
	v_add_f32_e32 v52, 0, v56
	;; [unrolled: 1-line block ×3, first 2 shown]
	s_waitcnt lgkmcnt(0)
	s_barrier
	v_add_f32_e32 v20, v20, v53
	v_add_f32_e32 v52, v52, v57
	;; [unrolled: 1-line block ×3, first 2 shown]
	buffer_gl0_inv
	v_add_f32_e32 v20, v20, v54
	v_add_f32_e32 v52, v52, v58
	v_add_f32_e32 v53, v53, v64
	v_add_f32_e32 v20, v20, v55
	v_add_f32_e32 v52, v52, v59
	v_add_f32_e32 v53, v53, v65
	v_add_f32_e32 v60, 0, v60
	v_add_f32_e32 v56, v60, v61
	v_add_f32_e32 v54, v56, v66
	v_add_f32_e32 v54, v54, v67
	ds_write2_b32 v32, v20, v52 offset1:16
	ds_write2_b32 v32, v53, v54 offset0:32 offset1:48
	s_waitcnt lgkmcnt(0)
	s_barrier
	buffer_gl0_inv
	s_and_saveexec_b32 s43, s2
	s_cbranch_execz .LBB151_74
; %bb.78:                               ;   in Loop: Header=BB151_75 Depth=1
	ds_read2_b32 v[52:53], v33 offset1:1
	ds_read2_b32 v[54:55], v33 offset0:2 offset1:3
	ds_read2_b32 v[56:57], v33 offset0:4 offset1:5
	;; [unrolled: 1-line block ×3, first 2 shown]
	s_waitcnt lgkmcnt(3)
	v_add_f32_e32 v20, v52, v53
	ds_read2_b32 v[52:53], v33 offset0:8 offset1:9
	s_waitcnt lgkmcnt(3)
	v_add_f32_e32 v20, v20, v54
	v_add_f32_e32 v20, v20, v55
	ds_read2_b32 v[54:55], v33 offset0:10 offset1:11
	s_waitcnt lgkmcnt(3)
	v_add_f32_e32 v20, v20, v56
	v_add_f32_e32 v20, v20, v57
	s_waitcnt lgkmcnt(2)
	v_add_f32_e32 v20, v20, v58
	ds_read2_b32 v[56:57], v33 offset0:12 offset1:13
	ds_read_b32 v58, v33 offset:56
	v_add_f32_e32 v20, v20, v59
	s_waitcnt lgkmcnt(3)
	v_add_f32_e32 v20, v20, v52
	v_add_f32_e32 v20, v20, v53
	s_waitcnt lgkmcnt(2)
	v_add_f32_e32 v20, v20, v54
	ds_read_b32 v54, v34
	v_add_f32_e32 v20, v20, v55
	s_waitcnt lgkmcnt(2)
	v_add_f32_e32 v20, v20, v56
	v_add_f32_e32 v52, v20, v57
	v_add_nc_u32_e32 v20, s42, v0
	s_waitcnt lgkmcnt(1)
	v_add_f32_e32 v55, v52, v58
	v_lshlrev_b64 v[52:53], 2, v[20:21]
	s_waitcnt lgkmcnt(0)
	v_add_f32_e32 v20, v55, v54
	v_add_co_u32 v52, s3, s7, v52
	v_add_co_ci_u32_e64 v53, null, s20, v53, s3
	global_store_dword v[52:53], v20, off
	s_branch .LBB151_74
.LBB151_79:
	v_mad_u32_u24 v0, 0x10c, v1, v25
	s_nor_b32 s0, s0, vcc_lo
	ds_write_b32 v0, v24
	s_waitcnt lgkmcnt(0)
	s_barrier
	buffer_gl0_inv
	s_and_saveexec_b32 s1, s0
	s_cbranch_execz .LBB151_4
; %bb.80:
	ds_read2_b32 v[0:1], v25 offset1:67
	ds_read2_b32 v[2:3], v25 offset0:134 offset1:201
	s_waitcnt lgkmcnt(1)
	v_add_f32_e32 v0, v0, v1
	s_waitcnt lgkmcnt(0)
	v_add_f32_e32 v2, v0, v2
	v_lshlrev_b64 v[0:1], 2, v[18:19]
	v_add_f32_e32 v2, v2, v3
	v_add_co_u32 v0, vcc_lo, s7, v0
	v_add_co_ci_u32_e64 v1, null, s20, v1, vcc_lo
	global_store_dword v[0:1], v2, off
	s_endpgm
	.section	.rodata,"a",@progbits
	.p2align	6, 0x0
	.amdhsa_kernel _ZL26rocblas_hemvn_kernel_lowerILb0ELi64ELi4ELi33ELi32ELi16ElfPKPKfPfEviT6_lT7_lT5_lS6_lS7_lS5_lT8_i
		.amdhsa_group_segment_fixed_size 4800
		.amdhsa_private_segment_fixed_size 0
		.amdhsa_kernarg_size 368
		.amdhsa_user_sgpr_count 6
		.amdhsa_user_sgpr_private_segment_buffer 1
		.amdhsa_user_sgpr_dispatch_ptr 0
		.amdhsa_user_sgpr_queue_ptr 0
		.amdhsa_user_sgpr_kernarg_segment_ptr 1
		.amdhsa_user_sgpr_dispatch_id 0
		.amdhsa_user_sgpr_flat_scratch_init 0
		.amdhsa_user_sgpr_private_segment_size 0
		.amdhsa_wavefront_size32 1
		.amdhsa_uses_dynamic_stack 0
		.amdhsa_system_sgpr_private_segment_wavefront_offset 0
		.amdhsa_system_sgpr_workgroup_id_x 1
		.amdhsa_system_sgpr_workgroup_id_y 0
		.amdhsa_system_sgpr_workgroup_id_z 1
		.amdhsa_system_sgpr_workgroup_info 0
		.amdhsa_system_vgpr_workitem_id 1
		.amdhsa_next_free_vgpr 68
		.amdhsa_next_free_sgpr 46
		.amdhsa_reserve_vcc 1
		.amdhsa_reserve_flat_scratch 1
		.amdhsa_float_round_mode_32 0
		.amdhsa_float_round_mode_16_64 0
		.amdhsa_float_denorm_mode_32 3
		.amdhsa_float_denorm_mode_16_64 3
		.amdhsa_dx10_clamp 1
		.amdhsa_ieee_mode 1
		.amdhsa_fp16_overflow 0
		.amdhsa_workgroup_processor_mode 1
		.amdhsa_memory_ordered 1
		.amdhsa_forward_progress 1
		.amdhsa_shared_vgpr_count 0
		.amdhsa_exception_fp_ieee_invalid_op 0
		.amdhsa_exception_fp_denorm_src 0
		.amdhsa_exception_fp_ieee_div_zero 0
		.amdhsa_exception_fp_ieee_overflow 0
		.amdhsa_exception_fp_ieee_underflow 0
		.amdhsa_exception_fp_ieee_inexact 0
		.amdhsa_exception_int_div_zero 0
	.end_amdhsa_kernel
	.section	.text._ZL26rocblas_hemvn_kernel_lowerILb0ELi64ELi4ELi33ELi32ELi16ElfPKPKfPfEviT6_lT7_lT5_lS6_lS7_lS5_lT8_i,"axG",@progbits,_ZL26rocblas_hemvn_kernel_lowerILb0ELi64ELi4ELi33ELi32ELi16ElfPKPKfPfEviT6_lT7_lT5_lS6_lS7_lS5_lT8_i,comdat
.Lfunc_end151:
	.size	_ZL26rocblas_hemvn_kernel_lowerILb0ELi64ELi4ELi33ELi32ELi16ElfPKPKfPfEviT6_lT7_lT5_lS6_lS7_lS5_lT8_i, .Lfunc_end151-_ZL26rocblas_hemvn_kernel_lowerILb0ELi64ELi4ELi33ELi32ELi16ElfPKPKfPfEviT6_lT7_lT5_lS6_lS7_lS5_lT8_i
                                        ; -- End function
	.set _ZL26rocblas_hemvn_kernel_lowerILb0ELi64ELi4ELi33ELi32ELi16ElfPKPKfPfEviT6_lT7_lT5_lS6_lS7_lS5_lT8_i.num_vgpr, 68
	.set _ZL26rocblas_hemvn_kernel_lowerILb0ELi64ELi4ELi33ELi32ELi16ElfPKPKfPfEviT6_lT7_lT5_lS6_lS7_lS5_lT8_i.num_agpr, 0
	.set _ZL26rocblas_hemvn_kernel_lowerILb0ELi64ELi4ELi33ELi32ELi16ElfPKPKfPfEviT6_lT7_lT5_lS6_lS7_lS5_lT8_i.numbered_sgpr, 46
	.set _ZL26rocblas_hemvn_kernel_lowerILb0ELi64ELi4ELi33ELi32ELi16ElfPKPKfPfEviT6_lT7_lT5_lS6_lS7_lS5_lT8_i.num_named_barrier, 0
	.set _ZL26rocblas_hemvn_kernel_lowerILb0ELi64ELi4ELi33ELi32ELi16ElfPKPKfPfEviT6_lT7_lT5_lS6_lS7_lS5_lT8_i.private_seg_size, 0
	.set _ZL26rocblas_hemvn_kernel_lowerILb0ELi64ELi4ELi33ELi32ELi16ElfPKPKfPfEviT6_lT7_lT5_lS6_lS7_lS5_lT8_i.uses_vcc, 1
	.set _ZL26rocblas_hemvn_kernel_lowerILb0ELi64ELi4ELi33ELi32ELi16ElfPKPKfPfEviT6_lT7_lT5_lS6_lS7_lS5_lT8_i.uses_flat_scratch, 1
	.set _ZL26rocblas_hemvn_kernel_lowerILb0ELi64ELi4ELi33ELi32ELi16ElfPKPKfPfEviT6_lT7_lT5_lS6_lS7_lS5_lT8_i.has_dyn_sized_stack, 0
	.set _ZL26rocblas_hemvn_kernel_lowerILb0ELi64ELi4ELi33ELi32ELi16ElfPKPKfPfEviT6_lT7_lT5_lS6_lS7_lS5_lT8_i.has_recursion, 0
	.set _ZL26rocblas_hemvn_kernel_lowerILb0ELi64ELi4ELi33ELi32ELi16ElfPKPKfPfEviT6_lT7_lT5_lS6_lS7_lS5_lT8_i.has_indirect_call, 0
	.section	.AMDGPU.csdata,"",@progbits
; Kernel info:
; codeLenInByte = 6208
; TotalNumSgprs: 48
; NumVgprs: 68
; ScratchSize: 0
; MemoryBound: 0
; FloatMode: 240
; IeeeMode: 1
; LDSByteSize: 4800 bytes/workgroup (compile time only)
; SGPRBlocks: 0
; VGPRBlocks: 8
; NumSGPRsForWavesPerEU: 48
; NumVGPRsForWavesPerEU: 68
; Occupancy: 12
; WaveLimiterHint : 1
; COMPUTE_PGM_RSRC2:SCRATCH_EN: 0
; COMPUTE_PGM_RSRC2:USER_SGPR: 6
; COMPUTE_PGM_RSRC2:TRAP_HANDLER: 0
; COMPUTE_PGM_RSRC2:TGID_X_EN: 1
; COMPUTE_PGM_RSRC2:TGID_Y_EN: 0
; COMPUTE_PGM_RSRC2:TGID_Z_EN: 1
; COMPUTE_PGM_RSRC2:TIDIG_COMP_CNT: 1
	.section	.text._ZL36rocblas_hemvn_kernel_lower_block_sumILi64ElfPKPffEviT1_lS3_lT2_lT0_lPT3_i,"axG",@progbits,_ZL36rocblas_hemvn_kernel_lower_block_sumILi64ElfPKPffEviT1_lS3_lT2_lT0_lPT3_i,comdat
	.globl	_ZL36rocblas_hemvn_kernel_lower_block_sumILi64ElfPKPffEviT1_lS3_lT2_lT0_lPT3_i ; -- Begin function _ZL36rocblas_hemvn_kernel_lower_block_sumILi64ElfPKPffEviT1_lS3_lT2_lT0_lPT3_i
	.p2align	8
	.type	_ZL36rocblas_hemvn_kernel_lower_block_sumILi64ElfPKPffEviT1_lS3_lT2_lT0_lPT3_i,@function
_ZL36rocblas_hemvn_kernel_lower_block_sumILi64ElfPKPffEviT1_lS3_lT2_lT0_lPT3_i: ; @_ZL36rocblas_hemvn_kernel_lower_block_sumILi64ElfPKPffEviT1_lS3_lT2_lT0_lPT3_i
; %bb.0:
	s_clause 0x1
	s_load_dwordx2 s[10:11], s[4:5], 0x0
	s_load_dword s13, s[4:5], 0x10
	s_mov_b32 s9, 0
	s_waitcnt lgkmcnt(0)
	v_cmp_eq_f32_e64 s0, s11, 0
	v_cmp_eq_f32_e64 s1, s13, 1.0
	s_and_b32 s0, s0, s1
	s_and_b32 vcc_lo, exec_lo, s0
	s_cbranch_vccnz .LBB152_19
; %bb.1:
	s_clause 0x1
	s_load_dwordx2 s[14:15], s[4:5], 0x20
	s_load_dwordx4 s[0:3], s[4:5], 0x28
	s_mov_b32 s8, s7
	v_lshl_or_b32 v0, s6, 6, v0
	s_lshl_b64 s[16:17], s[8:9], 3
	s_waitcnt lgkmcnt(0)
	s_add_u32 s14, s14, s16
	s_addc_u32 s15, s15, s17
	v_cmp_neq_f32_e64 s16, s11, 0
	s_load_dwordx2 s[14:15], s[14:15], 0x0
	s_lshl_b64 s[0:1], s[0:1], 2
	s_waitcnt lgkmcnt(0)
	s_add_u32 s7, s14, s0
	v_cmp_gt_i32_e64 s0, s10, v0
	s_addc_u32 s12, s15, s1
	s_and_b32 vcc_lo, exec_lo, s16
	s_cbranch_vccnz .LBB152_6
; %bb.2:
	s_mov_b32 s1, 0
                                        ; implicit-def: $vgpr3
                                        ; implicit-def: $vgpr1_vgpr2
	s_and_saveexec_b32 s14, s0
	s_cbranch_execz .LBB152_7
; %bb.3:
	v_ashrrev_i32_e32 v3, 31, v0
	v_mul_lo_u32 v4, s3, v0
	v_mad_u64_u32 v[1:2], null, s2, v0, 0
	v_cmp_eq_f32_e64 s0, s13, 0
	v_mul_lo_u32 v5, s2, v3
	v_mov_b32_e32 v3, 0
	s_and_b32 vcc_lo, exec_lo, s0
	v_add3_u32 v2, v2, v5, v4
	s_cbranch_vccnz .LBB152_5
; %bb.4:
	v_lshlrev_b64 v[3:4], 2, v[1:2]
	v_add_co_u32 v3, vcc_lo, s7, v3
	v_add_co_ci_u32_e64 v4, null, s12, v4, vcc_lo
	flat_load_dword v3, v[3:4]
	s_waitcnt vmcnt(0) lgkmcnt(0)
	v_mul_f32_e32 v3, s13, v3
.LBB152_5:
	s_mov_b32 s9, exec_lo
	s_or_b32 exec_lo, exec_lo, s14
	s_and_b32 vcc_lo, exec_lo, s1
	s_cbranch_vccnz .LBB152_8
	s_branch .LBB152_17
.LBB152_6:
                                        ; implicit-def: $vgpr3
                                        ; implicit-def: $vgpr1_vgpr2
	s_cbranch_execnz .LBB152_8
	s_branch .LBB152_17
.LBB152_7:
	s_or_b32 exec_lo, exec_lo, s14
	s_and_b32 vcc_lo, exec_lo, s1
	s_cbranch_vccz .LBB152_17
.LBB152_8:
	s_mov_b32 s14, exec_lo
                                        ; implicit-def: $vgpr3
                                        ; implicit-def: $vgpr1_vgpr2
	v_cmpx_gt_i32_e64 s10, v0
	s_cbranch_execz .LBB152_16
; %bb.9:
	s_load_dword s15, s[4:5], 0x50
	v_mov_b32_e32 v4, 0
	s_waitcnt lgkmcnt(0)
	s_cmp_ge_i32 s6, s15
	s_cbranch_scc1 .LBB152_12
; %bb.10:
	s_load_dwordx2 s[0:1], s[4:5], 0x40
	v_mad_u64_u32 v[1:2], null, s10, s6, v[0:1]
	s_ashr_i32 s5, s10, 31
	s_mul_hi_u32 s4, s10, s8
	s_mul_i32 s16, s5, s8
	s_mul_i32 s8, s10, s8
	s_add_i32 s4, s4, s16
	s_mul_hi_u32 s17, s8, s15
	v_ashrrev_i32_e32 v2, 31, v1
	s_mul_i32 s4, s4, s15
	s_mul_i32 s16, s8, s15
	s_add_i32 s17, s17, s4
	v_mov_b32_e32 v4, 0
	v_lshlrev_b64 v[1:2], 2, v[1:2]
	s_lshl_b64 s[16:17], s[16:17], 2
	s_mov_b32 s4, s10
	s_waitcnt lgkmcnt(0)
	s_add_u32 s0, s0, s16
	s_addc_u32 s1, s1, s17
	v_add_co_u32 v1, vcc_lo, s0, v1
	v_add_co_ci_u32_e64 v2, null, s1, v2, vcc_lo
	s_lshl_b64 s[0:1], s[4:5], 2
.LBB152_11:                             ; =>This Inner Loop Header: Depth=1
	global_load_dword v3, v[1:2], off
	v_add_co_u32 v1, vcc_lo, v1, s0
	v_add_co_ci_u32_e64 v2, null, s1, v2, vcc_lo
	s_add_i32 s6, s6, 1
	s_cmp_ge_i32 s6, s15
	s_waitcnt vmcnt(0)
	v_add_f32_e32 v4, v4, v3
	s_cbranch_scc0 .LBB152_11
.LBB152_12:
	v_ashrrev_i32_e32 v1, 31, v0
	v_mul_lo_u32 v5, s3, v0
	v_cmp_eq_f32_e64 s0, s13, 0
	v_mul_lo_u32 v6, s2, v1
	s_and_b32 vcc_lo, exec_lo, s0
	s_mov_b32 s0, 0
	s_cbranch_vccz .LBB152_20
; %bb.13:
	v_mad_u64_u32 v[1:2], null, s2, v0, 0
	v_mul_f32_e32 v3, s11, v4
	v_add3_u32 v2, v2, v6, v5
	s_andn2_b32 vcc_lo, exec_lo, s0
	s_cbranch_vccnz .LBB152_15
.LBB152_14:
	v_mad_u64_u32 v[1:2], null, s2, v0, 0
	v_add3_u32 v2, v2, v6, v5
	v_lshlrev_b64 v[5:6], 2, v[1:2]
	v_add_co_u32 v5, vcc_lo, s7, v5
	v_add_co_ci_u32_e64 v6, null, s12, v6, vcc_lo
	flat_load_dword v0, v[5:6]
	s_waitcnt vmcnt(0) lgkmcnt(0)
	v_mul_f32_e32 v3, s13, v0
	v_fmac_f32_e32 v3, s11, v4
.LBB152_15:
	s_or_b32 s9, s9, exec_lo
.LBB152_16:
	s_or_b32 exec_lo, exec_lo, s14
.LBB152_17:
	s_and_saveexec_b32 s0, s9
	s_cbranch_execz .LBB152_19
; %bb.18:
	v_lshlrev_b64 v[0:1], 2, v[1:2]
	v_add_co_u32 v0, vcc_lo, s7, v0
	v_add_co_ci_u32_e64 v1, null, s12, v1, vcc_lo
	flat_store_dword v[0:1], v3
.LBB152_19:
	s_endpgm
.LBB152_20:
                                        ; implicit-def: $vgpr3
                                        ; implicit-def: $vgpr1_vgpr2
	s_branch .LBB152_14
	.section	.rodata,"a",@progbits
	.p2align	6, 0x0
	.amdhsa_kernel _ZL36rocblas_hemvn_kernel_lower_block_sumILi64ElfPKPffEviT1_lS3_lT2_lT0_lPT3_i
		.amdhsa_group_segment_fixed_size 0
		.amdhsa_private_segment_fixed_size 0
		.amdhsa_kernarg_size 336
		.amdhsa_user_sgpr_count 6
		.amdhsa_user_sgpr_private_segment_buffer 1
		.amdhsa_user_sgpr_dispatch_ptr 0
		.amdhsa_user_sgpr_queue_ptr 0
		.amdhsa_user_sgpr_kernarg_segment_ptr 1
		.amdhsa_user_sgpr_dispatch_id 0
		.amdhsa_user_sgpr_flat_scratch_init 0
		.amdhsa_user_sgpr_private_segment_size 0
		.amdhsa_wavefront_size32 1
		.amdhsa_uses_dynamic_stack 0
		.amdhsa_system_sgpr_private_segment_wavefront_offset 0
		.amdhsa_system_sgpr_workgroup_id_x 1
		.amdhsa_system_sgpr_workgroup_id_y 0
		.amdhsa_system_sgpr_workgroup_id_z 1
		.amdhsa_system_sgpr_workgroup_info 0
		.amdhsa_system_vgpr_workitem_id 0
		.amdhsa_next_free_vgpr 7
		.amdhsa_next_free_sgpr 18
		.amdhsa_reserve_vcc 1
		.amdhsa_reserve_flat_scratch 0
		.amdhsa_float_round_mode_32 0
		.amdhsa_float_round_mode_16_64 0
		.amdhsa_float_denorm_mode_32 3
		.amdhsa_float_denorm_mode_16_64 3
		.amdhsa_dx10_clamp 1
		.amdhsa_ieee_mode 1
		.amdhsa_fp16_overflow 0
		.amdhsa_workgroup_processor_mode 1
		.amdhsa_memory_ordered 1
		.amdhsa_forward_progress 1
		.amdhsa_shared_vgpr_count 0
		.amdhsa_exception_fp_ieee_invalid_op 0
		.amdhsa_exception_fp_denorm_src 0
		.amdhsa_exception_fp_ieee_div_zero 0
		.amdhsa_exception_fp_ieee_overflow 0
		.amdhsa_exception_fp_ieee_underflow 0
		.amdhsa_exception_fp_ieee_inexact 0
		.amdhsa_exception_int_div_zero 0
	.end_amdhsa_kernel
	.section	.text._ZL36rocblas_hemvn_kernel_lower_block_sumILi64ElfPKPffEviT1_lS3_lT2_lT0_lPT3_i,"axG",@progbits,_ZL36rocblas_hemvn_kernel_lower_block_sumILi64ElfPKPffEviT1_lS3_lT2_lT0_lPT3_i,comdat
.Lfunc_end152:
	.size	_ZL36rocblas_hemvn_kernel_lower_block_sumILi64ElfPKPffEviT1_lS3_lT2_lT0_lPT3_i, .Lfunc_end152-_ZL36rocblas_hemvn_kernel_lower_block_sumILi64ElfPKPffEviT1_lS3_lT2_lT0_lPT3_i
                                        ; -- End function
	.set _ZL36rocblas_hemvn_kernel_lower_block_sumILi64ElfPKPffEviT1_lS3_lT2_lT0_lPT3_i.num_vgpr, 7
	.set _ZL36rocblas_hemvn_kernel_lower_block_sumILi64ElfPKPffEviT1_lS3_lT2_lT0_lPT3_i.num_agpr, 0
	.set _ZL36rocblas_hemvn_kernel_lower_block_sumILi64ElfPKPffEviT1_lS3_lT2_lT0_lPT3_i.numbered_sgpr, 18
	.set _ZL36rocblas_hemvn_kernel_lower_block_sumILi64ElfPKPffEviT1_lS3_lT2_lT0_lPT3_i.num_named_barrier, 0
	.set _ZL36rocblas_hemvn_kernel_lower_block_sumILi64ElfPKPffEviT1_lS3_lT2_lT0_lPT3_i.private_seg_size, 0
	.set _ZL36rocblas_hemvn_kernel_lower_block_sumILi64ElfPKPffEviT1_lS3_lT2_lT0_lPT3_i.uses_vcc, 1
	.set _ZL36rocblas_hemvn_kernel_lower_block_sumILi64ElfPKPffEviT1_lS3_lT2_lT0_lPT3_i.uses_flat_scratch, 0
	.set _ZL36rocblas_hemvn_kernel_lower_block_sumILi64ElfPKPffEviT1_lS3_lT2_lT0_lPT3_i.has_dyn_sized_stack, 0
	.set _ZL36rocblas_hemvn_kernel_lower_block_sumILi64ElfPKPffEviT1_lS3_lT2_lT0_lPT3_i.has_recursion, 0
	.set _ZL36rocblas_hemvn_kernel_lower_block_sumILi64ElfPKPffEviT1_lS3_lT2_lT0_lPT3_i.has_indirect_call, 0
	.section	.AMDGPU.csdata,"",@progbits
; Kernel info:
; codeLenInByte = 676
; TotalNumSgprs: 20
; NumVgprs: 7
; ScratchSize: 0
; MemoryBound: 0
; FloatMode: 240
; IeeeMode: 1
; LDSByteSize: 0 bytes/workgroup (compile time only)
; SGPRBlocks: 0
; VGPRBlocks: 0
; NumSGPRsForWavesPerEU: 20
; NumVGPRsForWavesPerEU: 7
; Occupancy: 16
; WaveLimiterHint : 1
; COMPUTE_PGM_RSRC2:SCRATCH_EN: 0
; COMPUTE_PGM_RSRC2:USER_SGPR: 6
; COMPUTE_PGM_RSRC2:TRAP_HANDLER: 0
; COMPUTE_PGM_RSRC2:TGID_X_EN: 1
; COMPUTE_PGM_RSRC2:TGID_Y_EN: 0
; COMPUTE_PGM_RSRC2:TGID_Z_EN: 1
; COMPUTE_PGM_RSRC2:TIDIG_COMP_CNT: 0
	.section	.text._ZL26rocblas_hemvn_kernel_lowerILb0ELi64ELi4ELi33ELi32ELi16EifPKPKfPfEviT6_lT7_lT5_lS6_lS7_lS5_lT8_i,"axG",@progbits,_ZL26rocblas_hemvn_kernel_lowerILb0ELi64ELi4ELi33ELi32ELi16EifPKPKfPfEviT6_lT7_lT5_lS6_lS7_lS5_lT8_i,comdat
	.globl	_ZL26rocblas_hemvn_kernel_lowerILb0ELi64ELi4ELi33ELi32ELi16EifPKPKfPfEviT6_lT7_lT5_lS6_lS7_lS5_lT8_i ; -- Begin function _ZL26rocblas_hemvn_kernel_lowerILb0ELi64ELi4ELi33ELi32ELi16EifPKPKfPfEviT6_lT7_lT5_lS6_lS7_lS5_lT8_i
	.p2align	8
	.type	_ZL26rocblas_hemvn_kernel_lowerILb0ELi64ELi4ELi33ELi32ELi16EifPKPKfPfEviT6_lT7_lT5_lS6_lS7_lS5_lT8_i,@function
_ZL26rocblas_hemvn_kernel_lowerILb0ELi64ELi4ELi33ELi32ELi16EifPKPKfPfEviT6_lT7_lT5_lS6_lS7_lS5_lT8_i: ; @_ZL26rocblas_hemvn_kernel_lowerILb0ELi64ELi4ELi33ELi32ELi16EifPKPKfPfEviT6_lT7_lT5_lS6_lS7_lS5_lT8_i
; %bb.0:
	s_load_dwordx2 s[0:1], s[4:5], 0x7c
	s_add_u32 s8, s4, 0x70
	s_addc_u32 s9, s5, 0
	s_waitcnt lgkmcnt(0)
	s_lshr_b32 s2, s0, 16
	s_and_b32 s0, s0, 0xffff
	s_and_b32 s1, s1, 0xffff
	s_mul_i32 s0, s2, s0
	s_mul_i32 s0, s0, s1
	s_cmpk_lg_i32 s0, 0x100
	s_cbranch_scc1 .LBB153_4
; %bb.1:
	s_clause 0x1
	s_load_dwordx2 s[16:17], s[4:5], 0x0
	s_load_dword s1, s[4:5], 0x50
	s_waitcnt lgkmcnt(0)
	v_cmp_eq_f32_e64 s0, s17, 0
	v_cmp_eq_f32_e64 s1, s1, 1.0
	s_and_b32 s1, s0, s1
	s_and_b32 vcc_lo, exec_lo, s1
	s_cbranch_vccnz .LBB153_4
; %bb.2:
	v_mov_b32_e32 v2, v1
	s_mov_b32 s14, s7
	s_and_b32 vcc_lo, exec_lo, s0
	s_cbranch_vccz .LBB153_5
; %bb.3:
	s_cbranch_execz .LBB153_6
.LBB153_4:
	s_endpgm
.LBB153_5:
.LBB153_6:
	s_clause 0x1
	s_load_dwordx4 s[0:3], s[4:5], 0x10
	s_load_dwordx4 s[20:23], s[4:5], 0x30
	s_mov_b32 s15, 0
	s_lshl_b64 s[10:11], s[14:15], 3
	s_waitcnt lgkmcnt(0)
	s_add_u32 s0, s0, s10
	s_addc_u32 s1, s1, s11
	s_add_u32 s10, s20, s10
	s_addc_u32 s11, s21, s11
	s_lshl_b64 s[18:19], s[22:23], 2
	s_load_dwordx2 s[12:13], s[10:11], 0x0
	s_load_dword s11, s[4:5], 0x40
	s_load_dword s15, s[8:9], 0x0
	s_load_dwordx2 s[8:9], s[0:1], 0x0
	s_waitcnt lgkmcnt(0)
	s_add_u32 s7, s12, s18
	s_addc_u32 s10, s13, s19
	s_lshl_b32 s18, s6, 6
	s_ashr_i32 s17, s16, 31
	v_add_nc_u32_e32 v19, s18, v0
	s_lshr_b32 s0, s17, 26
	s_add_i32 s12, s15, -1
	s_add_i32 s1, s16, s0
	v_cmp_ne_u32_e64 s0, 0, v2
	v_mul_lo_u32 v3, s11, v19
	s_andn2_b32 s1, s1, 63
	s_sub_i32 s13, s16, s1
	v_cmp_eq_u32_e64 s1, 0, v2
	s_cmp_eq_u32 s6, s12
	s_cselect_b32 s20, s13, 0
	v_ashrrev_i32_e32 v4, 31, v3
	v_lshlrev_b64 v[3:4], 2, v[3:4]
	v_add_co_u32 v7, vcc_lo, s7, v3
	v_add_co_ci_u32_e64 v8, null, s10, v4, vcc_lo
	s_and_saveexec_b32 s7, s1
	s_cbranch_execz .LBB153_10
; %bb.7:
	v_cmp_gt_i32_e32 vcc_lo, s20, v0
	s_cmp_eq_u32 s20, 0
	v_mov_b32_e32 v1, 0
	s_cselect_b32 s10, -1, 0
	s_or_b32 s12, s10, vcc_lo
	s_and_saveexec_b32 s10, s12
	s_cbranch_execz .LBB153_9
; %bb.8:
	flat_load_dword v1, v[7:8]
.LBB153_9:
	s_or_b32 exec_lo, exec_lo, s10
	v_lshlrev_b32_e32 v3, 2, v0
	s_waitcnt vmcnt(0) lgkmcnt(0)
	ds_write_b32 v3, v1 offset:4544
.LBB153_10:
	s_or_b32 exec_lo, exec_lo, s7
	s_load_dword s12, s[4:5], 0x20
	v_lshl_add_u32 v17, v2, 6, v0
	v_and_b32_e32 v1, 31, v0
	s_lshl_b64 s[2:3], s[2:3], 2
	s_add_u32 s7, s8, s2
	v_lshrrev_b32_e32 v13, 5, v17
	s_addc_u32 s8, s9, s3
	s_ashr_i32 s19, s18, 31
	s_lshl_b64 s[2:3], s[18:19], 2
	s_add_u32 s7, s7, s2
	s_addc_u32 s8, s8, s3
	s_waitcnt lgkmcnt(0)
	v_mad_u64_u32 v[3:4], null, s12, v13, v[1:2]
	s_mul_i32 s2, s12, s18
	s_ashr_i32 s3, s2, 31
	s_lshl_b64 s[22:23], s[2:3], 2
	s_cmp_lg_u32 s20, 0
	v_ashrrev_i32_e32 v4, 31, v3
	s_cselect_b32 s19, -1, 0
	s_cmp_eq_u32 s20, 0
	s_mov_b32 s2, -1
	s_cselect_b32 s10, -1, 0
	v_lshlrev_b64 v[9:10], 2, v[3:4]
	v_add_co_u32 v3, vcc_lo, s7, v9
	v_add_co_ci_u32_e64 v4, null, s8, v10, vcc_lo
	v_add_co_u32 v3, vcc_lo, v3, s22
	v_add_co_ci_u32_e64 v4, null, s23, v4, vcc_lo
	s_and_b32 vcc_lo, exec_lo, s19
	s_cbranch_vccnz .LBB153_12
; %bb.11:
	s_lshl_b32 s2, s12, 3
	s_ashr_i32 s13, s12, 31
	s_ashr_i32 s3, s2, 31
	s_lshl_b64 s[2:3], s[2:3], 2
	v_add_co_u32 v5, vcc_lo, v3, s2
	v_add_co_ci_u32_e64 v6, null, s3, v4, vcc_lo
	s_lshl_b64 s[2:3], s[12:13], 5
	v_add_co_u32 v11, vcc_lo, v5, s2
	v_add_co_ci_u32_e64 v12, null, s3, v6, vcc_lo
	v_add_co_u32 v14, vcc_lo, v11, s2
	v_add_co_ci_u32_e64 v15, null, s3, v12, vcc_lo
	s_clause 0x3
	flat_load_dword v16, v[3:4]
	flat_load_dword v5, v[5:6]
	;; [unrolled: 1-line block ×4, first 2 shown]
	v_mul_u32_u24_e32 v12, 0x84, v13
	s_mov_b32 s2, 0
	v_lshl_add_u32 v12, v1, 2, v12
	s_waitcnt vmcnt(3) lgkmcnt(3)
	ds_write_b32 v12, v16
	s_waitcnt vmcnt(2) lgkmcnt(3)
	ds_write_b32 v12, v5 offset:1056
	s_waitcnt vmcnt(1) lgkmcnt(3)
	ds_write_b32 v12, v6 offset:2112
	;; [unrolled: 2-line block ×3, first 2 shown]
.LBB153_12:
	v_lshlrev_b32_e32 v14, 2, v1
	s_andn2_b32 vcc_lo, exec_lo, s2
	s_cbranch_vccnz .LBB153_22
; %bb.13:
	v_sub_co_u32 v5, vcc_lo, v3, v14
	s_ashr_i32 s21, s20, 31
	v_subrev_co_ci_u32_e64 v6, null, 0, v4, vcc_lo
	s_lshl_b64 s[8:9], s[20:21], 2
	v_mov_b32_e32 v15, 0
	v_add_co_u32 v5, vcc_lo, v5, s8
	v_add_co_ci_u32_e64 v6, null, s9, v6, vcc_lo
	v_mov_b32_e32 v12, 0
	v_add_co_u32 v5, vcc_lo, v5, -4
	v_add_co_ci_u32_e64 v6, null, -1, v6, vcc_lo
	v_cmp_gt_i32_e32 vcc_lo, s20, v1
	s_mov_b32 s3, exec_lo
	v_cndmask_b32_e32 v6, v6, v4, vcc_lo
	v_cndmask_b32_e32 v5, v5, v3, vcc_lo
	v_cmpx_gt_i32_e64 s20, v13
	s_cbranch_execz .LBB153_15
; %bb.14:
	flat_load_dword v12, v[5:6]
.LBB153_15:
	s_or_b32 exec_lo, exec_lo, s3
	v_add_nc_u32_e32 v16, 8, v13
	v_mul_u32_u24_e32 v11, 0x84, v13
	v_mad_u32_u24 v18, 0x84, v13, v14
	s_mov_b32 s3, exec_lo
	s_waitcnt vmcnt(0) lgkmcnt(0)
	ds_write_b32 v18, v12
	v_cmpx_gt_i32_e64 s20, v16
	s_cbranch_execz .LBB153_17
; %bb.16:
	s_lshl_b32 s24, s12, 3
	s_ashr_i32 s25, s24, 31
	s_lshl_b64 s[24:25], s[24:25], 2
	v_add_co_u32 v15, s2, v5, s24
	v_add_co_ci_u32_e64 v16, null, s25, v6, s2
	flat_load_dword v15, v[15:16]
.LBB153_17:
	s_or_b32 exec_lo, exec_lo, s3
	v_add_nc_u32_e32 v16, 16, v13
	v_add_nc_u32_e32 v11, v11, v14
	v_mov_b32_e32 v12, 0
	v_cmp_gt_i32_e64 s2, s20, v16
	v_mov_b32_e32 v16, 0
	s_waitcnt vmcnt(0) lgkmcnt(0)
	ds_write_b32 v11, v15 offset:1056
	s_and_saveexec_b32 s3, s2
	s_cbranch_execz .LBB153_19
; %bb.18:
	s_lshl_b32 s24, s12, 4
	s_ashr_i32 s25, s24, 31
	s_lshl_b64 s[24:25], s[24:25], 2
	v_add_co_u32 v15, s2, v5, s24
	v_add_co_ci_u32_e64 v16, null, s25, v6, s2
	flat_load_dword v16, v[15:16]
.LBB153_19:
	s_or_b32 exec_lo, exec_lo, s3
	v_add_nc_u32_e32 v15, 24, v13
	s_mov_b32 s3, exec_lo
	s_waitcnt vmcnt(0) lgkmcnt(0)
	ds_write_b32 v11, v16 offset:2112
	v_cmpx_gt_i32_e64 s20, v15
	s_cbranch_execz .LBB153_21
; %bb.20:
	s_mul_i32 s24, s12, 24
	s_ashr_i32 s25, s24, 31
	s_lshl_b64 s[24:25], s[24:25], 2
	v_add_co_u32 v15, s2, v5, s24
	v_add_co_ci_u32_e64 v16, null, s25, v6, s2
	flat_load_dword v12, v[15:16]
.LBB153_21:
	s_or_b32 exec_lo, exec_lo, s3
	v_add_co_u32 v5, s2, v5, v14
	v_add_co_ci_u32_e64 v6, null, 0, v6, s2
	s_waitcnt vmcnt(0) lgkmcnt(0)
	ds_write_b32 v11, v12 offset:3168
	v_sub_co_u32 v5, s2, v5, s8
	v_subrev_co_ci_u32_e64 v6, null, s9, v6, s2
	v_add_co_u32 v5, s2, v5, 4
	v_add_co_ci_u32_e64 v6, null, 0, v6, s2
	v_cndmask_b32_e32 v3, v5, v3, vcc_lo
	v_cndmask_b32_e32 v4, v6, v4, vcc_lo
.LBB153_22:
	v_lshlrev_b32_e32 v5, 2, v13
	v_lshl_or_b32 v6, v1, 7, v14
	v_mad_u32_u24 v12, 0x210, v13, v14
	s_waitcnt lgkmcnt(0)
	s_barrier
	v_cmp_lt_u32_e64 s3, v5, v1
	buffer_gl0_inv
	s_and_saveexec_b32 s2, s3
	s_cbranch_execz .LBB153_24
; %bb.23:
	ds_read_b32 v11, v12
	v_lshl_add_u32 v15, v5, 2, v6
	s_waitcnt lgkmcnt(0)
	ds_write_b32 v15, v11
.LBB153_24:
	s_or_b32 exec_lo, exec_lo, s2
	v_or_b32_e32 v11, 1, v5
	v_cmp_lt_u32_e64 s7, v11, v1
	v_mad_u32_u24 v15, 0x84, v11, v14
	s_and_saveexec_b32 s2, s7
	s_cbranch_execz .LBB153_26
; %bb.25:
	ds_read_b32 v16, v15
	v_lshl_add_u32 v18, v5, 2, v6
	s_waitcnt lgkmcnt(0)
	ds_write_b32 v18, v16 offset:4
.LBB153_26:
	s_or_b32 exec_lo, exec_lo, s2
	v_or_b32_e32 v16, 2, v5
	v_cmp_lt_u32_e64 s8, v16, v1
	s_and_saveexec_b32 s2, s8
	s_cbranch_execz .LBB153_28
; %bb.27:
	v_mad_u32_u24 v16, 0x84, v16, v14
	v_lshl_add_u32 v18, v5, 2, v6
	ds_read_b32 v16, v16
	s_waitcnt lgkmcnt(0)
	ds_write_b32 v18, v16 offset:8
.LBB153_28:
	s_or_b32 exec_lo, exec_lo, s2
	v_or_b32_e32 v18, 3, v5
	s_mov_b32 s2, exec_lo
                                        ; implicit-def: $vgpr16
	v_cmp_lt_u32_e64 s9, v18, v1
	v_cmpx_ge_u32_e64 v18, v1
	s_xor_b32 s2, exec_lo, s2
; %bb.29:
	v_mul_u32_u24_e32 v16, 0x84, v18
                                        ; implicit-def: $vgpr6
                                        ; implicit-def: $vgpr18
; %bb.30:
	s_andn2_saveexec_b32 s2, s2
	s_cbranch_execz .LBB153_32
; %bb.31:
	v_mad_u32_u24 v16, 0x84, v18, v14
	v_lshl_add_u32 v6, v5, 2, v6
	ds_read_b32 v20, v16
	v_mul_u32_u24_e32 v16, 0x84, v18
	s_waitcnt lgkmcnt(0)
	ds_write_b32 v6, v20 offset:12
.LBB153_32:
	s_or_b32 exec_lo, exec_lo, s2
	v_lshlrev_b32_e32 v6, 2, v5
	s_waitcnt lgkmcnt(0)
	s_barrier
	buffer_gl0_inv
	ds_read_b32 v18, v12
	ds_read_b128 v[20:23], v6 offset:4544
	ds_read2_b32 v[24:25], v15 offset1:33
	v_add_nc_u32_e32 v12, v14, v16
	v_cmp_gt_u32_e64 s2, 32, v17
	ds_read_b32 v15, v12
	s_waitcnt lgkmcnt(0)
	s_barrier
	buffer_gl0_inv
	v_fma_f32 v16, v18, v20, 0
	v_mul_u32_u24_e32 v18, 33, v1
	v_fmac_f32_e32 v16, v24, v21
	v_lshlrev_b32_e32 v18, 2, v18
	v_fmac_f32_e32 v16, v25, v22
	v_mov_b32_e32 v22, 0
	v_lshl_add_u32 v20, v13, 2, v18
	v_fmac_f32_e32 v16, v15, v23
	ds_write_b32 v20, v16
	s_waitcnt lgkmcnt(0)
	s_barrier
	buffer_gl0_inv
	s_and_saveexec_b32 s13, s2
	s_cbranch_execz .LBB153_34
; %bb.33:
	ds_read2_b32 v[15:16], v18 offset1:1
	ds_read2_b32 v[21:22], v18 offset0:2 offset1:3
	ds_read2_b32 v[23:24], v18 offset0:4 offset1:5
	;; [unrolled: 1-line block ×3, first 2 shown]
	s_waitcnt lgkmcnt(3)
	v_add_f32_e32 v15, v15, v16
	s_waitcnt lgkmcnt(2)
	v_add_f32_e32 v15, v15, v21
	v_add_f32_e32 v15, v15, v22
	s_waitcnt lgkmcnt(1)
	v_add_f32_e32 v15, v15, v23
	;; [unrolled: 3-line block ×3, first 2 shown]
	v_add_f32_e32 v22, v15, v26
.LBB153_34:
	s_or_b32 exec_lo, exec_lo, s13
	s_lshl_b32 s24, s12, 5
	v_cndmask_b32_e64 v15, 0, 1, s10
	s_ashr_i32 s25, s24, 31
	s_lshl_b64 s[24:25], s[24:25], 2
	s_barrier
	v_add_co_u32 v3, vcc_lo, v3, s24
	v_add_co_ci_u32_e64 v4, null, s25, v4, vcc_lo
	buffer_gl0_inv
	v_add_co_u32 v16, vcc_lo, 0x80, v3
	v_add_co_ci_u32_e64 v21, null, 0, v4, vcc_lo
	s_andn2_b32 vcc_lo, exec_lo, s10
	s_mov_b32 s10, -1
	s_cbranch_vccnz .LBB153_36
; %bb.35:
	s_lshl_b32 s26, s12, 3
	s_ashr_i32 s13, s12, 31
	s_ashr_i32 s27, s26, 31
	s_mov_b32 s10, 0
	s_lshl_b64 s[26:27], s[26:27], 2
	v_add_co_u32 v23, vcc_lo, v3, s26
	v_add_co_ci_u32_e64 v24, null, s27, v4, vcc_lo
	s_lshl_b64 s[26:27], s[12:13], 5
	v_add_co_u32 v25, vcc_lo, v23, s26
	v_add_co_ci_u32_e64 v26, null, s27, v24, vcc_lo
	v_add_co_u32 v27, vcc_lo, v25, s26
	v_add_co_ci_u32_e64 v28, null, s27, v26, vcc_lo
	s_clause 0x3
	flat_load_dword v29, v[3:4] offset:128
	flat_load_dword v23, v[23:24] offset:128
	;; [unrolled: 1-line block ×4, first 2 shown]
	v_mad_u32_u24 v26, 0x84, v13, v14
	s_waitcnt vmcnt(3) lgkmcnt(3)
	ds_write_b32 v26, v29
	s_waitcnt vmcnt(2) lgkmcnt(3)
	ds_write_b32 v26, v23 offset:1056
	s_waitcnt vmcnt(1) lgkmcnt(3)
	ds_write_b32 v26, v24 offset:2112
	;; [unrolled: 2-line block ×3, first 2 shown]
.LBB153_36:
	s_andn2_b32 vcc_lo, exec_lo, s10
	s_cbranch_vccnz .LBB153_46
; %bb.37:
	v_sub_co_u32 v3, vcc_lo, v3, v14
	s_ashr_i32 s21, s20, 31
	v_subrev_co_ci_u32_e64 v4, null, 0, v4, vcc_lo
	s_lshl_b64 s[26:27], s[20:21], 2
	v_or_b32_e32 v23, 32, v1
	v_add_co_u32 v3, vcc_lo, v3, s26
	v_add_co_ci_u32_e64 v4, null, s27, v4, vcc_lo
	v_mov_b32_e32 v24, 0
	v_add_co_u32 v3, vcc_lo, v3, -4
	v_add_co_ci_u32_e64 v4, null, -1, v4, vcc_lo
	v_cmp_gt_i32_e32 vcc_lo, s20, v23
	v_mov_b32_e32 v25, 0
	s_sub_i32 s13, s20, 32
	s_mov_b32 s21, exec_lo
	v_cndmask_b32_e32 v4, v4, v21, vcc_lo
	v_cndmask_b32_e32 v3, v3, v16, vcc_lo
	v_cmpx_gt_i32_e64 s13, v13
	s_cbranch_execz .LBB153_39
; %bb.38:
	flat_load_dword v25, v[3:4]
.LBB153_39:
	s_or_b32 exec_lo, exec_lo, s21
	v_add_nc_u32_e32 v26, 8, v13
	v_mul_u32_u24_e32 v23, 0x84, v13
	v_mad_u32_u24 v27, 0x84, v13, v14
	s_mov_b32 s21, exec_lo
	s_waitcnt vmcnt(0) lgkmcnt(0)
	ds_write_b32 v27, v25
	v_cmpx_gt_i32_e64 s13, v26
	s_cbranch_execz .LBB153_41
; %bb.40:
	s_lshl_b32 s28, s12, 3
	s_ashr_i32 s29, s28, 31
	s_lshl_b64 s[28:29], s[28:29], 2
	v_add_co_u32 v24, s10, v3, s28
	v_add_co_ci_u32_e64 v25, null, s29, v4, s10
	flat_load_dword v24, v[24:25]
.LBB153_41:
	s_or_b32 exec_lo, exec_lo, s21
	v_add_nc_u32_e32 v26, 16, v13
	v_add_nc_u32_e32 v23, v23, v14
	v_mov_b32_e32 v25, 0
	v_cmp_gt_i32_e64 s10, s13, v26
	v_mov_b32_e32 v26, 0
	s_waitcnt vmcnt(0) lgkmcnt(0)
	ds_write_b32 v23, v24 offset:1056
	s_and_saveexec_b32 s21, s10
	s_cbranch_execz .LBB153_43
; %bb.42:
	s_lshl_b32 s28, s12, 4
	s_ashr_i32 s29, s28, 31
	s_lshl_b64 s[28:29], s[28:29], 2
	v_add_co_u32 v26, s10, v3, s28
	v_add_co_ci_u32_e64 v27, null, s29, v4, s10
	flat_load_dword v26, v[26:27]
.LBB153_43:
	s_or_b32 exec_lo, exec_lo, s21
	v_add_nc_u32_e32 v24, 24, v13
	s_waitcnt vmcnt(0) lgkmcnt(0)
	ds_write_b32 v23, v26 offset:2112
	v_cmp_gt_i32_e64 s10, s13, v24
	s_and_saveexec_b32 s13, s10
	s_cbranch_execz .LBB153_45
; %bb.44:
	s_mul_i32 s28, s12, 24
	s_ashr_i32 s29, s28, 31
	s_lshl_b64 s[28:29], s[28:29], 2
	v_add_co_u32 v24, s10, v3, s28
	v_add_co_ci_u32_e64 v25, null, s29, v4, s10
	flat_load_dword v25, v[24:25]
.LBB153_45:
	s_or_b32 exec_lo, exec_lo, s13
	v_add_co_u32 v3, s10, v3, v14
	v_add_co_ci_u32_e64 v4, null, 0, v4, s10
	s_waitcnt vmcnt(0) lgkmcnt(0)
	ds_write_b32 v23, v25 offset:3168
	v_sub_co_u32 v3, s10, v3, s26
	v_subrev_co_ci_u32_e64 v4, null, s27, v4, s10
	v_add_co_u32 v3, s10, 0x84, v3
	v_add_co_ci_u32_e64 v4, null, 0, v4, s10
	v_cndmask_b32_e32 v16, v3, v16, vcc_lo
	v_cndmask_b32_e32 v21, v4, v21, vcc_lo
.LBB153_46:
	v_mul_u32_u24_e32 v3, 0x210, v13
	v_add_nc_u32_e32 v6, 0x11c0, v6
	v_mul_u32_u24_e32 v4, 0x84, v11
	s_waitcnt lgkmcnt(0)
	s_barrier
	v_add_nc_u32_e32 v3, v14, v3
	buffer_gl0_inv
	s_and_saveexec_b32 s10, s3
	s_cbranch_execnz .LBB153_55
; %bb.47:
	s_or_b32 exec_lo, exec_lo, s10
	v_add_nc_u32_e32 v4, v14, v4
	s_and_saveexec_b32 s3, s7
	s_cbranch_execnz .LBB153_56
.LBB153_48:
	s_or_b32 exec_lo, exec_lo, s3
	s_and_saveexec_b32 s3, s8
	s_cbranch_execnz .LBB153_57
.LBB153_49:
	s_or_b32 exec_lo, exec_lo, s3
	s_and_saveexec_b32 s3, s9
	s_cbranch_execz .LBB153_51
.LBB153_50:
	ds_read_b32 v11, v12
	v_lshl_add_u32 v23, v5, 2, v18
	s_waitcnt lgkmcnt(0)
	ds_write_b32 v23, v11 offset:12
.LBB153_51:
	s_or_b32 exec_lo, exec_lo, s3
	s_waitcnt lgkmcnt(0)
	s_barrier
	buffer_gl0_inv
	ds_read_b32 v11, v3
	ds_read_b128 v[23:26], v6 offset:128
	ds_read2_b32 v[3:4], v4 offset1:33
	ds_read_b32 v12, v12
	v_cmp_eq_u32_e64 s3, 1, v13
	s_waitcnt lgkmcnt(0)
	s_barrier
	buffer_gl0_inv
	v_fma_f32 v11, v11, v23, 0
	v_fmac_f32_e32 v11, v3, v24
	v_fmac_f32_e32 v11, v4, v25
	;; [unrolled: 1-line block ×3, first 2 shown]
	ds_write_b32 v20, v11
	s_waitcnt lgkmcnt(0)
	s_barrier
	buffer_gl0_inv
	s_and_saveexec_b32 s7, s3
	s_cbranch_execz .LBB153_53
; %bb.52:
	ds_read2_b32 v[3:4], v18 offset1:1
	ds_read2_b32 v[11:12], v18 offset0:2 offset1:3
	ds_read2_b32 v[22:23], v18 offset0:4 offset1:5
	;; [unrolled: 1-line block ×3, first 2 shown]
	s_waitcnt lgkmcnt(3)
	v_add_f32_e32 v3, v3, v4
	s_waitcnt lgkmcnt(2)
	v_add_f32_e32 v3, v3, v11
	v_add_f32_e32 v3, v3, v12
	s_waitcnt lgkmcnt(1)
	v_add_f32_e32 v3, v3, v22
	v_add_f32_e32 v3, v3, v23
	s_waitcnt lgkmcnt(0)
	v_add_f32_e32 v3, v3, v24
	v_add_f32_e32 v22, v3, v25
.LBB153_53:
	s_or_b32 exec_lo, exec_lo, s7
	v_cmp_ne_u32_e32 vcc_lo, 1, v15
	v_sub_co_u32 v11, s7, v16, s24
	v_subrev_co_ci_u32_e64 v12, null, s25, v21, s7
	s_barrier
	buffer_gl0_inv
	s_cbranch_vccnz .LBB153_58
; %bb.54:
	s_lshl_b32 s8, s12, 3
	s_ashr_i32 s13, s12, 31
	s_ashr_i32 s9, s8, 31
	flat_load_dword v25, v[11:12]
	s_lshl_b64 s[8:9], s[8:9], 2
	s_movk_i32 s7, 0x420
	v_add_co_u32 v3, vcc_lo, v11, s8
	v_add_co_ci_u32_e64 v4, null, s9, v12, vcc_lo
	s_lshl_b64 s[8:9], s[12:13], 5
	v_mad_u32_u24 v21, 0x84, v13, s7
	v_add_co_u32 v15, vcc_lo, v3, s8
	v_add_co_ci_u32_e64 v16, null, s9, v4, vcc_lo
	s_movk_i32 s7, 0xc60
	v_add_co_u32 v23, vcc_lo, v15, s8
	v_add_co_ci_u32_e64 v24, null, s9, v16, vcc_lo
	s_clause 0x2
	flat_load_dword v4, v[3:4]
	flat_load_dword v26, v[15:16]
	;; [unrolled: 1-line block ×3, first 2 shown]
	v_mad_u32_u24 v3, 0x84, v13, v14
	s_movk_i32 s8, 0x840
	v_mul_u32_u24_e32 v15, 0x84, v13
	v_mad_u32_u24 v24, 0x84, v13, s8
	v_add_nc_u32_e32 v16, 8, v13
	v_add_nc_u32_e32 v28, v14, v21
	;; [unrolled: 1-line block ×4, first 2 shown]
	s_waitcnt vmcnt(3) lgkmcnt(3)
	ds_write_b32 v3, v25
	v_mad_u32_u24 v3, 0x84, v13, s7
	v_add_nc_u32_e32 v25, 24, v13
	s_waitcnt vmcnt(2) lgkmcnt(3)
	ds_write_b32 v28, v4
	s_waitcnt vmcnt(1) lgkmcnt(3)
	ds_write_b32 v29, v26
	v_add_nc_u32_e32 v30, v14, v3
	s_waitcnt vmcnt(0) lgkmcnt(3)
	ds_write_b32 v30, v27
	s_cbranch_execz .LBB153_59
	s_branch .LBB153_68
.LBB153_55:
	ds_read_b32 v11, v3
	v_lshl_add_u32 v23, v5, 2, v18
	s_waitcnt lgkmcnt(0)
	ds_write_b32 v23, v11
	s_or_b32 exec_lo, exec_lo, s10
	v_add_nc_u32_e32 v4, v14, v4
	s_and_saveexec_b32 s3, s7
	s_cbranch_execz .LBB153_48
.LBB153_56:
	ds_read_b32 v11, v4
	v_lshl_add_u32 v23, v5, 2, v18
	s_waitcnt lgkmcnt(0)
	ds_write_b32 v23, v11 offset:4
	s_or_b32 exec_lo, exec_lo, s3
	s_and_saveexec_b32 s3, s8
	s_cbranch_execz .LBB153_49
.LBB153_57:
	ds_read_b32 v11, v4 offset:132
	v_lshl_add_u32 v23, v5, 2, v18
	s_waitcnt lgkmcnt(0)
	ds_write_b32 v23, v11 offset:8
	s_or_b32 exec_lo, exec_lo, s3
	s_and_saveexec_b32 s3, s9
	s_cbranch_execnz .LBB153_50
	s_branch .LBB153_51
.LBB153_58:
                                        ; implicit-def: $vgpr15
                                        ; implicit-def: $vgpr16
                                        ; implicit-def: $vgpr21
                                        ; implicit-def: $vgpr23
                                        ; implicit-def: $vgpr24
                                        ; implicit-def: $vgpr25
                                        ; implicit-def: $vgpr3
.LBB153_59:
	v_or_b32_e32 v1, 32, v1
	s_ashr_i32 s21, s20, 31
	v_mov_b32_e32 v24, 0
	s_lshl_b64 s[8:9], s[20:21], 2
	s_mov_b32 s10, exec_lo
	v_lshlrev_b32_e32 v3, 2, v1
	v_sub_co_u32 v3, vcc_lo, v11, v3
	v_subrev_co_ci_u32_e64 v4, null, 0, v12, vcc_lo
	v_add_co_u32 v3, vcc_lo, v3, s8
	v_add_co_ci_u32_e64 v4, null, s9, v4, vcc_lo
	v_add_co_u32 v3, vcc_lo, v3, -4
	v_add_co_ci_u32_e64 v4, null, -1, v4, vcc_lo
	v_cmp_gt_i32_e32 vcc_lo, s20, v1
	v_mov_b32_e32 v1, 0
	v_cndmask_b32_e32 v4, v4, v12, vcc_lo
	v_cndmask_b32_e32 v3, v3, v11, vcc_lo
	v_cmpx_gt_i32_e64 s20, v13
	s_cbranch_execz .LBB153_61
; %bb.60:
	flat_load_dword v1, v[3:4]
.LBB153_61:
	s_or_b32 exec_lo, exec_lo, s10
	v_add_nc_u32_e32 v16, 8, v13
	v_mul_u32_u24_e32 v15, 0x84, v13
	v_mad_u32_u24 v21, 0x84, v13, v14
	s_mov_b32 s10, exec_lo
	s_waitcnt vmcnt(0) lgkmcnt(0)
	ds_write_b32 v21, v1
	v_cmpx_gt_i32_e64 s20, v16
	s_cbranch_execz .LBB153_63
; %bb.62:
	s_lshl_b32 s24, s12, 3
	s_ashr_i32 s25, s24, 31
	s_lshl_b64 s[24:25], s[24:25], 2
	v_add_co_u32 v23, s7, v3, s24
	v_add_co_ci_u32_e64 v24, null, s25, v4, s7
	flat_load_dword v24, v[23:24]
.LBB153_63:
	s_or_b32 exec_lo, exec_lo, s10
	v_add_nc_u32_e32 v21, 0x420, v15
	v_add_nc_u32_e32 v23, 16, v13
	v_mov_b32_e32 v1, 0
	v_mov_b32_e32 v26, 0
	s_mov_b32 s10, exec_lo
	v_add_nc_u32_e32 v25, v14, v21
	s_waitcnt vmcnt(0) lgkmcnt(0)
	ds_write_b32 v25, v24
	v_cmpx_gt_i32_e64 s20, v23
	s_cbranch_execz .LBB153_65
; %bb.64:
	s_lshl_b32 s24, s12, 4
	s_ashr_i32 s25, s24, 31
	s_lshl_b64 s[24:25], s[24:25], 2
	v_add_co_u32 v24, s7, v3, s24
	v_add_co_ci_u32_e64 v25, null, s25, v4, s7
	flat_load_dword v26, v[24:25]
.LBB153_65:
	s_or_b32 exec_lo, exec_lo, s10
	v_add_nc_u32_e32 v24, 0x420, v21
	v_add_nc_u32_e32 v25, 24, v13
	s_mov_b32 s10, exec_lo
	v_add_nc_u32_e32 v13, v14, v24
	s_waitcnt vmcnt(0) lgkmcnt(0)
	ds_write_b32 v13, v26
	v_cmpx_gt_i32_e64 s20, v25
	s_cbranch_execz .LBB153_67
; %bb.66:
	s_mul_i32 s24, s12, 24
	s_ashr_i32 s25, s24, 31
	s_lshl_b64 s[24:25], s[24:25], 2
	v_add_co_u32 v26, s7, v3, s24
	v_add_co_ci_u32_e64 v27, null, s25, v4, s7
	flat_load_dword v1, v[26:27]
.LBB153_67:
	s_or_b32 exec_lo, exec_lo, s10
	v_add_co_u32 v3, s7, v3, v14
	v_add_co_ci_u32_e64 v4, null, 0, v4, s7
	v_sub_co_u32 v13, s7, v3, s8
	v_subrev_co_ci_u32_e64 v4, null, s9, v4, s7
	v_add_nc_u32_e32 v3, 0x420, v24
	v_add_co_u32 v13, s7, 0x84, v13
	v_add_co_ci_u32_e64 v4, null, 0, v4, s7
	v_add_nc_u32_e32 v26, v14, v3
	v_cndmask_b32_e32 v11, v13, v11, vcc_lo
	v_cndmask_b32_e32 v12, v4, v12, vcc_lo
	s_waitcnt vmcnt(0) lgkmcnt(0)
	ds_write_b32 v26, v1
.LBB153_68:
	v_add_nc_u32_e32 v1, v14, v15
	v_add_nc_u32_e32 v4, v14, v21
	v_lshlrev_b32_e32 v13, 2, v16
	s_waitcnt lgkmcnt(0)
	s_barrier
	buffer_gl0_inv
	ds_read_b32 v1, v1
	ds_read_b32 v15, v5 offset:4544
	ds_read_b32 v21, v4
	v_lshlrev_b32_e32 v16, 2, v23
	ds_read_b32 v23, v13 offset:4544
	v_add_nc_u32_e32 v4, v14, v24
	v_add_nc_u32_e32 v3, v14, v3
	v_lshlrev_b32_e32 v13, 2, v25
	ds_read_b32 v24, v4
	ds_read_b32 v25, v16 offset:4544
	ds_read_b32 v26, v3
	ds_read_b32 v27, v13 offset:4544
	v_lshl_add_u32 v13, v5, 2, v18
	ds_read_b128 v[3:6], v6 offset:128
	s_waitcnt lgkmcnt(7)
	v_fma_f32 v1, v1, v15, 0
	ds_read2_b32 v[15:16], v13 offset1:1
	ds_read2_b32 v[13:14], v13 offset0:2 offset1:3
	s_waitcnt lgkmcnt(0)
	s_barrier
	buffer_gl0_inv
	v_fmac_f32_e32 v1, v21, v23
	v_fmac_f32_e32 v1, v24, v25
	;; [unrolled: 1-line block ×3, first 2 shown]
	ds_write_b32 v20, v1
	s_waitcnt lgkmcnt(0)
	s_barrier
	buffer_gl0_inv
	s_and_saveexec_b32 s7, s3
	s_cbranch_execz .LBB153_70
; %bb.69:
	ds_read2_b32 v[23:24], v18 offset1:1
	ds_read2_b32 v[25:26], v18 offset0:2 offset1:3
	ds_read2_b32 v[27:28], v18 offset0:4 offset1:5
	;; [unrolled: 1-line block ×3, first 2 shown]
	s_waitcnt lgkmcnt(3)
	v_add_f32_e32 v1, v22, v23
	v_add_f32_e32 v1, v1, v24
	s_waitcnt lgkmcnt(2)
	v_add_f32_e32 v1, v1, v25
	v_add_f32_e32 v1, v1, v26
	s_waitcnt lgkmcnt(1)
	v_add_f32_e32 v1, v1, v27
	v_add_f32_e32 v1, v1, v28
	s_waitcnt lgkmcnt(0)
	v_add_f32_e32 v1, v1, v29
	v_add_f32_e32 v22, v1, v30
.LBB153_70:
	s_or_b32 exec_lo, exec_lo, s7
	v_fma_f32 v1, v15, v3, 0
	s_barrier
	buffer_gl0_inv
	v_fmac_f32_e32 v1, v16, v4
	v_fmac_f32_e32 v1, v13, v5
	;; [unrolled: 1-line block ×3, first 2 shown]
	ds_write_b32 v20, v1
	s_waitcnt lgkmcnt(0)
	s_barrier
	buffer_gl0_inv
	s_and_saveexec_b32 s3, s2
	s_cbranch_execz .LBB153_72
; %bb.71:
	ds_read2_b32 v[3:4], v18 offset1:1
	ds_read2_b32 v[5:6], v18 offset0:2 offset1:3
	ds_read2_b32 v[13:14], v18 offset0:4 offset1:5
	;; [unrolled: 1-line block ×3, first 2 shown]
	s_waitcnt lgkmcnt(3)
	v_add_f32_e32 v1, v22, v3
	v_add_f32_e32 v1, v1, v4
	s_waitcnt lgkmcnt(2)
	v_add_f32_e32 v1, v1, v5
	v_add_f32_e32 v1, v1, v6
	s_waitcnt lgkmcnt(1)
	v_add_f32_e32 v1, v1, v13
	v_add_f32_e32 v1, v1, v14
	s_waitcnt lgkmcnt(0)
	v_add_f32_e32 v1, v1, v15
	v_add_f32_e32 v22, v1, v16
.LBB153_72:
	s_or_b32 exec_lo, exec_lo, s3
	s_load_dwordx2 s[2:3], s[4:5], 0x60
	s_mul_hi_u32 s4, s16, s14
	s_mul_i32 s17, s17, s14
	s_mul_i32 s5, s16, s14
	s_add_i32 s4, s4, s17
	s_mul_hi_u32 s7, s5, s15
	s_mul_i32 s8, s4, s15
	s_mul_i32 s4, s5, s15
	s_add_i32 s5, s7, s8
	s_mul_i32 s8, s16, s6
	s_lshl_b64 s[4:5], s[4:5], 2
	v_cmp_le_i32_e32 vcc_lo, s20, v0
	v_lshlrev_b32_e32 v23, 2, v0
	s_waitcnt lgkmcnt(0)
	s_barrier
	buffer_gl0_inv
	s_add_u32 s4, s2, s4
	s_addc_u32 s5, s3, s5
	s_ashr_i32 s9, s8, 31
	s_lshl_b64 s[2:3], s[8:9], 2
	s_add_u32 s7, s4, s2
	s_addc_u32 s24, s5, s3
	s_and_b32 vcc_lo, s19, vcc_lo
	s_cmp_lt_i32 s6, 1
	s_cbranch_scc1 .LBB153_79
; %bb.73:
	v_mul_lo_u32 v1, v2, s12
	v_sub_co_u32 v6, s2, v11, s22
	v_subrev_co_ci_u32_e64 v11, null, s23, v12, s2
	s_ashr_i32 s21, s20, 31
	v_add_co_u32 v6, s2, 0xffffff80, v6
	v_lshl_add_u32 v3, v1, 2, v0
	v_add_co_ci_u32_e64 v11, null, -1, v11, s2
	v_sub_co_u32 v6, s2, v6, v9
	v_ashrrev_i32_e32 v4, 31, v3
	v_sub_co_ci_u32_e64 v9, null, v11, v10, s2
	s_mul_i32 s4, s11, s18
	v_and_b32_e32 v5, 15, v0
	v_lshlrev_b64 v[3:4], 2, v[3:4]
	s_ashr_i32 s5, s4, 31
	v_mov_b32_e32 v1, 0
	s_lshl_b64 s[4:5], s[4:5], 2
	v_add_nc_u32_e32 v26, 0x10c0, v23
	v_lshl_add_u32 v27, v2, 4, 0x10c0
	v_add_co_u32 v3, s2, v6, v3
	v_add_co_ci_u32_e64 v4, null, v9, v4, s2
	v_add_nc_u32_e32 v28, 0x11c0, v23
	v_sub_co_u32 v6, s2, v3, v23
	v_subrev_co_ci_u32_e64 v9, null, 0, v4, s2
	s_lshl_b64 s[2:3], s[20:21], 2
	v_mad_u32_u24 v29, 0x430, v2, v23
	v_add_co_u32 v6, s2, v6, s2
	v_add_co_ci_u32_e64 v9, null, s3, v9, s2
	s_ashr_i32 s13, s12, 31
	v_add_co_u32 v6, s2, v6, -4
	v_add_co_ci_u32_e64 v9, null, -1, v9, s2
	v_sub_co_u32 v24, s2, v7, s4
	v_cndmask_b32_e32 v20, v3, v6, vcc_lo
	v_cndmask_b32_e32 v21, v4, v9, vcc_lo
	v_lshrrev_b32_e32 v3, 2, v17
	v_and_b32_e32 v4, 48, v0
	v_subrev_co_ci_u32_e64 v25, null, s5, v8, s2
	v_mul_u32_u24_e32 v6, 0x10c, v5
	v_and_b32_e32 v3, 0x1ffc, v3
	v_lshlrev_b32_e32 v4, 2, v4
	v_and_b32_e32 v7, 0x7ff0, v17
	v_or_b32_e32 v8, 60, v23
	v_cmp_gt_u32_e64 s2, 64, v17
	v_mad_u32_u24 v30, 0x10c, v5, v3
	v_mad_u32_u24 v31, 0x10c, v5, v4
	v_add_nc_u32_e32 v33, v6, v7
	v_mad_u32_u24 v32, 0x10c, v5, v8
	s_lshl_b32 s18, s11, 6
	s_lshl_b64 s[4:5], s[12:13], 2
	s_lshl_b64 s[8:9], s[12:13], 3
	s_lshl_b64 s[10:11], s[12:13], 8
	s_mul_hi_i32 s19, s12, 12
	s_mul_i32 s20, s12, 12
	s_lshl_b64 s[14:15], s[12:13], 6
	s_mul_hi_i32 s21, s12, 0x48
	s_mul_i32 s22, s12, 0x48
	s_mul_hi_i32 s23, s12, 0x4c
	s_mul_i32 s25, s12, 0x4c
	s_lshl_b64 s[16:17], s[12:13], 7
	s_mul_hi_i32 s26, s12, 0x88
	s_mul_i32 s27, s12, 0x88
	s_mul_hi_i32 s28, s12, 0x8c
	s_mul_i32 s29, s12, 0x8c
	;; [unrolled: 2-line block ×8, first 2 shown]
	s_mov_b32 s12, 0
	s_branch .LBB153_75
.LBB153_74:                             ;   in Loop: Header=BB153_75 Depth=1
	s_or_b32 exec_lo, exec_lo, s13
	v_fmac_f32_e32 v22, v37, v3
	v_add_co_u32 v20, s3, v20, s10
	v_add_co_ci_u32_e64 v21, null, s11, v21, s3
	v_fmac_f32_e32 v22, v35, v4
	v_add_nc_u32_e32 v0, 64, v0
	s_add_i32 s6, s6, -1
	s_add_i32 s12, s12, s18
	s_cmp_eq_u32 s6, 0
	v_fmac_f32_e32 v22, v34, v5
	s_waitcnt_vscnt null, 0x0
	s_barrier
	buffer_gl0_inv
	v_fmac_f32_e32 v22, v36, v6
	v_fmac_f32_e32 v22, v41, v7
	;; [unrolled: 1-line block ×13, first 2 shown]
	s_cbranch_scc1 .LBB153_79
.LBB153_75:                             ; =>This Inner Loop Header: Depth=1
	s_and_saveexec_b32 s43, s1
	s_cbranch_execz .LBB153_77
; %bb.76:                               ;   in Loop: Header=BB153_75 Depth=1
	s_ashr_i32 s13, s12, 31
	s_lshl_b64 s[44:45], s[12:13], 2
	v_add_co_u32 v3, s3, v24, s44
	v_add_co_ci_u32_e64 v4, null, s45, v25, s3
	flat_load_dword v3, v[3:4]
	s_waitcnt vmcnt(0) lgkmcnt(0)
	ds_write_b32 v26, v3
.LBB153_77:                             ;   in Loop: Header=BB153_75 Depth=1
	s_or_b32 exec_lo, exec_lo, s43
	v_add_co_u32 v3, s3, v20, s4
	v_add_co_ci_u32_e64 v4, null, s5, v21, s3
	v_add_co_u32 v5, s3, v20, s8
	v_add_co_ci_u32_e64 v6, null, s9, v21, s3
	;; [unrolled: 2-line block ×3, first 2 shown]
	s_waitcnt lgkmcnt(0)
	s_barrier
	buffer_gl0_inv
	s_clause 0x3
	flat_load_dword v37, v[20:21]
	flat_load_dword v35, v[3:4]
	;; [unrolled: 1-line block ×4, first 2 shown]
	ds_read_b32 v13, v28
	ds_read_b128 v[3:6], v27
	v_add_co_u32 v7, s3, v20, s14
	v_add_co_ci_u32_e64 v8, null, s15, v21, s3
	v_add_co_u32 v9, s3, v20, s42
	v_add_co_ci_u32_e64 v10, null, s41, v21, s3
	;; [unrolled: 2-line block ×3, first 2 shown]
	s_waitcnt vmcnt(3) lgkmcnt(1)
	v_mul_f32_e32 v15, v37, v13
	s_waitcnt vmcnt(2)
	v_mul_f32_e32 v16, v35, v13
	s_waitcnt vmcnt(1)
	;; [unrolled: 2-line block ×3, first 2 shown]
	v_mul_f32_e32 v18, v36, v13
	v_add_co_u32 v13, s3, v20, s25
	v_add_co_ci_u32_e64 v14, null, s23, v21, s3
	ds_write2_b32 v29, v15, v16 offset1:67
	ds_write2_b32 v29, v17, v18 offset0:134 offset1:201
	s_waitcnt lgkmcnt(0)
	s_barrier
	buffer_gl0_inv
	ds_read2_b32 v[50:51], v33 offset1:1
	ds_read2_b32 v[52:53], v33 offset0:2 offset1:3
	s_waitcnt lgkmcnt(0)
	s_barrier
	buffer_gl0_inv
	s_clause 0x3
	flat_load_dword v41, v[7:8]
	flat_load_dword v39, v[9:10]
	;; [unrolled: 1-line block ×4, first 2 shown]
	ds_read_b32 v17, v28
	ds_read_b128 v[7:10], v27 offset:64
	v_add_co_u32 v11, s3, v20, s16
	v_add_co_ci_u32_e64 v12, null, s17, v21, s3
	v_add_co_u32 v13, s3, v20, s40
	v_add_co_ci_u32_e64 v14, null, s39, v21, s3
	;; [unrolled: 2-line block ×3, first 2 shown]
	v_add_f32_e32 v50, 0, v50
	v_add_f32_e32 v50, v50, v51
	;; [unrolled: 1-line block ×4, first 2 shown]
	s_waitcnt vmcnt(3) lgkmcnt(1)
	v_mul_f32_e32 v42, v41, v17
	s_waitcnt vmcnt(2)
	v_mul_f32_e32 v43, v39, v17
	s_waitcnt vmcnt(1)
	;; [unrolled: 2-line block ×3, first 2 shown]
	v_mul_f32_e32 v45, v40, v17
	v_add_co_u32 v17, s3, v20, s29
	v_add_co_ci_u32_e64 v18, null, s28, v21, s3
	ds_write2_b32 v29, v42, v43 offset1:67
	ds_write2_b32 v29, v44, v45 offset0:134 offset1:201
	s_waitcnt lgkmcnt(0)
	s_barrier
	buffer_gl0_inv
	ds_read2_b32 v[54:55], v33 offset1:1
	ds_read2_b32 v[56:57], v33 offset0:2 offset1:3
	s_waitcnt lgkmcnt(0)
	s_barrier
	buffer_gl0_inv
	s_clause 0x3
	flat_load_dword v45, v[11:12]
	flat_load_dword v43, v[13:14]
	flat_load_dword v42, v[15:16]
	flat_load_dword v44, v[17:18]
	ds_read_b32 v48, v28
	ds_read_b128 v[11:14], v27 offset:128
	v_add_co_u32 v15, s3, v20, s31
	v_add_co_ci_u32_e64 v16, null, s30, v21, s3
	v_add_co_u32 v17, s3, v20, s38
	v_add_co_ci_u32_e64 v18, null, s37, v21, s3
	;; [unrolled: 2-line block ×4, first 2 shown]
	v_add_f32_e32 v54, 0, v54
	v_add_f32_e32 v51, v54, v55
	;; [unrolled: 1-line block ×4, first 2 shown]
	s_waitcnt vmcnt(3) lgkmcnt(1)
	v_mul_f32_e32 v49, v45, v48
	s_waitcnt vmcnt(2)
	v_mul_f32_e32 v60, v43, v48
	s_waitcnt vmcnt(1)
	;; [unrolled: 2-line block ×3, first 2 shown]
	v_mul_f32_e32 v48, v44, v48
	ds_write2_b32 v29, v49, v60 offset1:67
	ds_write2_b32 v29, v61, v48 offset0:134 offset1:201
	s_waitcnt lgkmcnt(0)
	s_barrier
	buffer_gl0_inv
	ds_read2_b32 v[60:61], v33 offset1:1
	ds_read2_b32 v[62:63], v33 offset0:2 offset1:3
	s_waitcnt lgkmcnt(0)
	s_barrier
	buffer_gl0_inv
	s_clause 0x3
	flat_load_dword v49, v[15:16]
	flat_load_dword v48, v[17:18]
	;; [unrolled: 1-line block ×4, first 2 shown]
	ds_read_b32 v58, v28
	ds_read_b128 v[15:18], v27 offset:192
	v_add_f32_e32 v60, 0, v60
	v_add_f32_e32 v54, v60, v61
	;; [unrolled: 1-line block ×4, first 2 shown]
	s_waitcnt vmcnt(3) lgkmcnt(1)
	v_mul_f32_e32 v59, v49, v58
	s_waitcnt vmcnt(2)
	v_mul_f32_e32 v64, v48, v58
	s_waitcnt vmcnt(1)
	;; [unrolled: 2-line block ×3, first 2 shown]
	v_mul_f32_e32 v58, v46, v58
	ds_write2_b32 v29, v59, v64 offset1:67
	ds_write2_b32 v29, v65, v58 offset0:134 offset1:201
	s_waitcnt lgkmcnt(0)
	s_barrier
	buffer_gl0_inv
	ds_read2_b32 v[58:59], v33 offset1:1
	ds_read2_b32 v[64:65], v33 offset0:2 offset1:3
	s_waitcnt lgkmcnt(0)
	s_barrier
	buffer_gl0_inv
	v_add_f32_e32 v58, 0, v58
	v_add_f32_e32 v55, v58, v59
	;; [unrolled: 1-line block ×4, first 2 shown]
	ds_write2_b32 v30, v50, v51 offset1:16
	ds_write2_b32 v30, v52, v53 offset0:32 offset1:48
	s_waitcnt lgkmcnt(0)
	s_barrier
	buffer_gl0_inv
	s_and_saveexec_b32 s13, s2
	s_cbranch_execz .LBB153_74
; %bb.78:                               ;   in Loop: Header=BB153_75 Depth=1
	ds_read2_b32 v[50:51], v31 offset1:1
	ds_read2_b32 v[52:53], v31 offset0:2 offset1:3
	ds_read2_b32 v[54:55], v31 offset0:4 offset1:5
	;; [unrolled: 1-line block ×3, first 2 shown]
	s_waitcnt lgkmcnt(3)
	v_add_f32_e32 v50, v50, v51
	s_waitcnt lgkmcnt(2)
	v_add_f32_e32 v50, v50, v52
	v_add_f32_e32 v52, v50, v53
	ds_read2_b32 v[50:51], v31 offset0:8 offset1:9
	s_waitcnt lgkmcnt(2)
	v_add_f32_e32 v52, v52, v54
	v_add_f32_e32 v54, v52, v55
	ds_read2_b32 v[52:53], v31 offset0:10 offset1:11
	;; [unrolled: 4-line block ×3, first 2 shown]
	ds_read_b32 v57, v31 offset:56
	s_waitcnt lgkmcnt(3)
	v_add_f32_e32 v50, v56, v50
	v_add_f32_e32 v50, v50, v51
	s_waitcnt lgkmcnt(2)
	v_add_f32_e32 v50, v50, v52
	ds_read_b32 v52, v32
	v_add_f32_e32 v50, v50, v53
	s_waitcnt lgkmcnt(2)
	v_add_f32_e32 v50, v50, v54
	v_add_f32_e32 v50, v50, v55
	s_waitcnt lgkmcnt(1)
	v_add_f32_e32 v53, v50, v57
	v_lshlrev_b64 v[50:51], 2, v[0:1]
	s_waitcnt lgkmcnt(0)
	v_add_f32_e32 v52, v53, v52
	v_add_co_u32 v50, s3, s7, v50
	v_add_co_ci_u32_e64 v51, null, s24, v51, s3
	global_store_dword v[50:51], v52, off
	s_branch .LBB153_74
.LBB153_79:
	v_mad_u32_u24 v0, 0x10c, v2, v23
	s_nor_b32 s0, s0, vcc_lo
	ds_write_b32 v0, v22
	s_waitcnt lgkmcnt(0)
	s_barrier
	buffer_gl0_inv
	s_and_saveexec_b32 s1, s0
	s_cbranch_execz .LBB153_4
; %bb.80:
	ds_read2_b32 v[0:1], v23 offset1:67
	ds_read2_b32 v[2:3], v23 offset0:134 offset1:201
	v_ashrrev_i32_e32 v20, 31, v19
	s_waitcnt lgkmcnt(1)
	v_add_f32_e32 v0, v0, v1
	s_waitcnt lgkmcnt(0)
	v_add_f32_e32 v2, v0, v2
	v_lshlrev_b64 v[0:1], 2, v[19:20]
	v_add_f32_e32 v2, v2, v3
	v_add_co_u32 v0, vcc_lo, s7, v0
	v_add_co_ci_u32_e64 v1, null, s24, v1, vcc_lo
	global_store_dword v[0:1], v2, off
	s_endpgm
	.section	.rodata,"a",@progbits
	.p2align	6, 0x0
	.amdhsa_kernel _ZL26rocblas_hemvn_kernel_lowerILb0ELi64ELi4ELi33ELi32ELi16EifPKPKfPfEviT6_lT7_lT5_lS6_lS7_lS5_lT8_i
		.amdhsa_group_segment_fixed_size 4800
		.amdhsa_private_segment_fixed_size 0
		.amdhsa_kernarg_size 368
		.amdhsa_user_sgpr_count 6
		.amdhsa_user_sgpr_private_segment_buffer 1
		.amdhsa_user_sgpr_dispatch_ptr 0
		.amdhsa_user_sgpr_queue_ptr 0
		.amdhsa_user_sgpr_kernarg_segment_ptr 1
		.amdhsa_user_sgpr_dispatch_id 0
		.amdhsa_user_sgpr_flat_scratch_init 0
		.amdhsa_user_sgpr_private_segment_size 0
		.amdhsa_wavefront_size32 1
		.amdhsa_uses_dynamic_stack 0
		.amdhsa_system_sgpr_private_segment_wavefront_offset 0
		.amdhsa_system_sgpr_workgroup_id_x 1
		.amdhsa_system_sgpr_workgroup_id_y 0
		.amdhsa_system_sgpr_workgroup_id_z 1
		.amdhsa_system_sgpr_workgroup_info 0
		.amdhsa_system_vgpr_workitem_id 1
		.amdhsa_next_free_vgpr 66
		.amdhsa_next_free_sgpr 46
		.amdhsa_reserve_vcc 1
		.amdhsa_reserve_flat_scratch 1
		.amdhsa_float_round_mode_32 0
		.amdhsa_float_round_mode_16_64 0
		.amdhsa_float_denorm_mode_32 3
		.amdhsa_float_denorm_mode_16_64 3
		.amdhsa_dx10_clamp 1
		.amdhsa_ieee_mode 1
		.amdhsa_fp16_overflow 0
		.amdhsa_workgroup_processor_mode 1
		.amdhsa_memory_ordered 1
		.amdhsa_forward_progress 1
		.amdhsa_shared_vgpr_count 0
		.amdhsa_exception_fp_ieee_invalid_op 0
		.amdhsa_exception_fp_denorm_src 0
		.amdhsa_exception_fp_ieee_div_zero 0
		.amdhsa_exception_fp_ieee_overflow 0
		.amdhsa_exception_fp_ieee_underflow 0
		.amdhsa_exception_fp_ieee_inexact 0
		.amdhsa_exception_int_div_zero 0
	.end_amdhsa_kernel
	.section	.text._ZL26rocblas_hemvn_kernel_lowerILb0ELi64ELi4ELi33ELi32ELi16EifPKPKfPfEviT6_lT7_lT5_lS6_lS7_lS5_lT8_i,"axG",@progbits,_ZL26rocblas_hemvn_kernel_lowerILb0ELi64ELi4ELi33ELi32ELi16EifPKPKfPfEviT6_lT7_lT5_lS6_lS7_lS5_lT8_i,comdat
.Lfunc_end153:
	.size	_ZL26rocblas_hemvn_kernel_lowerILb0ELi64ELi4ELi33ELi32ELi16EifPKPKfPfEviT6_lT7_lT5_lS6_lS7_lS5_lT8_i, .Lfunc_end153-_ZL26rocblas_hemvn_kernel_lowerILb0ELi64ELi4ELi33ELi32ELi16EifPKPKfPfEviT6_lT7_lT5_lS6_lS7_lS5_lT8_i
                                        ; -- End function
	.set _ZL26rocblas_hemvn_kernel_lowerILb0ELi64ELi4ELi33ELi32ELi16EifPKPKfPfEviT6_lT7_lT5_lS6_lS7_lS5_lT8_i.num_vgpr, 66
	.set _ZL26rocblas_hemvn_kernel_lowerILb0ELi64ELi4ELi33ELi32ELi16EifPKPKfPfEviT6_lT7_lT5_lS6_lS7_lS5_lT8_i.num_agpr, 0
	.set _ZL26rocblas_hemvn_kernel_lowerILb0ELi64ELi4ELi33ELi32ELi16EifPKPKfPfEviT6_lT7_lT5_lS6_lS7_lS5_lT8_i.numbered_sgpr, 46
	.set _ZL26rocblas_hemvn_kernel_lowerILb0ELi64ELi4ELi33ELi32ELi16EifPKPKfPfEviT6_lT7_lT5_lS6_lS7_lS5_lT8_i.num_named_barrier, 0
	.set _ZL26rocblas_hemvn_kernel_lowerILb0ELi64ELi4ELi33ELi32ELi16EifPKPKfPfEviT6_lT7_lT5_lS6_lS7_lS5_lT8_i.private_seg_size, 0
	.set _ZL26rocblas_hemvn_kernel_lowerILb0ELi64ELi4ELi33ELi32ELi16EifPKPKfPfEviT6_lT7_lT5_lS6_lS7_lS5_lT8_i.uses_vcc, 1
	.set _ZL26rocblas_hemvn_kernel_lowerILb0ELi64ELi4ELi33ELi32ELi16EifPKPKfPfEviT6_lT7_lT5_lS6_lS7_lS5_lT8_i.uses_flat_scratch, 1
	.set _ZL26rocblas_hemvn_kernel_lowerILb0ELi64ELi4ELi33ELi32ELi16EifPKPKfPfEviT6_lT7_lT5_lS6_lS7_lS5_lT8_i.has_dyn_sized_stack, 0
	.set _ZL26rocblas_hemvn_kernel_lowerILb0ELi64ELi4ELi33ELi32ELi16EifPKPKfPfEviT6_lT7_lT5_lS6_lS7_lS5_lT8_i.has_recursion, 0
	.set _ZL26rocblas_hemvn_kernel_lowerILb0ELi64ELi4ELi33ELi32ELi16EifPKPKfPfEviT6_lT7_lT5_lS6_lS7_lS5_lT8_i.has_indirect_call, 0
	.section	.AMDGPU.csdata,"",@progbits
; Kernel info:
; codeLenInByte = 6120
; TotalNumSgprs: 48
; NumVgprs: 66
; ScratchSize: 0
; MemoryBound: 0
; FloatMode: 240
; IeeeMode: 1
; LDSByteSize: 4800 bytes/workgroup (compile time only)
; SGPRBlocks: 0
; VGPRBlocks: 8
; NumSGPRsForWavesPerEU: 48
; NumVGPRsForWavesPerEU: 66
; Occupancy: 12
; WaveLimiterHint : 1
; COMPUTE_PGM_RSRC2:SCRATCH_EN: 0
; COMPUTE_PGM_RSRC2:USER_SGPR: 6
; COMPUTE_PGM_RSRC2:TRAP_HANDLER: 0
; COMPUTE_PGM_RSRC2:TGID_X_EN: 1
; COMPUTE_PGM_RSRC2:TGID_Y_EN: 0
; COMPUTE_PGM_RSRC2:TGID_Z_EN: 1
; COMPUTE_PGM_RSRC2:TIDIG_COMP_CNT: 1
	.section	.text._ZL36rocblas_hemvn_kernel_lower_block_sumILi64EifPKPffEviT1_lS3_lT2_lT0_lPT3_i,"axG",@progbits,_ZL36rocblas_hemvn_kernel_lower_block_sumILi64EifPKPffEviT1_lS3_lT2_lT0_lPT3_i,comdat
	.globl	_ZL36rocblas_hemvn_kernel_lower_block_sumILi64EifPKPffEviT1_lS3_lT2_lT0_lPT3_i ; -- Begin function _ZL36rocblas_hemvn_kernel_lower_block_sumILi64EifPKPffEviT1_lS3_lT2_lT0_lPT3_i
	.p2align	8
	.type	_ZL36rocblas_hemvn_kernel_lower_block_sumILi64EifPKPffEviT1_lS3_lT2_lT0_lPT3_i,@function
_ZL36rocblas_hemvn_kernel_lower_block_sumILi64EifPKPffEviT1_lS3_lT2_lT0_lPT3_i: ; @_ZL36rocblas_hemvn_kernel_lower_block_sumILi64EifPKPffEviT1_lS3_lT2_lT0_lPT3_i
; %bb.0:
	s_clause 0x1
	s_load_dwordx2 s[8:9], s[4:5], 0x0
	s_load_dword s11, s[4:5], 0x10
	s_mov_b32 s3, 0
	s_waitcnt lgkmcnt(0)
	v_cmp_eq_f32_e64 s0, s9, 0
	v_cmp_eq_f32_e64 s1, s11, 1.0
	s_and_b32 s0, s0, s1
	s_and_b32 vcc_lo, exec_lo, s0
	s_cbranch_vccnz .LBB154_19
; %bb.1:
	s_clause 0x1
	s_load_dwordx4 s[16:19], s[4:5], 0x20
	s_load_dword s12, s[4:5], 0x30
	s_mov_b32 s2, s7
	v_lshl_or_b32 v0, s6, 6, v0
	s_lshl_b64 s[0:1], s[2:3], 3
	v_cmp_neq_f32_e64 s13, s9, 0
	s_waitcnt lgkmcnt(0)
	s_add_u32 s0, s16, s0
	s_addc_u32 s1, s17, s1
	s_lshl_b64 s[14:15], s[18:19], 2
	s_load_dwordx2 s[0:1], s[0:1], 0x0
	s_waitcnt lgkmcnt(0)
	s_add_u32 s7, s0, s14
	v_cmp_gt_i32_e64 s0, s8, v0
	s_addc_u32 s10, s1, s15
	s_and_b32 vcc_lo, exec_lo, s13
	s_cbranch_vccnz .LBB154_6
; %bb.2:
	s_mov_b32 s1, 0
                                        ; implicit-def: $vgpr3
                                        ; implicit-def: $vgpr1_vgpr2
	s_and_saveexec_b32 s13, s0
	s_cbranch_execz .LBB154_7
; %bb.3:
	v_mul_lo_u32 v1, s12, v0
	v_cmp_eq_f32_e64 s0, s11, 0
	v_mov_b32_e32 v3, 0
	s_and_b32 vcc_lo, exec_lo, s0
	v_ashrrev_i32_e32 v2, 31, v1
	s_cbranch_vccnz .LBB154_5
; %bb.4:
	v_lshlrev_b64 v[3:4], 2, v[1:2]
	v_add_co_u32 v3, vcc_lo, s7, v3
	v_add_co_ci_u32_e64 v4, null, s10, v4, vcc_lo
	flat_load_dword v3, v[3:4]
	s_waitcnt vmcnt(0) lgkmcnt(0)
	v_mul_f32_e32 v3, s11, v3
.LBB154_5:
	s_mov_b32 s3, exec_lo
	s_or_b32 exec_lo, exec_lo, s13
	s_and_b32 vcc_lo, exec_lo, s1
	s_cbranch_vccnz .LBB154_8
	s_branch .LBB154_17
.LBB154_6:
                                        ; implicit-def: $vgpr3
                                        ; implicit-def: $vgpr1_vgpr2
	s_cbranch_execnz .LBB154_8
	s_branch .LBB154_17
.LBB154_7:
	s_or_b32 exec_lo, exec_lo, s13
	s_and_b32 vcc_lo, exec_lo, s1
	s_cbranch_vccz .LBB154_17
.LBB154_8:
	s_mov_b32 s13, exec_lo
                                        ; implicit-def: $vgpr3
                                        ; implicit-def: $vgpr1_vgpr2
	v_cmpx_gt_i32_e64 s8, v0
	s_cbranch_execz .LBB154_16
; %bb.9:
	s_load_dword s14, s[4:5], 0x50
	v_mov_b32_e32 v4, 0
	s_waitcnt lgkmcnt(0)
	s_cmp_ge_i32 s6, s14
	s_cbranch_scc1 .LBB154_12
; %bb.10:
	s_load_dwordx2 s[0:1], s[4:5], 0x40
	v_mad_u64_u32 v[1:2], null, s8, s6, v[0:1]
	s_ashr_i32 s5, s8, 31
	s_mul_hi_u32 s4, s8, s2
	s_mul_i32 s15, s5, s2
	s_mul_i32 s2, s8, s2
	s_add_i32 s4, s4, s15
	s_mul_hi_u32 s15, s2, s14
	v_ashrrev_i32_e32 v2, 31, v1
	s_mul_i32 s4, s4, s14
	s_mul_i32 s16, s2, s14
	s_add_i32 s17, s15, s4
	v_mov_b32_e32 v4, 0
	v_lshlrev_b64 v[1:2], 2, v[1:2]
	s_lshl_b64 s[16:17], s[16:17], 2
	s_mov_b32 s4, s8
	s_waitcnt lgkmcnt(0)
	s_add_u32 s0, s0, s16
	s_addc_u32 s1, s1, s17
	v_add_co_u32 v1, vcc_lo, s0, v1
	v_add_co_ci_u32_e64 v2, null, s1, v2, vcc_lo
	s_lshl_b64 s[0:1], s[4:5], 2
.LBB154_11:                             ; =>This Inner Loop Header: Depth=1
	global_load_dword v3, v[1:2], off
	v_add_co_u32 v1, vcc_lo, v1, s0
	v_add_co_ci_u32_e64 v2, null, s1, v2, vcc_lo
	s_add_i32 s6, s6, 1
	s_cmp_ge_i32 s6, s14
	s_waitcnt vmcnt(0)
	v_add_f32_e32 v4, v4, v3
	s_cbranch_scc0 .LBB154_11
.LBB154_12:
	v_mul_lo_u32 v1, s12, v0
	v_cmp_eq_f32_e64 s0, s11, 0
	s_and_b32 vcc_lo, exec_lo, s0
	s_mov_b32 s0, 0
	v_ashrrev_i32_e32 v2, 31, v1
	s_cbranch_vccz .LBB154_20
; %bb.13:
	v_mul_f32_e32 v3, s9, v4
	s_andn2_b32 vcc_lo, exec_lo, s0
	s_cbranch_vccnz .LBB154_15
.LBB154_14:
	v_lshlrev_b64 v[5:6], 2, v[1:2]
	v_add_co_u32 v5, vcc_lo, s7, v5
	v_add_co_ci_u32_e64 v6, null, s10, v6, vcc_lo
	flat_load_dword v0, v[5:6]
	s_waitcnt vmcnt(0) lgkmcnt(0)
	v_mul_f32_e32 v3, s11, v0
	v_fmac_f32_e32 v3, s9, v4
.LBB154_15:
	s_or_b32 s3, s3, exec_lo
.LBB154_16:
	s_or_b32 exec_lo, exec_lo, s13
.LBB154_17:
	s_and_saveexec_b32 s0, s3
	s_cbranch_execz .LBB154_19
; %bb.18:
	v_lshlrev_b64 v[0:1], 2, v[1:2]
	v_add_co_u32 v0, vcc_lo, s7, v0
	v_add_co_ci_u32_e64 v1, null, s10, v1, vcc_lo
	flat_store_dword v[0:1], v3
.LBB154_19:
	s_endpgm
.LBB154_20:
                                        ; implicit-def: $vgpr3
	s_branch .LBB154_14
	.section	.rodata,"a",@progbits
	.p2align	6, 0x0
	.amdhsa_kernel _ZL36rocblas_hemvn_kernel_lower_block_sumILi64EifPKPffEviT1_lS3_lT2_lT0_lPT3_i
		.amdhsa_group_segment_fixed_size 0
		.amdhsa_private_segment_fixed_size 0
		.amdhsa_kernarg_size 336
		.amdhsa_user_sgpr_count 6
		.amdhsa_user_sgpr_private_segment_buffer 1
		.amdhsa_user_sgpr_dispatch_ptr 0
		.amdhsa_user_sgpr_queue_ptr 0
		.amdhsa_user_sgpr_kernarg_segment_ptr 1
		.amdhsa_user_sgpr_dispatch_id 0
		.amdhsa_user_sgpr_flat_scratch_init 0
		.amdhsa_user_sgpr_private_segment_size 0
		.amdhsa_wavefront_size32 1
		.amdhsa_uses_dynamic_stack 0
		.amdhsa_system_sgpr_private_segment_wavefront_offset 0
		.amdhsa_system_sgpr_workgroup_id_x 1
		.amdhsa_system_sgpr_workgroup_id_y 0
		.amdhsa_system_sgpr_workgroup_id_z 1
		.amdhsa_system_sgpr_workgroup_info 0
		.amdhsa_system_vgpr_workitem_id 0
		.amdhsa_next_free_vgpr 7
		.amdhsa_next_free_sgpr 20
		.amdhsa_reserve_vcc 1
		.amdhsa_reserve_flat_scratch 0
		.amdhsa_float_round_mode_32 0
		.amdhsa_float_round_mode_16_64 0
		.amdhsa_float_denorm_mode_32 3
		.amdhsa_float_denorm_mode_16_64 3
		.amdhsa_dx10_clamp 1
		.amdhsa_ieee_mode 1
		.amdhsa_fp16_overflow 0
		.amdhsa_workgroup_processor_mode 1
		.amdhsa_memory_ordered 1
		.amdhsa_forward_progress 1
		.amdhsa_shared_vgpr_count 0
		.amdhsa_exception_fp_ieee_invalid_op 0
		.amdhsa_exception_fp_denorm_src 0
		.amdhsa_exception_fp_ieee_div_zero 0
		.amdhsa_exception_fp_ieee_overflow 0
		.amdhsa_exception_fp_ieee_underflow 0
		.amdhsa_exception_fp_ieee_inexact 0
		.amdhsa_exception_int_div_zero 0
	.end_amdhsa_kernel
	.section	.text._ZL36rocblas_hemvn_kernel_lower_block_sumILi64EifPKPffEviT1_lS3_lT2_lT0_lPT3_i,"axG",@progbits,_ZL36rocblas_hemvn_kernel_lower_block_sumILi64EifPKPffEviT1_lS3_lT2_lT0_lPT3_i,comdat
.Lfunc_end154:
	.size	_ZL36rocblas_hemvn_kernel_lower_block_sumILi64EifPKPffEviT1_lS3_lT2_lT0_lPT3_i, .Lfunc_end154-_ZL36rocblas_hemvn_kernel_lower_block_sumILi64EifPKPffEviT1_lS3_lT2_lT0_lPT3_i
                                        ; -- End function
	.set _ZL36rocblas_hemvn_kernel_lower_block_sumILi64EifPKPffEviT1_lS3_lT2_lT0_lPT3_i.num_vgpr, 7
	.set _ZL36rocblas_hemvn_kernel_lower_block_sumILi64EifPKPffEviT1_lS3_lT2_lT0_lPT3_i.num_agpr, 0
	.set _ZL36rocblas_hemvn_kernel_lower_block_sumILi64EifPKPffEviT1_lS3_lT2_lT0_lPT3_i.numbered_sgpr, 20
	.set _ZL36rocblas_hemvn_kernel_lower_block_sumILi64EifPKPffEviT1_lS3_lT2_lT0_lPT3_i.num_named_barrier, 0
	.set _ZL36rocblas_hemvn_kernel_lower_block_sumILi64EifPKPffEviT1_lS3_lT2_lT0_lPT3_i.private_seg_size, 0
	.set _ZL36rocblas_hemvn_kernel_lower_block_sumILi64EifPKPffEviT1_lS3_lT2_lT0_lPT3_i.uses_vcc, 1
	.set _ZL36rocblas_hemvn_kernel_lower_block_sumILi64EifPKPffEviT1_lS3_lT2_lT0_lPT3_i.uses_flat_scratch, 0
	.set _ZL36rocblas_hemvn_kernel_lower_block_sumILi64EifPKPffEviT1_lS3_lT2_lT0_lPT3_i.has_dyn_sized_stack, 0
	.set _ZL36rocblas_hemvn_kernel_lower_block_sumILi64EifPKPffEviT1_lS3_lT2_lT0_lPT3_i.has_recursion, 0
	.set _ZL36rocblas_hemvn_kernel_lower_block_sumILi64EifPKPffEviT1_lS3_lT2_lT0_lPT3_i.has_indirect_call, 0
	.section	.AMDGPU.csdata,"",@progbits
; Kernel info:
; codeLenInByte = 612
; TotalNumSgprs: 22
; NumVgprs: 7
; ScratchSize: 0
; MemoryBound: 0
; FloatMode: 240
; IeeeMode: 1
; LDSByteSize: 0 bytes/workgroup (compile time only)
; SGPRBlocks: 0
; VGPRBlocks: 0
; NumSGPRsForWavesPerEU: 22
; NumVGPRsForWavesPerEU: 7
; Occupancy: 16
; WaveLimiterHint : 1
; COMPUTE_PGM_RSRC2:SCRATCH_EN: 0
; COMPUTE_PGM_RSRC2:USER_SGPR: 6
; COMPUTE_PGM_RSRC2:TRAP_HANDLER: 0
; COMPUTE_PGM_RSRC2:TGID_X_EN: 1
; COMPUTE_PGM_RSRC2:TGID_Y_EN: 0
; COMPUTE_PGM_RSRC2:TGID_Z_EN: 1
; COMPUTE_PGM_RSRC2:TIDIG_COMP_CNT: 0
	.section	.text._ZL50rocblas_symv_kernel_upper_double_buffered_diagonalILi32ELi4E24rocblas_internal_val_ptrIdEPKPKdPKPdEvbiT1_lT2_lllSA_lllS9_lT3_llli,"axG",@progbits,_ZL50rocblas_symv_kernel_upper_double_buffered_diagonalILi32ELi4E24rocblas_internal_val_ptrIdEPKPKdPKPdEvbiT1_lT2_lllSA_lllS9_lT3_llli,comdat
	.globl	_ZL50rocblas_symv_kernel_upper_double_buffered_diagonalILi32ELi4E24rocblas_internal_val_ptrIdEPKPKdPKPdEvbiT1_lT2_lllSA_lllS9_lT3_llli ; -- Begin function _ZL50rocblas_symv_kernel_upper_double_buffered_diagonalILi32ELi4E24rocblas_internal_val_ptrIdEPKPKdPKPdEvbiT1_lT2_lllSA_lllS9_lT3_llli
	.p2align	8
	.type	_ZL50rocblas_symv_kernel_upper_double_buffered_diagonalILi32ELi4E24rocblas_internal_val_ptrIdEPKPKdPKPdEvbiT1_lT2_lllSA_lllS9_lT3_llli,@function
_ZL50rocblas_symv_kernel_upper_double_buffered_diagonalILi32ELi4E24rocblas_internal_val_ptrIdEPKPKdPKPdEvbiT1_lT2_lllSA_lllS9_lT3_llli: ; @_ZL50rocblas_symv_kernel_upper_double_buffered_diagonalILi32ELi4E24rocblas_internal_val_ptrIdEPKPKdPKPdEvbiT1_lT2_lllSA_lllS9_lT3_llli
; %bb.0:
	s_mov_b32 s18, s7
	s_clause 0x3
	s_load_dword s7, s[4:5], 0x0
	s_load_dwordx8 s[8:15], s[4:5], 0x8
	s_load_dwordx2 s[16:17], s[4:5], 0x28
	s_load_dwordx4 s[0:3], s[4:5], 0x58
	s_waitcnt lgkmcnt(0)
	s_bitcmp1_b32 s7, 0
	v_mov_b32_e32 v2, s8
	v_mov_b32_e32 v3, s9
	s_cselect_b32 s7, -1, 0
	s_and_b32 vcc_lo, exec_lo, s7
	s_xor_b32 s7, s7, -1
	s_cbranch_vccnz .LBB155_2
; %bb.1:
	s_mul_i32 s11, s11, s18
	s_mul_hi_u32 s19, s10, s18
	s_mul_i32 s10, s10, s18
	s_add_i32 s11, s19, s11
	s_lshl_b64 s[10:11], s[10:11], 3
	s_add_u32 s8, s8, s10
	s_addc_u32 s9, s9, s11
	v_mov_b32_e32 v2, s8
	v_mov_b32_e32 v3, s9
	flat_load_dwordx2 v[2:3], v[2:3]
.LBB155_2:
	v_mov_b32_e32 v5, s1
	v_mov_b32_e32 v4, s0
	s_andn2_b32 vcc_lo, exec_lo, s7
	s_cbranch_vccnz .LBB155_4
; %bb.3:
	s_mul_i32 s3, s3, s18
	s_mul_hi_u32 s7, s2, s18
	s_mul_i32 s2, s2, s18
	s_add_i32 s3, s7, s3
	s_lshl_b64 s[2:3], s[2:3], 3
	s_add_u32 s0, s0, s2
	s_addc_u32 s1, s1, s3
	v_mov_b32_e32 v5, s1
	v_mov_b32_e32 v4, s0
	flat_load_dwordx2 v[4:5], v[4:5]
.LBB155_4:
	s_waitcnt vmcnt(0) lgkmcnt(0)
	v_cmp_neq_f64_e32 vcc_lo, 0, v[2:3]
	v_cmp_neq_f64_e64 s0, 1.0, v[4:5]
	s_or_b32 s0, vcc_lo, s0
	s_and_saveexec_b32 s1, s0
	s_cbranch_execz .LBB155_42
; %bb.5:
	v_cmp_neq_f64_e64 s0, 0, v[2:3]
	v_cmp_eq_f64_e32 vcc_lo, 0, v[2:3]
	s_mov_b32 s19, 0
	v_mov_b32_e32 v6, s18
	v_mov_b32_e32 v7, s19
	s_and_saveexec_b32 s1, vcc_lo
	s_xor_b32 s1, exec_lo, s1
; %bb.6:
	v_mov_b32_e32 v6, s18
	v_mov_b32_e32 v7, s19
; %bb.7:
	s_or_saveexec_b32 s1, s1
	s_load_dwordx2 s[2:3], s[4:5], 0x68
	v_mov_b32_e32 v10, 0
	v_mov_b32_e32 v8, 0
	;; [unrolled: 1-line block ×4, first 2 shown]
	s_xor_b32 exec_lo, exec_lo, s1
	s_cbranch_execz .LBB155_9
; %bb.8:
	s_lshl_b64 s[8:9], s[18:19], 3
	s_add_u32 s8, s12, s8
	s_addc_u32 s9, s13, s9
	s_lshl_b64 s[10:11], s[14:15], 3
	s_load_dwordx2 s[8:9], s[8:9], 0x0
	s_waitcnt lgkmcnt(0)
	s_add_u32 s8, s8, s10
	s_addc_u32 s9, s9, s11
	v_mov_b32_e32 v8, s8
	v_mov_b32_e32 v9, s9
.LBB155_9:
	s_or_b32 exec_lo, exec_lo, s1
	s_clause 0x1
	s_load_dwordx4 s[8:11], s[4:5], 0x38
	s_load_dwordx2 s[12:13], s[4:5], 0x48
	v_lshlrev_b64 v[6:7], 3, v[6:7]
	s_and_saveexec_b32 s1, s0
	s_cbranch_execz .LBB155_11
; %bb.10:
	s_waitcnt lgkmcnt(0)
	v_add_co_u32 v10, s0, s8, v6
	v_add_co_ci_u32_e64 v11, null, s9, v7, s0
	s_lshl_b64 s[8:9], s[10:11], 3
	global_load_dwordx2 v[10:11], v[10:11], off
	s_waitcnt vmcnt(0)
	v_add_co_u32 v10, s0, v10, s8
	v_add_co_ci_u32_e64 v11, null, s9, v11, s0
.LBB155_11:
	s_or_b32 exec_lo, exec_lo, s1
	s_waitcnt lgkmcnt(0)
	v_add_co_u32 v6, s0, s2, v6
	v_add_co_ci_u32_e64 v7, null, s3, v7, s0
	s_load_dwordx4 s[0:3], s[4:5], 0x70
	s_lshl_b32 s4, s6, 5
	s_ashr_i32 s5, s4, 31
	global_load_dwordx2 v[6:7], v[6:7], off
	s_waitcnt lgkmcnt(0)
	s_mul_i32 s6, s2, s5
	s_mul_hi_u32 s7, s2, s4
	s_lshl_b64 s[0:1], s[0:1], 3
	s_mul_i32 s8, s3, s4
	s_add_i32 s7, s7, s6
	s_mul_i32 s6, s2, s4
	s_add_i32 s7, s7, s8
	s_waitcnt vmcnt(0)
	v_add_co_u32 v6, s0, v6, s0
	v_add_co_ci_u32_e64 v7, null, s1, v7, s0
	s_lshl_b64 s[0:1], s[6:7], 3
	v_add_co_u32 v16, s0, v6, s0
	v_add_co_ci_u32_e64 v17, null, s1, v7, s0
	s_and_saveexec_b32 s0, vcc_lo
	s_xor_b32 s0, exec_lo, s0
	s_cbranch_execz .LBB155_15
; %bb.12:
	s_mov_b32 s1, exec_lo
	v_cmpx_eq_u32_e32 0, v1
	s_cbranch_execz .LBB155_14
; %bb.13:
	v_mad_u64_u32 v[1:2], null, s2, v0, 0
	v_mad_u64_u32 v[2:3], null, s3, v0, v[2:3]
	v_lshlrev_b64 v[0:1], 3, v[1:2]
	v_add_co_u32 v0, vcc_lo, v16, v0
	v_add_co_ci_u32_e64 v1, null, v17, v1, vcc_lo
	flat_load_dwordx2 v[2:3], v[0:1]
	s_waitcnt vmcnt(0) lgkmcnt(0)
	v_mul_f64 v[2:3], v[4:5], v[2:3]
	flat_store_dwordx2 v[0:1], v[2:3]
.LBB155_14:
	s_or_b32 exec_lo, exec_lo, s1
                                        ; implicit-def: $vgpr1
                                        ; implicit-def: $vgpr0
                                        ; implicit-def: $vgpr2_vgpr3
                                        ; implicit-def: $vgpr4_vgpr5
                                        ; implicit-def: $vgpr16
                                        ; implicit-def: $vgpr17
                                        ; implicit-def: $vgpr8_vgpr9
                                        ; implicit-def: $vgpr10_vgpr11
.LBB155_15:
	s_andn2_saveexec_b32 s0, s0
	s_cbranch_execz .LBB155_42
; %bb.16:
	v_mov_b32_e32 v6, 0
	v_mov_b32_e32 v7, 0
	v_cmp_eq_u32_e32 vcc_lo, 0, v1
	s_and_saveexec_b32 s1, vcc_lo
	s_cbranch_execz .LBB155_20
; %bb.17:
	v_mov_b32_e32 v6, 0
	v_mov_b32_e32 v7, 0
	s_mov_b32 s6, exec_lo
	v_cmpx_neq_f64_e32 0, v[4:5]
	s_cbranch_execz .LBB155_19
; %bb.18:
	v_mad_u64_u32 v[6:7], null, s2, v0, 0
	v_mad_u64_u32 v[12:13], null, s3, v0, v[7:8]
	v_mov_b32_e32 v7, v12
	v_lshlrev_b64 v[6:7], 3, v[6:7]
	v_add_co_u32 v6, s0, v16, v6
	v_add_co_ci_u32_e64 v7, null, v17, v7, s0
	flat_load_dwordx2 v[6:7], v[6:7]
	s_waitcnt vmcnt(0) lgkmcnt(0)
	v_mul_f64 v[6:7], v[4:5], v[6:7]
.LBB155_19:
	s_or_b32 exec_lo, exec_lo, s6
	v_mad_u64_u32 v[12:13], null, s12, v0, 0
	s_mul_i32 s0, s12, s5
	s_mul_hi_u32 s6, s12, s4
	s_mul_i32 s7, s13, s4
	s_add_i32 s0, s6, s0
	s_mul_i32 s6, s12, s4
	s_add_i32 s7, s0, s7
	v_mad_u64_u32 v[13:14], null, s13, v0, v[13:14]
	s_lshl_b64 s[6:7], s[6:7], 3
	v_add_co_u32 v10, s0, v10, s6
	v_add_co_ci_u32_e64 v11, null, s7, v11, s0
	v_lshlrev_b64 v[12:13], 3, v[12:13]
	v_add_co_u32 v10, s0, v10, v12
	v_add_co_ci_u32_e64 v11, null, v11, v13, s0
	v_lshlrev_b32_e32 v12, 3, v0
	flat_load_dwordx2 v[10:11], v[10:11]
	s_waitcnt vmcnt(0) lgkmcnt(0)
	ds_write_b64 v12, v[10:11] offset:10240
.LBB155_20:
	s_or_b32 exec_lo, exec_lo, s1
	v_mad_u64_u32 v[10:11], null, s16, v1, 0
	s_add_u32 s0, s16, 1
	s_addc_u32 s1, s17, 0
	s_mul_i32 s5, s0, s5
	s_mul_hi_u32 s6, s0, s4
	s_mul_i32 s1, s1, s4
	s_add_i32 s5, s6, s5
	v_mad_u64_u32 v[11:12], null, s17, v1, v[11:12]
	s_mul_i32 s0, s0, s4
	s_add_i32 s1, s5, s1
	v_lshlrev_b32_e32 v18, 3, v0
	s_lshl_b64 s[0:1], s[0:1], 3
	s_mul_hi_u32 s10, s16, 12
	v_add_co_u32 v8, s0, v8, s0
	v_lshlrev_b64 v[10:11], 3, v[10:11]
	v_add_co_ci_u32_e64 v9, null, s1, v9, s0
	s_mul_i32 s1, s17, 12
	s_mul_i32 s4, s16, 12
                                        ; implicit-def: $sgpr6_sgpr7
                                        ; implicit-def: $sgpr8_sgpr9
	v_add_co_u32 v8, s0, v8, v10
	v_add_co_ci_u32_e64 v9, null, v9, v11, s0
	v_add_co_u32 v8, s0, v8, v18
	v_add_co_ci_u32_e64 v9, null, 0, v9, s0
	v_cmp_lt_u32_e64 s0, 15, v0
	s_and_saveexec_b32 s5, s0
	s_xor_b32 s0, exec_lo, s5
; %bb.21:
	s_lshl_b64 s[6:7], s[16:17], 2
	s_lshl_b64 s[8:9], s[16:17], 3
	s_add_i32 s5, s10, s1
; %bb.22:
	s_or_saveexec_b32 s11, s0
	v_mov_b32_e32 v11, s5
	v_mov_b32_e32 v13, s9
	;; [unrolled: 1-line block ×6, first 2 shown]
	v_lshlrev_b32_e32 v19, 8, v1
	s_xor_b32 exec_lo, exec_lo, s11
	s_cbranch_execz .LBB155_24
; %bb.23:
	s_lshl_b64 s[6:7], s[16:17], 5
	s_add_i32 s5, s10, s1
	v_add_co_u32 v10, s0, v8, s6
	v_add_co_ci_u32_e64 v11, null, s7, v9, s0
	v_lshl_add_u32 v28, v0, 3, v19
	v_add_co_u32 v12, s0, v10, s6
	v_add_co_ci_u32_e64 v13, null, s7, v11, s0
	v_add_co_u32 v14, s0, v12, s6
	v_add_co_ci_u32_e64 v15, null, s7, v13, s0
	s_clause 0x3
	flat_load_dwordx2 v[20:21], v[8:9]
	flat_load_dwordx2 v[22:23], v[10:11]
	;; [unrolled: 1-line block ×4, first 2 shown]
	s_lshl_b64 s[6:7], s[16:17], 2
	s_lshl_b64 s[0:1], s[16:17], 3
	v_mov_b32_e32 v11, s5
	v_mov_b32_e32 v13, s1
	;; [unrolled: 1-line block ×6, first 2 shown]
	s_waitcnt vmcnt(2) lgkmcnt(2)
	ds_write2st64_b64 v28, v[20:21], v[22:23] offset1:2
	s_waitcnt vmcnt(0) lgkmcnt(1)
	ds_write2st64_b64 v28, v[24:25], v[26:27] offset0:4 offset1:6
.LBB155_24:
	s_or_b32 exec_lo, exec_lo, s11
	s_lshl_b64 s[0:1], s[16:17], 7
	v_lshlrev_b64 v[14:15], 3, v[14:15]
	v_add_co_u32 v8, s0, v8, s0
	v_lshlrev_b64 v[12:13], 3, v[12:13]
	v_add_co_ci_u32_e64 v9, null, s1, v9, s0
	v_lshlrev_b64 v[10:11], 3, v[10:11]
	v_add_co_u32 v14, s0, v8, v14
	v_add_co_ci_u32_e64 v15, null, v9, v15, s0
	v_add_co_u32 v12, s0, v8, v12
	v_add_co_ci_u32_e64 v13, null, v9, v13, s0
	;; [unrolled: 2-line block ×3, first 2 shown]
	s_clause 0x3
	flat_load_dwordx2 v[20:21], v[8:9]
	flat_load_dwordx2 v[14:15], v[14:15]
	;; [unrolled: 1-line block ×4, first 2 shown]
	v_sub_nc_u32_e32 v8, v0, v1
	v_add_nc_u32_e32 v9, 0x1000, v19
	v_add_nc_u32_e32 v11, 0x1400, v19
	;; [unrolled: 1-line block ×4, first 2 shown]
	v_sub_nc_u32_e32 v12, 0, v8
	v_mad_u32_u24 v27, 0xf8, v0, v18
	v_add_nc_u32_e32 v10, v18, v9
	v_add_nc_u32_e32 v11, v18, v11
	;; [unrolled: 1-line block ×3, first 2 shown]
	v_max_i32_e32 v13, v8, v12
	v_add_nc_u32_e32 v8, v18, v19
	v_lshl_add_u32 v12, v1, 3, v27
	s_mov_b32 s1, exec_lo
	s_waitcnt vmcnt(3) lgkmcnt(3)
	ds_write_b64 v10, v[20:21]
	s_waitcnt vmcnt(2) lgkmcnt(3)
	ds_write_b64 v11, v[14:15]
	;; [unrolled: 2-line block ×4, first 2 shown]
	s_waitcnt lgkmcnt(0)
	s_waitcnt_vscnt null, 0x0
	s_barrier
	buffer_gl0_inv
	v_cmpx_lt_u32_e32 16, v13
	s_cbranch_execz .LBB155_26
; %bb.25:
	ds_read_b64 v[14:15], v12 offset:128
	s_waitcnt lgkmcnt(0)
	ds_write_b64 v10, v[14:15]
.LBB155_26:
	s_or_b32 exec_lo, exec_lo, s1
	s_mov_b32 s1, exec_lo
	v_cmpx_lt_u32_e32 20, v13
	s_cbranch_execz .LBB155_28
; %bb.27:
	ds_read_b64 v[14:15], v12 offset:160
	s_waitcnt lgkmcnt(0)
	ds_write_b64 v11, v[14:15]
.LBB155_28:
	s_or_b32 exec_lo, exec_lo, s1
	s_mov_b32 s1, exec_lo
	;; [unrolled: 9-line block ×3, first 2 shown]
	v_cmpx_lt_u32_e32 28, v13
	s_cbranch_execz .LBB155_32
; %bb.31:
	ds_read_b64 v[14:15], v12 offset:224
	s_waitcnt lgkmcnt(0)
	ds_write_b64 v8, v[14:15]
.LBB155_32:
	s_or_b32 exec_lo, exec_lo, s1
	v_lshlrev_b32_e32 v14, 5, v1
	s_mov_b32 s1, exec_lo
	v_cmpx_ge_u32_e64 v0, v1
	s_cbranch_execz .LBB155_34
; %bb.33:
	ds_read_b64 v[19:20], v12
	v_lshl_add_u32 v15, v14, 3, v18
	s_waitcnt lgkmcnt(0)
	ds_write_b64 v15, v[19:20]
.LBB155_34:
	s_or_b32 exec_lo, exec_lo, s1
	v_lshl_add_u32 v15, v1, 8, v18
	s_mov_b32 s1, exec_lo
	v_cmpx_lt_u32_e32 4, v13
	s_cbranch_execz .LBB155_36
; %bb.35:
	ds_read_b64 v[19:20], v12 offset:32
	s_waitcnt lgkmcnt(0)
	ds_write_b64 v15, v[19:20] offset:1024
.LBB155_36:
	s_or_b32 exec_lo, exec_lo, s1
	s_mov_b32 s1, exec_lo
	v_cmpx_lt_u32_e32 8, v13
	s_cbranch_execz .LBB155_38
; %bb.37:
	ds_read_b64 v[19:20], v12 offset:64
	s_waitcnt lgkmcnt(0)
	ds_write_b64 v15, v[19:20] offset:2048
.LBB155_38:
	s_or_b32 exec_lo, exec_lo, s1
	v_lshl_add_u32 v19, v1, 8, 0xc00
	v_cmp_lt_u32_e64 s0, 12, v13
	v_add_nc_u32_e32 v13, v18, v19
	s_and_saveexec_b32 s1, s0
	s_cbranch_execz .LBB155_40
; %bb.39:
	ds_read_b64 v[19:20], v12 offset:96
	s_waitcnt lgkmcnt(0)
	ds_write_b64 v13, v[19:20]
.LBB155_40:
	s_or_b32 exec_lo, exec_lo, s1
	v_lshlrev_b32_e32 v1, 3, v1
	s_waitcnt lgkmcnt(0)
	s_barrier
	buffer_gl0_inv
	v_add_nc_u32_e32 v1, 0x2800, v1
	ds_read2st64_b64 v[19:22], v15 offset1:2
	ds_read2_b64 v[23:26], v1 offset1:4
	s_waitcnt lgkmcnt(0)
	v_fma_f64 v[19:20], v[19:20], v[23:24], 0
	v_fma_f64 v[23:24], v[21:22], v[25:26], v[19:20]
	ds_read2_b64 v[19:22], v1 offset0:8 offset1:12
	ds_read_b64 v[25:26], v15 offset:2048
	ds_read_b64 v[12:13], v13
	s_waitcnt lgkmcnt(1)
	v_fma_f64 v[19:20], v[25:26], v[19:20], v[23:24]
	s_waitcnt lgkmcnt(0)
	v_fma_f64 v[12:13], v[12:13], v[21:22], v[19:20]
	ds_read2_b64 v[19:22], v1 offset0:16 offset1:20
	ds_read_b64 v[23:24], v10
	ds_read_b64 v[10:11], v11
	;; [unrolled: 1-line block ×4, first 2 shown]
	s_waitcnt lgkmcnt(3)
	v_fma_f64 v[8:9], v[23:24], v[19:20], v[12:13]
	s_waitcnt lgkmcnt(2)
	v_fma_f64 v[12:13], v[10:11], v[21:22], v[8:9]
	ds_read2_b64 v[8:11], v1 offset0:24 offset1:28
	v_add_lshl_u32 v1, v14, v0, 3
	s_waitcnt lgkmcnt(0)
	v_fma_f64 v[8:9], v[25:26], v[8:9], v[12:13]
	v_fma_f64 v[8:9], v[27:28], v[10:11], v[8:9]
	ds_write_b64 v1, v[8:9] offset:8192
	s_waitcnt lgkmcnt(0)
	s_barrier
	buffer_gl0_inv
	s_and_saveexec_b32 s0, vcc_lo
	s_cbranch_execz .LBB155_42
; %bb.41:
	v_add_nc_u32_e32 v1, 0x2000, v18
	v_cmp_neq_f64_e32 vcc_lo, 0, v[4:5]
	ds_read2_b64 v[8:11], v1 offset1:32
	s_waitcnt lgkmcnt(0)
	v_add_f64 v[8:9], v[8:9], 0
	v_add_f64 v[12:13], v[8:9], v[10:11]
	ds_read2_b64 v[8:11], v1 offset0:64 offset1:96
	s_waitcnt lgkmcnt(0)
	v_add_f64 v[8:9], v[12:13], v[8:9]
	v_add_f64 v[8:9], v[8:9], v[10:11]
	v_mad_u64_u32 v[10:11], null, s2, v0, 0
	v_mov_b32_e32 v1, v11
	v_mul_f64 v[12:13], v[2:3], v[8:9]
	v_fma_f64 v[2:3], v[2:3], v[8:9], v[6:7]
	v_mad_u64_u32 v[0:1], null, s3, v0, v[1:2]
	v_cndmask_b32_e32 v3, v13, v3, vcc_lo
	v_cndmask_b32_e32 v2, v12, v2, vcc_lo
	v_mov_b32_e32 v11, v0
	v_lshlrev_b64 v[0:1], 3, v[10:11]
	v_add_co_u32 v0, vcc_lo, v16, v0
	v_add_co_ci_u32_e64 v1, null, v17, v1, vcc_lo
	flat_store_dwordx2 v[0:1], v[2:3]
.LBB155_42:
	s_endpgm
	.section	.rodata,"a",@progbits
	.p2align	6, 0x0
	.amdhsa_kernel _ZL50rocblas_symv_kernel_upper_double_buffered_diagonalILi32ELi4E24rocblas_internal_val_ptrIdEPKPKdPKPdEvbiT1_lT2_lllSA_lllS9_lT3_llli
		.amdhsa_group_segment_fixed_size 10496
		.amdhsa_private_segment_fixed_size 0
		.amdhsa_kernarg_size 140
		.amdhsa_user_sgpr_count 6
		.amdhsa_user_sgpr_private_segment_buffer 1
		.amdhsa_user_sgpr_dispatch_ptr 0
		.amdhsa_user_sgpr_queue_ptr 0
		.amdhsa_user_sgpr_kernarg_segment_ptr 1
		.amdhsa_user_sgpr_dispatch_id 0
		.amdhsa_user_sgpr_flat_scratch_init 0
		.amdhsa_user_sgpr_private_segment_size 0
		.amdhsa_wavefront_size32 1
		.amdhsa_uses_dynamic_stack 0
		.amdhsa_system_sgpr_private_segment_wavefront_offset 0
		.amdhsa_system_sgpr_workgroup_id_x 1
		.amdhsa_system_sgpr_workgroup_id_y 0
		.amdhsa_system_sgpr_workgroup_id_z 1
		.amdhsa_system_sgpr_workgroup_info 0
		.amdhsa_system_vgpr_workitem_id 1
		.amdhsa_next_free_vgpr 65
		.amdhsa_next_free_sgpr 20
		.amdhsa_reserve_vcc 1
		.amdhsa_reserve_flat_scratch 1
		.amdhsa_float_round_mode_32 0
		.amdhsa_float_round_mode_16_64 0
		.amdhsa_float_denorm_mode_32 3
		.amdhsa_float_denorm_mode_16_64 3
		.amdhsa_dx10_clamp 1
		.amdhsa_ieee_mode 1
		.amdhsa_fp16_overflow 0
		.amdhsa_workgroup_processor_mode 1
		.amdhsa_memory_ordered 1
		.amdhsa_forward_progress 1
		.amdhsa_shared_vgpr_count 0
		.amdhsa_exception_fp_ieee_invalid_op 0
		.amdhsa_exception_fp_denorm_src 0
		.amdhsa_exception_fp_ieee_div_zero 0
		.amdhsa_exception_fp_ieee_overflow 0
		.amdhsa_exception_fp_ieee_underflow 0
		.amdhsa_exception_fp_ieee_inexact 0
		.amdhsa_exception_int_div_zero 0
	.end_amdhsa_kernel
	.section	.text._ZL50rocblas_symv_kernel_upper_double_buffered_diagonalILi32ELi4E24rocblas_internal_val_ptrIdEPKPKdPKPdEvbiT1_lT2_lllSA_lllS9_lT3_llli,"axG",@progbits,_ZL50rocblas_symv_kernel_upper_double_buffered_diagonalILi32ELi4E24rocblas_internal_val_ptrIdEPKPKdPKPdEvbiT1_lT2_lllSA_lllS9_lT3_llli,comdat
.Lfunc_end155:
	.size	_ZL50rocblas_symv_kernel_upper_double_buffered_diagonalILi32ELi4E24rocblas_internal_val_ptrIdEPKPKdPKPdEvbiT1_lT2_lllSA_lllS9_lT3_llli, .Lfunc_end155-_ZL50rocblas_symv_kernel_upper_double_buffered_diagonalILi32ELi4E24rocblas_internal_val_ptrIdEPKPKdPKPdEvbiT1_lT2_lllSA_lllS9_lT3_llli
                                        ; -- End function
	.set _ZL50rocblas_symv_kernel_upper_double_buffered_diagonalILi32ELi4E24rocblas_internal_val_ptrIdEPKPKdPKPdEvbiT1_lT2_lllSA_lllS9_lT3_llli.num_vgpr, 29
	.set _ZL50rocblas_symv_kernel_upper_double_buffered_diagonalILi32ELi4E24rocblas_internal_val_ptrIdEPKPKdPKPdEvbiT1_lT2_lllSA_lllS9_lT3_llli.num_agpr, 0
	.set _ZL50rocblas_symv_kernel_upper_double_buffered_diagonalILi32ELi4E24rocblas_internal_val_ptrIdEPKPKdPKPdEvbiT1_lT2_lllSA_lllS9_lT3_llli.numbered_sgpr, 20
	.set _ZL50rocblas_symv_kernel_upper_double_buffered_diagonalILi32ELi4E24rocblas_internal_val_ptrIdEPKPKdPKPdEvbiT1_lT2_lllSA_lllS9_lT3_llli.num_named_barrier, 0
	.set _ZL50rocblas_symv_kernel_upper_double_buffered_diagonalILi32ELi4E24rocblas_internal_val_ptrIdEPKPKdPKPdEvbiT1_lT2_lllSA_lllS9_lT3_llli.private_seg_size, 0
	.set _ZL50rocblas_symv_kernel_upper_double_buffered_diagonalILi32ELi4E24rocblas_internal_val_ptrIdEPKPKdPKPdEvbiT1_lT2_lllSA_lllS9_lT3_llli.uses_vcc, 1
	.set _ZL50rocblas_symv_kernel_upper_double_buffered_diagonalILi32ELi4E24rocblas_internal_val_ptrIdEPKPKdPKPdEvbiT1_lT2_lllSA_lllS9_lT3_llli.uses_flat_scratch, 1
	.set _ZL50rocblas_symv_kernel_upper_double_buffered_diagonalILi32ELi4E24rocblas_internal_val_ptrIdEPKPKdPKPdEvbiT1_lT2_lllSA_lllS9_lT3_llli.has_dyn_sized_stack, 0
	.set _ZL50rocblas_symv_kernel_upper_double_buffered_diagonalILi32ELi4E24rocblas_internal_val_ptrIdEPKPKdPKPdEvbiT1_lT2_lllSA_lllS9_lT3_llli.has_recursion, 0
	.set _ZL50rocblas_symv_kernel_upper_double_buffered_diagonalILi32ELi4E24rocblas_internal_val_ptrIdEPKPKdPKPdEvbiT1_lT2_lllSA_lllS9_lT3_llli.has_indirect_call, 0
	.section	.AMDGPU.csdata,"",@progbits
; Kernel info:
; codeLenInByte = 2216
; TotalNumSgprs: 22
; NumVgprs: 29
; ScratchSize: 0
; MemoryBound: 0
; FloatMode: 240
; IeeeMode: 1
; LDSByteSize: 10496 bytes/workgroup (compile time only)
; SGPRBlocks: 0
; VGPRBlocks: 8
; NumSGPRsForWavesPerEU: 22
; NumVGPRsForWavesPerEU: 65
; Occupancy: 12
; WaveLimiterHint : 1
; COMPUTE_PGM_RSRC2:SCRATCH_EN: 0
; COMPUTE_PGM_RSRC2:USER_SGPR: 6
; COMPUTE_PGM_RSRC2:TRAP_HANDLER: 0
; COMPUTE_PGM_RSRC2:TGID_X_EN: 1
; COMPUTE_PGM_RSRC2:TGID_Y_EN: 0
; COMPUTE_PGM_RSRC2:TGID_Z_EN: 1
; COMPUTE_PGM_RSRC2:TIDIG_COMP_CNT: 1
	.section	.text._ZL54rocblas_symv_kernel_upper_double_buffered_non_diagonalILi32ELi4ELi4E24rocblas_internal_val_ptrIdEPKPKdPKPdEvbiT2_lT3_lllSA_lllT4_llli,"axG",@progbits,_ZL54rocblas_symv_kernel_upper_double_buffered_non_diagonalILi32ELi4ELi4E24rocblas_internal_val_ptrIdEPKPKdPKPdEvbiT2_lT3_lllSA_lllT4_llli,comdat
	.globl	_ZL54rocblas_symv_kernel_upper_double_buffered_non_diagonalILi32ELi4ELi4E24rocblas_internal_val_ptrIdEPKPKdPKPdEvbiT2_lT3_lllSA_lllT4_llli ; -- Begin function _ZL54rocblas_symv_kernel_upper_double_buffered_non_diagonalILi32ELi4ELi4E24rocblas_internal_val_ptrIdEPKPKdPKPdEvbiT2_lT3_lllSA_lllT4_llli
	.p2align	8
	.type	_ZL54rocblas_symv_kernel_upper_double_buffered_non_diagonalILi32ELi4ELi4E24rocblas_internal_val_ptrIdEPKPKdPKPdEvbiT2_lT3_lllSA_lllT4_llli,@function
_ZL54rocblas_symv_kernel_upper_double_buffered_non_diagonalILi32ELi4ELi4E24rocblas_internal_val_ptrIdEPKPKdPKPdEvbiT2_lT3_lllSA_lllT4_llli: ; @_ZL54rocblas_symv_kernel_upper_double_buffered_non_diagonalILi32ELi4ELi4E24rocblas_internal_val_ptrIdEPKPKdPKPdEvbiT2_lT3_lllSA_lllT4_llli
; %bb.0:
	s_clause 0x2
	s_load_dword s0, s[4:5], 0x0
	s_load_dwordx8 s[12:19], s[4:5], 0x8
	s_load_dwordx2 s[10:11], s[4:5], 0x28
	s_waitcnt lgkmcnt(0)
	s_bitcmp1_b32 s0, 0
	v_mov_b32_e32 v5, s12
	v_mov_b32_e32 v6, s13
	s_cselect_b32 s0, -1, 0
	s_and_b32 vcc_lo, exec_lo, s0
	s_cbranch_vccnz .LBB156_2
; %bb.1:
	s_mul_i32 s0, s15, s8
	s_mul_hi_u32 s1, s14, s8
	s_add_i32 s1, s1, s0
	s_mul_i32 s0, s14, s8
	s_lshl_b64 s[0:1], s[0:1], 3
	s_add_u32 s0, s12, s0
	s_addc_u32 s1, s13, s1
	v_mov_b32_e32 v3, s1
	v_mov_b32_e32 v2, s0
	flat_load_dwordx2 v[5:6], v[2:3]
.LBB156_2:
	s_mov_b32 s0, exec_lo
	s_waitcnt vmcnt(0) lgkmcnt(0)
	v_cmpx_neq_f64_e32 0, v[5:6]
	s_cbranch_execz .LBB156_27
; %bb.3:
	s_load_dword s1, s[4:5], 0x84
	s_cmp_eq_u32 s6, 0
	s_mov_b32 s9, 0
	s_waitcnt lgkmcnt(0)
	v_cvt_f32_u32_e32 v2, s1
	v_rcp_iflag_f32_e32 v2, v2
	v_mul_f32_e32 v2, 0x4f7ffffe, v2
	v_cvt_u32_f32_e32 v2, v2
	v_readfirstlane_b32 s0, v2
	s_cbranch_scc1 .LBB156_27
; %bb.4:
	s_clause 0x1
	s_load_dwordx4 s[20:23], s[4:5], 0x38
	s_load_dwordx2 s[12:13], s[4:5], 0x48
	s_sub_i32 s2, 0, s1
	v_cmp_eq_u32_e32 vcc_lo, 0, v1
	s_mul_i32 s2, s2, s0
	s_mul_hi_u32 s14, s0, s2
	s_lshl_b64 s[2:3], s[8:9], 3
	s_add_i32 s0, s0, s14
	s_add_u32 s8, s16, s2
	s_addc_u32 s9, s17, s3
	s_waitcnt lgkmcnt(0)
	s_add_u32 s14, s20, s2
	s_addc_u32 s15, s21, s3
	s_lshl_b64 s[22:23], s[22:23], 3
	s_load_dwordx2 s[14:15], s[14:15], 0x0
	s_load_dwordx2 s[16:17], s[4:5], 0x58
	s_waitcnt lgkmcnt(0)
	s_add_u32 s21, s14, s22
	s_addc_u32 s22, s15, s23
	s_add_u32 s14, s16, s2
	s_addc_u32 s15, s17, s3
	s_lshl_b32 s16, s6, 5
	s_mul_hi_u32 s2, s6, s0
	s_ashr_i32 s17, s16, 31
	s_and_saveexec_b32 s3, vcc_lo
	s_cbranch_execz .LBB156_6
; %bb.5:
	v_mad_u64_u32 v[2:3], null, s12, v0, 0
	s_mul_i32 s0, s12, s17
	s_mul_hi_u32 s20, s12, s16
	s_mul_i32 s23, s13, s16
	s_add_i32 s0, s20, s0
	s_mul_i32 s24, s12, s16
	s_add_i32 s25, s0, s23
	v_mad_u64_u32 v[3:4], null, s13, v0, v[3:4]
	s_lshl_b64 s[24:25], s[24:25], 3
	v_lshlrev_b32_e32 v4, 3, v0
	s_add_u32 s0, s21, s24
	s_addc_u32 s20, s22, s25
	v_lshlrev_b64 v[2:3], 3, v[2:3]
	v_add_co_u32 v2, s0, s0, v2
	v_add_co_ci_u32_e64 v3, null, s20, v3, s0
	flat_load_dwordx2 v[2:3], v[2:3]
	s_waitcnt vmcnt(0) lgkmcnt(0)
	ds_write_b64 v4, v[2:3] offset:6144
.LBB156_6:
	s_or_b32 exec_lo, exec_lo, s3
	s_mul_i32 s0, s2, s1
	s_add_i32 s3, s2, 1
	s_sub_i32 s0, s6, s0
	s_sub_i32 s20, s0, s1
	s_cmp_ge_u32 s0, s1
	s_cselect_b32 s2, s3, s2
	s_cselect_b32 s0, s20, s0
	s_add_i32 s3, s2, 1
	s_cmp_ge_u32 s0, s1
	s_cselect_b32 s24, s3, s2
	s_add_i32 s0, s1, -1
	s_mov_b32 s23, s24
	s_cmp_lg_u32 s7, s0
	s_cbranch_scc1 .LBB156_8
; %bb.7:
	s_mul_i32 s0, s24, s1
	s_sub_i32 s0, s6, s0
	s_add_i32 s23, s0, s24
.LBB156_8:
	s_cmp_eq_u32 s23, 0
	s_cbranch_scc1 .LBB156_27
; %bb.9:
	s_load_dwordx4 s[0:3], s[4:5], 0x60
	s_load_dwordx2 s[4:5], s[14:15], 0x0
	v_lshl_add_u32 v1, v1, 5, v0
	v_and_b32_e32 v7, 15, v0
	s_waitcnt lgkmcnt(0)
	s_barrier
	buffer_gl0_inv
	v_lshrrev_b32_e32 v60, 4, v1
	s_lshl_b64 s[0:1], s[0:1], 3
	s_add_u32 s20, s4, s0
	s_addc_u32 s1, s5, s1
	s_cmp_lt_i32 s23, 1
	s_cbranch_scc1 .LBB156_18
; %bb.10:
	s_load_dwordx2 s[4:5], s[8:9], 0x0
	v_lshlrev_b32_e32 v3, 2, v60
	v_mov_b32_e32 v8, 0
	s_mul_i32 s0, s7, s24
	s_lshl_b64 s[6:7], s[18:19], 3
	s_lshl_b32 s8, s0, 5
	s_mul_i32 s15, s10, s17
	v_mad_u64_u32 v[1:2], null, s10, v3, v[7:8]
	s_mul_hi_u32 s18, s10, s16
	s_ashr_i32 s9, s8, 31
	s_mul_i32 s19, s11, s16
	s_mul_i32 s14, s10, s16
	v_lshl_or_b32 v16, v7, 3, 0x1000
	v_lshlrev_b32_e32 v17, 8, v60
	v_mad_u64_u32 v[2:3], null, s11, v3, v[2:3]
	v_mad_u64_u32 v[3:4], null, s12, v7, 0
	v_lshl_add_u32 v63, v60, 5, 0x1800
	s_waitcnt lgkmcnt(0)
	s_add_u32 s0, s4, s6
	s_addc_u32 s6, s5, s7
	s_add_i32 s4, s18, s15
	v_lshlrev_b64 v[8:9], 3, v[1:2]
	s_add_i32 s15, s4, s19
	v_mov_b32_e32 v1, v4
	s_lshl_b64 s[4:5], s[14:15], 3
	s_mul_hi_u32 s7, s2, s8
	s_add_u32 s0, s0, s4
	s_addc_u32 s6, s6, s5
	s_lshl_b64 s[4:5], s[8:9], 3
	s_mul_i32 s14, s2, s9
	s_add_u32 s18, s0, s4
	s_addc_u32 s19, s6, s5
	v_add_co_u32 v10, s0, s18, v8
	v_mad_u64_u32 v[1:2], null, s13, v7, v[1:2]
	s_add_i32 s6, s7, s14
	v_add_co_ci_u32_e64 v11, null, s19, v9, s0
	s_mul_i32 s0, s3, s8
	s_lshl_b64 s[4:5], s[10:11], 3
	s_add_i32 s7, s6, s0
	s_mul_i32 s6, s2, s8
	v_add_co_u32 v12, s0, v10, s4
	s_lshl_b64 s[6:7], s[6:7], 3
	v_add_co_ci_u32_e64 v13, null, s5, v11, s0
	s_add_u32 s14, s20, s6
	s_mul_i32 s0, s12, s9
	s_mul_hi_u32 s6, s12, s8
	v_mov_b32_e32 v4, v1
	s_addc_u32 s15, s1, s7
	s_add_i32 s0, s6, s0
	s_mul_i32 s6, s13, s8
	v_lshl_or_b32 v61, v0, 3, 0x1000
	s_add_i32 s7, s0, s6
	v_add_co_u32 v1, s0, v12, s4
	s_mul_i32 s6, s12, s8
	v_lshlrev_b64 v[24:25], 3, v[3:4]
	v_add_co_ci_u32_e64 v2, null, s5, v13, s0
	s_lshl_b64 s[6:7], s[6:7], 3
	v_add_co_u32 v3, s0, v1, s4
	s_add_u32 s21, s21, s6
	v_add_co_ci_u32_e64 v4, null, s5, v2, s0
	s_addc_u32 s22, s22, s7
	v_add_co_u32 v14, s0, s21, v24
	v_add_co_ci_u32_e64 v15, null, s22, v25, s0
	s_clause 0x3
	flat_load_dwordx2 v[28:29], v[10:11]
	flat_load_dwordx2 v[30:31], v[12:13]
	;; [unrolled: 1-line block ×5, first 2 shown]
	v_or_b32_e32 v10, 16, v7
	v_mad_u64_u32 v[3:4], null, s2, v0, 0
	v_mov_b32_e32 v14, 0
	v_mov_b32_e32 v15, 0
	v_mad_u64_u32 v[1:2], null, s12, v10, 0
	v_add_nc_u32_e32 v62, v16, v17
	s_cmp_eq_u32 s23, 1
	v_mad_u64_u32 v[10:11], null, s13, v10, v[2:3]
	v_mad_u64_u32 v[11:12], null, s3, v0, v[4:5]
	v_mov_b32_e32 v2, v10
	v_mov_b32_e32 v4, v11
	v_lshlrev_b64 v[18:19], 3, v[1:2]
	v_lshlrev_b64 v[10:11], 3, v[3:4]
	s_cbranch_scc1 .LBB156_19
; %bb.11:
	v_mov_b32_e32 v16, 0
	v_mov_b32_e32 v22, 0
	v_mov_b32_e32 v20, 0
	v_mov_b32_e32 v14, 0
	v_mov_b32_e32 v12, s14
	s_lshl_b64 s[10:11], s[10:11], 4
	v_mov_b32_e32 v17, 0
	v_mov_b32_e32 v23, 0
	;; [unrolled: 1-line block ×5, first 2 shown]
	s_lshl_b64 s[6:7], s[12:13], 8
	s_lshl_b64 s[8:9], s[2:3], 8
	s_add_i32 s12, s23, -2
	s_sub_u32 s10, 0, s10
	s_subb_u32 s11, 0, s11
	s_mov_b32 s13, 0
.LBB156_12:                             ; =>This Loop Header: Depth=1
                                        ;     Child Loop BB156_14 Depth 2
	v_add_co_u32 v1, s0, s18, v8
	v_add_co_ci_u32_e64 v2, null, s19, v9, s0
	v_add_co_u32 v3, s0, v1, s4
	flat_load_dwordx2 v[46:47], v[1:2] offset:128
	v_add_co_ci_u32_e64 v4, null, s5, v2, s0
	flat_load_dwordx2 v[48:49], v[3:4] offset:128
	v_add_co_u32 v3, s0, v3, s4
	v_add_co_ci_u32_e64 v4, null, s5, v4, s0
	flat_load_dwordx2 v[50:51], v[3:4] offset:128
	v_add_co_u32 v3, s0, v3, s4
	v_add_co_ci_u32_e64 v4, null, s5, v4, s0
	v_add_co_u32 v36, s0, s21, v18
	v_add_co_ci_u32_e64 v37, null, s22, v19, s0
	flat_load_dwordx2 v[52:53], v[3:4] offset:128
	v_add_co_u32 v3, s0, v3, s10
	s_add_u32 s21, s21, s6
	v_add_co_ci_u32_e64 v4, null, s11, v4, s0
	s_addc_u32 s22, s22, s7
	v_add_co_u32 v38, s0, s21, v24
	v_add_co_ci_u32_e64 v39, null, s22, v25, s0
	v_add_co_u32 v56, s0, v3, s4
	v_add_co_ci_u32_e64 v57, null, s5, v4, s0
	flat_load_dwordx2 v[54:55], v[36:37]
	v_add_co_u32 v36, s0, v56, s4
	v_add_co_ci_u32_e64 v37, null, s5, v57, s0
	flat_load_dwordx2 v[44:45], v[38:39]
	s_clause 0x3
	flat_load_dwordx2 v[42:43], v[1:2] offset:256
	flat_load_dwordx2 v[40:41], v[3:4] offset:256
	;; [unrolled: 1-line block ×4, first 2 shown]
	ds_read_b128 v[1:4], v63
	ds_read_b128 v[56:59], v63 offset:16
	s_waitcnt vmcnt(0) lgkmcnt(0)
	s_barrier
	buffer_gl0_inv
	v_fma_f64 v[64:65], v[28:29], v[1:2], 0
	v_fma_f64 v[64:65], v[30:31], v[3:4], v[64:65]
	;; [unrolled: 1-line block ×8, first 2 shown]
	ds_write2_b64 v62, v[3:4], v[1:2] offset1:16
	s_waitcnt lgkmcnt(0)
	s_barrier
	buffer_gl0_inv
	s_and_saveexec_b32 s14, vcc_lo
	s_cbranch_execz .LBB156_16
; %bb.13:                               ;   in Loop: Header=BB156_12 Depth=1
	v_add_co_u32 v56, s0, v12, v10
	v_add_co_ci_u32_e64 v57, null, v13, v11, s0
	ds_read2_b64 v[64:67], v61 offset1:32
	s_mov_b32 s15, 0
	flat_load_dwordx2 v[3:4], v[56:57]
	s_waitcnt lgkmcnt(1)
	v_add_f64 v[1:2], v[64:65], 0
	v_add_f64 v[1:2], v[1:2], v[66:67]
	ds_read2_b64 v[64:67], v61 offset0:64 offset1:96
	s_waitcnt lgkmcnt(0)
	v_add_f64 v[1:2], v[1:2], v[64:65]
	v_add_f64 v[1:2], v[1:2], v[66:67]
	ds_read2_b64 v[64:67], v61 offset0:128 offset1:160
	;; [unrolled: 4-line block ×3, first 2 shown]
	s_waitcnt lgkmcnt(0)
	v_add_f64 v[1:2], v[1:2], v[64:65]
	v_add_f64 v[1:2], v[1:2], v[66:67]
	v_mul_f64 v[58:59], v[5:6], v[1:2]
.LBB156_14:                             ;   Parent Loop BB156_12 Depth=1
                                        ; =>  This Inner Loop Header: Depth=2
	s_waitcnt vmcnt(0)
	v_add_f64 v[1:2], v[3:4], v[58:59]
	flat_atomic_cmpswap_x2 v[1:2], v[56:57], v[1:4] glc
	s_waitcnt vmcnt(0) lgkmcnt(0)
	v_cmp_eq_u64_e64 s0, v[1:2], v[3:4]
	v_mov_b32_e32 v4, v2
	v_mov_b32_e32 v3, v1
	s_or_b32 s15, s0, s15
	s_andn2_b32 exec_lo, exec_lo, s15
	s_cbranch_execnz .LBB156_14
; %bb.15:                               ;   in Loop: Header=BB156_12 Depth=1
	s_or_b32 exec_lo, exec_lo, s15
	v_add_co_u32 v12, s0, v12, s8
	v_add_co_ci_u32_e64 v13, null, s9, v13, s0
.LBB156_16:                             ;   in Loop: Header=BB156_12 Depth=1
	s_or_b32 exec_lo, exec_lo, s14
	v_fma_f64 v[1:2], v[26:27], v[28:29], v[16:17]
	v_fma_f64 v[3:4], v[26:27], v[30:31], v[22:23]
	;; [unrolled: 1-line block ×4, first 2 shown]
	s_add_u32 s18, s18, 0x100
	s_addc_u32 s19, s19, 0
	s_add_i32 s0, s13, 1
	s_cmp_eq_u32 s13, s12
	v_fma_f64 v[16:17], v[54:55], v[46:47], v[1:2]
	v_fma_f64 v[22:23], v[54:55], v[48:49], v[3:4]
	v_fma_f64 v[20:21], v[54:55], v[50:51], v[20:21]
	v_fma_f64 v[14:15], v[54:55], v[52:53], v[14:15]
	s_cbranch_scc1 .LBB156_20
; %bb.17:                               ;   in Loop: Header=BB156_12 Depth=1
	v_mov_b32_e32 v26, v44
	v_mov_b32_e32 v28, v42
	;; [unrolled: 1-line block ×10, first 2 shown]
	s_mov_b32 s13, s0
	s_branch .LBB156_12
.LBB156_18:
	v_mov_b32_e32 v1, 0
	v_mov_b32_e32 v3, 0
	;; [unrolled: 1-line block ×8, first 2 shown]
	s_branch .LBB156_24
.LBB156_19:
	v_mov_b32_e32 v12, s14
	s_waitcnt vmcnt(1) lgkmcnt(1)
	v_mov_b32_e32 v37, v35
	v_mov_b32_e32 v39, v33
	;; [unrolled: 1-line block ×7, first 2 shown]
	s_waitcnt vmcnt(0) lgkmcnt(0)
	v_mov_b32_e32 v45, v27
	v_mov_b32_e32 v13, s15
	;; [unrolled: 1-line block ×10, first 2 shown]
.LBB156_20:
	v_add_co_u32 v1, s0, s18, v8
	v_add_co_ci_u32_e64 v2, null, s19, v9, s0
	v_fma_f64 v[16:17], v[44:45], v[42:43], v[16:17]
	v_fma_f64 v[22:23], v[44:45], v[40:41], v[22:23]
	;; [unrolled: 1-line block ×3, first 2 shown]
	flat_load_dwordx2 v[8:9], v[1:2] offset:128
	v_add_co_u32 v1, s0, v1, s4
	v_add_co_ci_u32_e64 v2, null, s5, v2, s0
	v_fma_f64 v[14:15], v[44:45], v[36:37], v[14:15]
	flat_load_dwordx2 v[24:25], v[1:2] offset:128
	v_add_co_u32 v1, s0, v1, s4
	v_add_co_ci_u32_e64 v2, null, s5, v2, s0
	flat_load_dwordx2 v[26:27], v[1:2] offset:128
	v_add_co_u32 v1, s0, v1, s4
	v_add_co_ci_u32_e64 v2, null, s5, v2, s0
	;; [unrolled: 3-line block ×3, first 2 shown]
	flat_load_dwordx2 v[18:19], v[1:2]
	ds_read_b128 v[1:4], v63
	ds_read_b128 v[30:33], v63 offset:16
	s_waitcnt vmcnt(0) lgkmcnt(0)
	s_barrier
	buffer_gl0_inv
	v_fma_f64 v[34:35], v[42:43], v[1:2], 0
	v_fma_f64 v[34:35], v[40:41], v[3:4], v[34:35]
	;; [unrolled: 1-line block ×8, first 2 shown]
	ds_write2_b64 v62, v[3:4], v[1:2] offset1:16
	s_waitcnt lgkmcnt(0)
	s_barrier
	buffer_gl0_inv
	s_and_saveexec_b32 s4, vcc_lo
	s_cbranch_execz .LBB156_23
; %bb.21:
	v_add_co_u32 v10, s0, v12, v10
	v_add_co_ci_u32_e64 v11, null, v13, v11, s0
	ds_read2_b64 v[30:33], v61 offset1:32
	s_mov_b32 s5, 0
	flat_load_dwordx2 v[3:4], v[10:11]
	s_waitcnt lgkmcnt(1)
	v_add_f64 v[1:2], v[30:31], 0
	v_add_f64 v[1:2], v[1:2], v[32:33]
	ds_read2_b64 v[30:33], v61 offset0:64 offset1:96
	s_waitcnt lgkmcnt(0)
	v_add_f64 v[1:2], v[1:2], v[30:31]
	v_add_f64 v[1:2], v[1:2], v[32:33]
	ds_read2_b64 v[30:33], v61 offset0:128 offset1:160
	;; [unrolled: 4-line block ×3, first 2 shown]
	s_waitcnt lgkmcnt(0)
	v_add_f64 v[1:2], v[1:2], v[30:31]
	v_add_f64 v[1:2], v[1:2], v[32:33]
	v_mul_f64 v[12:13], v[5:6], v[1:2]
.LBB156_22:                             ; =>This Inner Loop Header: Depth=1
	s_waitcnt vmcnt(0)
	v_add_f64 v[1:2], v[3:4], v[12:13]
	flat_atomic_cmpswap_x2 v[1:2], v[10:11], v[1:4] glc
	s_waitcnt vmcnt(0) lgkmcnt(0)
	v_cmp_eq_u64_e64 s0, v[1:2], v[3:4]
	v_mov_b32_e32 v4, v2
	v_mov_b32_e32 v3, v1
	s_or_b32 s5, s0, s5
	s_andn2_b32 exec_lo, exec_lo, s5
	s_cbranch_execnz .LBB156_22
.LBB156_23:
	s_or_b32 exec_lo, exec_lo, s4
	v_fma_f64 v[10:11], v[18:19], v[8:9], v[16:17]
	v_fma_f64 v[8:9], v[18:19], v[24:25], v[22:23]
	;; [unrolled: 1-line block ×4, first 2 shown]
.LBB156_24:
	v_lshlrev_b32_e32 v12, 9, v60
	v_lshl_or_b32 v12, v7, 3, v12
	ds_write2_b64 v12, v[10:11], v[8:9] offset1:16
	ds_write2_b64 v12, v[3:4], v[1:2] offset0:32 offset1:48
	s_waitcnt lgkmcnt(0)
	s_barrier
	buffer_gl0_inv
	s_and_b32 exec_lo, exec_lo, vcc_lo
	s_cbranch_execz .LBB156_27
; %bb.25:
	v_lshlrev_b32_e32 v20, 7, v0
	v_add_nc_u32_e32 v3, 1, v0
	v_add_nc_u32_e32 v4, 2, v0
	;; [unrolled: 1-line block ×3, first 2 shown]
	v_mad_u64_u32 v[12:13], null, s2, v0, 0
	v_lshl_or_b32 v1, v7, 3, v20
	v_and_b32_e32 v3, 15, v3
	v_and_b32_e32 v4, 15, v4
	;; [unrolled: 1-line block ×3, first 2 shown]
	s_mul_i32 s0, s2, s17
	ds_read_b64 v[1:2], v1
	v_lshl_or_b32 v3, v3, 3, v20
	v_lshl_or_b32 v9, v4, 3, v20
	;; [unrolled: 1-line block ×3, first 2 shown]
	ds_read_b64 v[3:4], v3
	ds_read_b64 v[8:9], v9
	;; [unrolled: 1-line block ×3, first 2 shown]
	s_mul_hi_u32 s4, s2, s16
	s_mul_i32 s2, s2, s16
	s_add_i32 s0, s4, s0
	v_add_nc_u32_e32 v14, 7, v0
	v_and_b32_e32 v14, 15, v14
	v_lshl_or_b32 v18, v14, 3, v20
	s_waitcnt lgkmcnt(3)
	v_add_f64 v[1:2], v[1:2], 0
	s_waitcnt lgkmcnt(2)
	v_add_f64 v[1:2], v[1:2], v[3:4]
	v_mov_b32_e32 v3, v13
	v_mad_u64_u32 v[3:4], null, s3, v0, v[3:4]
	s_mul_i32 s3, s3, s16
	s_add_i32 s3, s0, s3
	s_lshl_b64 s[2:3], s[2:3], 3
	v_mov_b32_e32 v13, v3
	s_add_u32 s0, s20, s2
	s_addc_u32 s1, s1, s3
	v_lshlrev_b64 v[3:4], 3, v[12:13]
	s_waitcnt lgkmcnt(1)
	v_add_f64 v[12:13], v[1:2], v[8:9]
	v_add_nc_u32_e32 v1, 4, v0
	v_add_co_u32 v8, vcc_lo, s0, v3
	v_add_co_ci_u32_e64 v9, null, s1, v4, vcc_lo
	v_and_b32_e32 v1, 15, v1
	v_add_nc_u32_e32 v4, 6, v0
	s_mov_b32 s0, 0
	flat_load_dwordx2 v[2:3], v[8:9]
	v_lshl_or_b32 v1, v1, 3, v20
	v_and_b32_e32 v4, 15, v4
	v_lshl_or_b32 v4, v4, 3, v20
	s_waitcnt lgkmcnt(1)
	v_add_f64 v[10:11], v[12:13], v[10:11]
	ds_read_b64 v[12:13], v1
	v_add_nc_u32_e32 v1, 5, v0
	v_and_b32_e32 v1, 15, v1
	v_lshl_or_b32 v1, v1, 3, v20
	ds_read_b64 v[14:15], v1
	ds_read_b64 v[16:17], v4
	;; [unrolled: 1-line block ×3, first 2 shown]
	v_xor_b32_e32 v1, 8, v7
	v_add_nc_u32_e32 v4, 10, v0
	v_add_nc_u32_e32 v7, 11, v0
	s_waitcnt lgkmcnt(3)
	v_add_f64 v[10:11], v[10:11], v[12:13]
	v_lshl_or_b32 v1, v1, 3, v20
	v_and_b32_e32 v4, 15, v4
	v_and_b32_e32 v7, 15, v7
	ds_read_b64 v[12:13], v1
	v_add_nc_u32_e32 v1, 9, v0
	v_lshl_or_b32 v4, v4, 3, v20
	v_lshl_or_b32 v7, v7, 3, v20
	v_and_b32_e32 v1, 15, v1
	v_lshl_or_b32 v1, v1, 3, v20
	s_waitcnt lgkmcnt(3)
	v_add_f64 v[10:11], v[10:11], v[14:15]
	s_waitcnt lgkmcnt(2)
	v_add_f64 v[10:11], v[10:11], v[16:17]
	;; [unrolled: 2-line block ×3, first 2 shown]
	ds_read_b64 v[14:15], v1
	ds_read_b64 v[16:17], v4
	;; [unrolled: 1-line block ×3, first 2 shown]
	v_add_nc_u32_e32 v1, 12, v0
	v_add_nc_u32_e32 v4, 14, v0
	v_and_b32_e32 v1, 15, v1
	v_and_b32_e32 v4, 15, v4
	v_lshl_or_b32 v1, v1, 3, v20
	v_lshl_or_b32 v4, v4, 3, v20
	s_waitcnt lgkmcnt(3)
	v_add_f64 v[10:11], v[10:11], v[12:13]
	ds_read_b64 v[12:13], v1
	v_add_nc_u32_e32 v1, 13, v0
	v_add_nc_u32_e32 v0, -1, v0
	v_and_b32_e32 v1, 15, v1
	v_and_b32_e32 v0, 15, v0
	v_lshl_or_b32 v1, v1, 3, v20
	v_lshl_or_b32 v7, v0, 3, v20
	s_waitcnt lgkmcnt(3)
	v_add_f64 v[10:11], v[10:11], v[14:15]
	s_waitcnt lgkmcnt(2)
	v_add_f64 v[10:11], v[10:11], v[16:17]
	ds_read_b64 v[0:1], v1
	ds_read_b64 v[14:15], v4
	;; [unrolled: 1-line block ×3, first 2 shown]
	s_waitcnt lgkmcnt(4)
	v_add_f64 v[10:11], v[10:11], v[18:19]
	s_waitcnt lgkmcnt(3)
	v_add_f64 v[10:11], v[10:11], v[12:13]
	s_waitcnt lgkmcnt(2)
	v_add_f64 v[0:1], v[10:11], v[0:1]
	s_waitcnt lgkmcnt(1)
	v_add_f64 v[0:1], v[0:1], v[14:15]
	s_waitcnt lgkmcnt(0)
	v_add_f64 v[0:1], v[0:1], v[16:17]
	v_mul_f64 v[4:5], v[5:6], v[0:1]
.LBB156_26:                             ; =>This Inner Loop Header: Depth=1
	s_waitcnt vmcnt(0)
	v_add_f64 v[0:1], v[2:3], v[4:5]
	flat_atomic_cmpswap_x2 v[0:1], v[8:9], v[0:3] glc
	s_waitcnt vmcnt(0) lgkmcnt(0)
	v_cmp_eq_u64_e32 vcc_lo, v[0:1], v[2:3]
	v_mov_b32_e32 v3, v1
	v_mov_b32_e32 v2, v0
	s_or_b32 s0, vcc_lo, s0
	s_andn2_b32 exec_lo, exec_lo, s0
	s_cbranch_execnz .LBB156_26
.LBB156_27:
	s_endpgm
	.section	.rodata,"a",@progbits
	.p2align	6, 0x0
	.amdhsa_kernel _ZL54rocblas_symv_kernel_upper_double_buffered_non_diagonalILi32ELi4ELi4E24rocblas_internal_val_ptrIdEPKPKdPKPdEvbiT2_lT3_lllSA_lllT4_llli
		.amdhsa_group_segment_fixed_size 6400
		.amdhsa_private_segment_fixed_size 0
		.amdhsa_kernarg_size 384
		.amdhsa_user_sgpr_count 6
		.amdhsa_user_sgpr_private_segment_buffer 1
		.amdhsa_user_sgpr_dispatch_ptr 0
		.amdhsa_user_sgpr_queue_ptr 0
		.amdhsa_user_sgpr_kernarg_segment_ptr 1
		.amdhsa_user_sgpr_dispatch_id 0
		.amdhsa_user_sgpr_flat_scratch_init 0
		.amdhsa_user_sgpr_private_segment_size 0
		.amdhsa_wavefront_size32 1
		.amdhsa_uses_dynamic_stack 0
		.amdhsa_system_sgpr_private_segment_wavefront_offset 0
		.amdhsa_system_sgpr_workgroup_id_x 1
		.amdhsa_system_sgpr_workgroup_id_y 1
		.amdhsa_system_sgpr_workgroup_id_z 1
		.amdhsa_system_sgpr_workgroup_info 0
		.amdhsa_system_vgpr_workitem_id 1
		.amdhsa_next_free_vgpr 68
		.amdhsa_next_free_sgpr 26
		.amdhsa_reserve_vcc 1
		.amdhsa_reserve_flat_scratch 1
		.amdhsa_float_round_mode_32 0
		.amdhsa_float_round_mode_16_64 0
		.amdhsa_float_denorm_mode_32 3
		.amdhsa_float_denorm_mode_16_64 3
		.amdhsa_dx10_clamp 1
		.amdhsa_ieee_mode 1
		.amdhsa_fp16_overflow 0
		.amdhsa_workgroup_processor_mode 1
		.amdhsa_memory_ordered 1
		.amdhsa_forward_progress 1
		.amdhsa_shared_vgpr_count 0
		.amdhsa_exception_fp_ieee_invalid_op 0
		.amdhsa_exception_fp_denorm_src 0
		.amdhsa_exception_fp_ieee_div_zero 0
		.amdhsa_exception_fp_ieee_overflow 0
		.amdhsa_exception_fp_ieee_underflow 0
		.amdhsa_exception_fp_ieee_inexact 0
		.amdhsa_exception_int_div_zero 0
	.end_amdhsa_kernel
	.section	.text._ZL54rocblas_symv_kernel_upper_double_buffered_non_diagonalILi32ELi4ELi4E24rocblas_internal_val_ptrIdEPKPKdPKPdEvbiT2_lT3_lllSA_lllT4_llli,"axG",@progbits,_ZL54rocblas_symv_kernel_upper_double_buffered_non_diagonalILi32ELi4ELi4E24rocblas_internal_val_ptrIdEPKPKdPKPdEvbiT2_lT3_lllSA_lllT4_llli,comdat
.Lfunc_end156:
	.size	_ZL54rocblas_symv_kernel_upper_double_buffered_non_diagonalILi32ELi4ELi4E24rocblas_internal_val_ptrIdEPKPKdPKPdEvbiT2_lT3_lllSA_lllT4_llli, .Lfunc_end156-_ZL54rocblas_symv_kernel_upper_double_buffered_non_diagonalILi32ELi4ELi4E24rocblas_internal_val_ptrIdEPKPKdPKPdEvbiT2_lT3_lllSA_lllT4_llli
                                        ; -- End function
	.set _ZL54rocblas_symv_kernel_upper_double_buffered_non_diagonalILi32ELi4ELi4E24rocblas_internal_val_ptrIdEPKPKdPKPdEvbiT2_lT3_lllSA_lllT4_llli.num_vgpr, 68
	.set _ZL54rocblas_symv_kernel_upper_double_buffered_non_diagonalILi32ELi4ELi4E24rocblas_internal_val_ptrIdEPKPKdPKPdEvbiT2_lT3_lllSA_lllT4_llli.num_agpr, 0
	.set _ZL54rocblas_symv_kernel_upper_double_buffered_non_diagonalILi32ELi4ELi4E24rocblas_internal_val_ptrIdEPKPKdPKPdEvbiT2_lT3_lllSA_lllT4_llli.numbered_sgpr, 26
	.set _ZL54rocblas_symv_kernel_upper_double_buffered_non_diagonalILi32ELi4ELi4E24rocblas_internal_val_ptrIdEPKPKdPKPdEvbiT2_lT3_lllSA_lllT4_llli.num_named_barrier, 0
	.set _ZL54rocblas_symv_kernel_upper_double_buffered_non_diagonalILi32ELi4ELi4E24rocblas_internal_val_ptrIdEPKPKdPKPdEvbiT2_lT3_lllSA_lllT4_llli.private_seg_size, 0
	.set _ZL54rocblas_symv_kernel_upper_double_buffered_non_diagonalILi32ELi4ELi4E24rocblas_internal_val_ptrIdEPKPKdPKPdEvbiT2_lT3_lllSA_lllT4_llli.uses_vcc, 1
	.set _ZL54rocblas_symv_kernel_upper_double_buffered_non_diagonalILi32ELi4ELi4E24rocblas_internal_val_ptrIdEPKPKdPKPdEvbiT2_lT3_lllSA_lllT4_llli.uses_flat_scratch, 1
	.set _ZL54rocblas_symv_kernel_upper_double_buffered_non_diagonalILi32ELi4ELi4E24rocblas_internal_val_ptrIdEPKPKdPKPdEvbiT2_lT3_lllSA_lllT4_llli.has_dyn_sized_stack, 0
	.set _ZL54rocblas_symv_kernel_upper_double_buffered_non_diagonalILi32ELi4ELi4E24rocblas_internal_val_ptrIdEPKPKdPKPdEvbiT2_lT3_lllSA_lllT4_llli.has_recursion, 0
	.set _ZL54rocblas_symv_kernel_upper_double_buffered_non_diagonalILi32ELi4ELi4E24rocblas_internal_val_ptrIdEPKPKdPKPdEvbiT2_lT3_lllSA_lllT4_llli.has_indirect_call, 0
	.section	.AMDGPU.csdata,"",@progbits
; Kernel info:
; codeLenInByte = 3204
; TotalNumSgprs: 28
; NumVgprs: 68
; ScratchSize: 0
; MemoryBound: 0
; FloatMode: 240
; IeeeMode: 1
; LDSByteSize: 6400 bytes/workgroup (compile time only)
; SGPRBlocks: 0
; VGPRBlocks: 8
; NumSGPRsForWavesPerEU: 28
; NumVGPRsForWavesPerEU: 68
; Occupancy: 12
; WaveLimiterHint : 1
; COMPUTE_PGM_RSRC2:SCRATCH_EN: 0
; COMPUTE_PGM_RSRC2:USER_SGPR: 6
; COMPUTE_PGM_RSRC2:TRAP_HANDLER: 0
; COMPUTE_PGM_RSRC2:TGID_X_EN: 1
; COMPUTE_PGM_RSRC2:TGID_Y_EN: 1
; COMPUTE_PGM_RSRC2:TGID_Z_EN: 1
; COMPUTE_PGM_RSRC2:TIDIG_COMP_CNT: 1
	.section	.text._ZL58rocblas_symv_kernel_upper_double_buffered_diagonal_genericILi32ELi8E24rocblas_internal_val_ptrIdEPKPKdPKPdEvbiT1_lT2_lllSA_lllS9_lT3_lllii,"axG",@progbits,_ZL58rocblas_symv_kernel_upper_double_buffered_diagonal_genericILi32ELi8E24rocblas_internal_val_ptrIdEPKPKdPKPdEvbiT1_lT2_lllSA_lllS9_lT3_lllii,comdat
	.globl	_ZL58rocblas_symv_kernel_upper_double_buffered_diagonal_genericILi32ELi8E24rocblas_internal_val_ptrIdEPKPKdPKPdEvbiT1_lT2_lllSA_lllS9_lT3_lllii ; -- Begin function _ZL58rocblas_symv_kernel_upper_double_buffered_diagonal_genericILi32ELi8E24rocblas_internal_val_ptrIdEPKPKdPKPdEvbiT1_lT2_lllSA_lllS9_lT3_lllii
	.p2align	8
	.type	_ZL58rocblas_symv_kernel_upper_double_buffered_diagonal_genericILi32ELi8E24rocblas_internal_val_ptrIdEPKPKdPKPdEvbiT1_lT2_lllSA_lllS9_lT3_lllii,@function
_ZL58rocblas_symv_kernel_upper_double_buffered_diagonal_genericILi32ELi8E24rocblas_internal_val_ptrIdEPKPKdPKPdEvbiT1_lT2_lllSA_lllS9_lT3_lllii: ; @_ZL58rocblas_symv_kernel_upper_double_buffered_diagonal_genericILi32ELi8E24rocblas_internal_val_ptrIdEPKPKdPKPdEvbiT1_lT2_lllSA_lllS9_lT3_lllii
; %bb.0:
	s_mov_b32 s18, s7
	s_clause 0x3
	s_load_dword s7, s[4:5], 0x0
	s_load_dwordx8 s[8:15], s[4:5], 0x8
	s_load_dwordx2 s[16:17], s[4:5], 0x28
	s_load_dwordx4 s[0:3], s[4:5], 0x58
	s_waitcnt lgkmcnt(0)
	s_bitcmp1_b32 s7, 0
	v_mov_b32_e32 v4, s8
	v_mov_b32_e32 v5, s9
	s_cselect_b32 s7, -1, 0
	s_and_b32 vcc_lo, exec_lo, s7
	s_xor_b32 s7, s7, -1
	s_cbranch_vccnz .LBB157_2
; %bb.1:
	s_mul_i32 s11, s11, s18
	s_mul_hi_u32 s19, s10, s18
	s_mul_i32 s10, s10, s18
	s_add_i32 s11, s19, s11
	s_lshl_b64 s[10:11], s[10:11], 3
	s_add_u32 s8, s8, s10
	s_addc_u32 s9, s9, s11
	v_mov_b32_e32 v2, s8
	v_mov_b32_e32 v3, s9
	flat_load_dwordx2 v[4:5], v[2:3]
.LBB157_2:
	v_mov_b32_e32 v3, s1
	v_mov_b32_e32 v2, s0
	s_andn2_b32 vcc_lo, exec_lo, s7
	s_cbranch_vccnz .LBB157_4
; %bb.3:
	s_mul_i32 s3, s3, s18
	s_mul_hi_u32 s7, s2, s18
	s_mul_i32 s2, s2, s18
	s_add_i32 s3, s7, s3
	s_lshl_b64 s[2:3], s[2:3], 3
	s_add_u32 s0, s0, s2
	s_addc_u32 s1, s1, s3
	v_mov_b32_e32 v3, s1
	v_mov_b32_e32 v2, s0
	flat_load_dwordx2 v[2:3], v[2:3]
.LBB157_4:
	s_waitcnt vmcnt(0) lgkmcnt(0)
	v_cmp_neq_f64_e32 vcc_lo, 0, v[4:5]
	v_cmp_neq_f64_e64 s0, 1.0, v[2:3]
	s_or_b32 s0, vcc_lo, s0
	s_and_saveexec_b32 s1, s0
	s_cbranch_execz .LBB157_50
; %bb.5:
	v_cmp_neq_f64_e64 s0, 0, v[4:5]
	v_cmp_eq_f64_e32 vcc_lo, 0, v[4:5]
	s_mov_b32 s19, 0
	v_mov_b32_e32 v6, s18
	v_mov_b32_e32 v7, s19
	s_and_saveexec_b32 s1, vcc_lo
	s_xor_b32 s1, exec_lo, s1
; %bb.6:
	v_mov_b32_e32 v6, s18
	v_mov_b32_e32 v7, s19
; %bb.7:
	s_or_saveexec_b32 s1, s1
	s_load_dwordx2 s[2:3], s[4:5], 0x68
	v_mov_b32_e32 v10, 0
	v_mov_b32_e32 v8, 0
	;; [unrolled: 1-line block ×4, first 2 shown]
	s_xor_b32 exec_lo, exec_lo, s1
	s_cbranch_execz .LBB157_9
; %bb.8:
	s_lshl_b64 s[8:9], s[18:19], 3
	s_add_u32 s8, s12, s8
	s_addc_u32 s9, s13, s9
	s_lshl_b64 s[10:11], s[14:15], 3
	s_load_dwordx2 s[8:9], s[8:9], 0x0
	s_waitcnt lgkmcnt(0)
	s_add_u32 s8, s8, s10
	s_addc_u32 s9, s9, s11
	v_mov_b32_e32 v8, s8
	v_mov_b32_e32 v9, s9
.LBB157_9:
	s_or_b32 exec_lo, exec_lo, s1
	s_clause 0x1
	s_load_dwordx4 s[8:11], s[4:5], 0x38
	s_load_dwordx2 s[12:13], s[4:5], 0x48
	v_lshlrev_b64 v[6:7], 3, v[6:7]
	s_and_saveexec_b32 s1, s0
	s_cbranch_execz .LBB157_11
; %bb.10:
	s_waitcnt lgkmcnt(0)
	v_add_co_u32 v10, s0, s8, v6
	v_add_co_ci_u32_e64 v11, null, s9, v7, s0
	s_lshl_b64 s[8:9], s[10:11], 3
	global_load_dwordx2 v[10:11], v[10:11], off
	s_waitcnt vmcnt(0)
	v_add_co_u32 v10, s0, v10, s8
	v_add_co_ci_u32_e64 v11, null, s9, v11, s0
.LBB157_11:
	s_or_b32 exec_lo, exec_lo, s1
	s_waitcnt lgkmcnt(0)
	v_add_co_u32 v6, s0, s2, v6
	v_add_co_ci_u32_e64 v7, null, s3, v7, s0
	s_clause 0x1
	s_load_dwordx4 s[0:3], s[4:5], 0x70
	s_load_dword s7, s[4:5], 0x88
	s_lshl_b32 s8, s6, 5
	global_load_dwordx2 v[6:7], v[6:7], off
	s_ashr_i32 s9, s8, 31
	s_waitcnt lgkmcnt(0)
	s_mul_i32 s10, s2, s9
	s_mul_hi_u32 s11, s2, s8
	s_lshl_b64 s[0:1], s[0:1], 3
	s_mul_i32 s14, s3, s8
	s_add_i32 s11, s11, s10
	s_mul_i32 s10, s2, s8
	s_add_i32 s11, s11, s14
	s_waitcnt vmcnt(0)
	v_add_co_u32 v6, s0, v6, s0
	v_add_co_ci_u32_e64 v7, null, s1, v7, s0
	s_lshl_b64 s[0:1], s[10:11], 3
	v_add_co_u32 v14, s0, v6, s0
	v_add_co_ci_u32_e64 v15, null, s1, v7, s0
	s_and_saveexec_b32 s0, vcc_lo
	s_xor_b32 s0, exec_lo, s0
	s_cbranch_execz .LBB157_18
; %bb.12:
	s_mov_b32 s1, exec_lo
	v_cmpx_eq_u32_e32 0, v1
	s_cbranch_execz .LBB157_17
; %bb.13:
	v_cmp_gt_i32_e64 s10, s7, v0
	s_mov_b32 s11, exec_lo
	v_cmpx_le_i32_e64 s7, v0
	s_cbranch_execz .LBB157_15
; %bb.14:
	s_load_dword s14, s[4:5], 0x90
	s_waitcnt lgkmcnt(0)
	s_add_i32 s14, s14, -1
	s_cmp_lt_u32 s6, s14
	s_cselect_b32 s14, -1, 0
	s_andn2_b32 s10, s10, exec_lo
	s_and_b32 s14, s14, exec_lo
	s_or_b32 s10, s10, s14
.LBB157_15:
	s_or_b32 exec_lo, exec_lo, s11
	s_and_b32 exec_lo, exec_lo, s10
	s_cbranch_execz .LBB157_17
; %bb.16:
	v_mad_u64_u32 v[4:5], null, s2, v0, 0
	v_mov_b32_e32 v1, v5
	v_mad_u64_u32 v[0:1], null, s3, v0, v[1:2]
	v_mov_b32_e32 v5, v0
	v_lshlrev_b64 v[0:1], 3, v[4:5]
	v_add_co_u32 v0, vcc_lo, v14, v0
	v_add_co_ci_u32_e64 v1, null, v15, v1, vcc_lo
	flat_load_dwordx2 v[4:5], v[0:1]
	s_waitcnt vmcnt(0) lgkmcnt(0)
	v_mul_f64 v[2:3], v[2:3], v[4:5]
	flat_store_dwordx2 v[0:1], v[2:3]
.LBB157_17:
	s_or_b32 exec_lo, exec_lo, s1
                                        ; implicit-def: $vgpr1
                                        ; implicit-def: $vgpr0
                                        ; implicit-def: $vgpr2_vgpr3
                                        ; implicit-def: $vgpr4_vgpr5
                                        ; implicit-def: $vgpr14
                                        ; implicit-def: $vgpr15
                                        ; implicit-def: $vgpr8_vgpr9
                                        ; implicit-def: $vgpr10_vgpr11
.LBB157_18:
	s_andn2_saveexec_b32 s0, s0
	s_cbranch_execz .LBB157_50
; %bb.19:
	v_mov_b32_e32 v6, 0
	v_cmp_ne_u32_e64 s1, 0, v1
	v_mov_b32_e32 v7, 0
	v_cmp_eq_u32_e64 s0, 0, v1
	s_and_saveexec_b32 s10, s0
	s_cbranch_execz .LBB157_27
; %bb.20:
	v_cmp_gt_i32_e64 s14, s7, v0
	s_mov_b32 s11, exec_lo
	v_cmpx_le_i32_e64 s7, v0
	s_cbranch_execz .LBB157_22
; %bb.21:
	s_load_dword s15, s[4:5], 0x90
	s_waitcnt lgkmcnt(0)
	s_add_i32 s15, s15, -1
	s_cmp_lt_u32 s6, s15
	s_cselect_b32 s15, -1, 0
	s_andn2_b32 s14, s14, exec_lo
	s_and_b32 s15, s15, exec_lo
	s_or_b32 s14, s14, s15
.LBB157_22:
	s_or_b32 exec_lo, exec_lo, s11
	v_mov_b32_e32 v6, 0
	v_mov_b32_e32 v7, 0
	s_and_saveexec_b32 s11, s14
	s_cbranch_execz .LBB157_26
; %bb.23:
	v_mad_u64_u32 v[6:7], null, s12, v0, 0
	s_mul_i32 s14, s12, s9
	s_mul_hi_u32 s15, s12, s8
	s_mul_i32 s12, s12, s8
	s_add_i32 s14, s15, s14
	v_mad_u64_u32 v[12:13], null, s13, v0, v[7:8]
	s_mul_i32 s13, s13, s8
	s_add_i32 s13, s14, s13
	s_lshl_b64 s[12:13], s[12:13], 3
	v_add_co_u32 v10, vcc_lo, v10, s12
	v_mov_b32_e32 v7, v12
	v_add_co_ci_u32_e64 v11, null, s13, v11, vcc_lo
	v_lshlrev_b32_e32 v12, 3, v0
	s_mov_b32 s12, exec_lo
	v_lshlrev_b64 v[6:7], 3, v[6:7]
	v_add_co_u32 v6, vcc_lo, v10, v6
	v_add_co_ci_u32_e64 v7, null, v11, v7, vcc_lo
	flat_load_dwordx2 v[10:11], v[6:7]
	v_mov_b32_e32 v6, 0
	v_mov_b32_e32 v7, 0
	s_waitcnt vmcnt(0) lgkmcnt(0)
	ds_write_b64 v12, v[10:11] offset:12288
	v_cmpx_neq_f64_e32 0, v[2:3]
	s_cbranch_execz .LBB157_25
; %bb.24:
	v_mad_u64_u32 v[6:7], null, s2, v0, 0
	v_mad_u64_u32 v[10:11], null, s3, v0, v[7:8]
	v_mov_b32_e32 v7, v10
	v_lshlrev_b64 v[6:7], 3, v[6:7]
	v_add_co_u32 v6, vcc_lo, v14, v6
	v_add_co_ci_u32_e64 v7, null, v15, v7, vcc_lo
	flat_load_dwordx2 v[6:7], v[6:7]
	s_waitcnt vmcnt(0) lgkmcnt(0)
	v_mul_f64 v[6:7], v[2:3], v[6:7]
.LBB157_25:
	s_or_b32 exec_lo, exec_lo, s12
.LBB157_26:
	s_or_b32 exec_lo, exec_lo, s11
.LBB157_27:
	s_or_b32 exec_lo, exec_lo, s10
	v_mad_u64_u32 v[10:11], null, s16, v1, 0
	s_add_u32 s10, s16, 1
	s_load_dword s11, s[4:5], 0x90
	s_addc_u32 s4, s17, 0
	s_mul_i32 s5, s10, s9
	s_mul_hi_u32 s9, s10, s8
	s_mul_i32 s12, s4, s8
	v_mad_u64_u32 v[11:12], null, s17, v1, v[11:12]
	s_add_i32 s5, s9, s5
	s_mul_i32 s4, s10, s8
	s_add_i32 s5, s5, s12
	v_lshlrev_b32_e32 v16, 3, v0
	s_lshl_b64 s[4:5], s[4:5], 3
	v_lshlrev_b32_e32 v17, 8, v1
	v_lshlrev_b64 v[12:13], 3, v[10:11]
	v_add_co_u32 v10, vcc_lo, v8, s4
	v_add_co_ci_u32_e64 v11, null, s5, v9, vcc_lo
	v_lshlrev_b32_e32 v18, 5, v1
	v_add_co_u32 v10, vcc_lo, v10, v12
	v_add_co_ci_u32_e64 v11, null, v11, v13, vcc_lo
	v_add_nc_u32_e32 v17, v16, v17
	v_add_co_u32 v10, vcc_lo, v10, v16
	v_add_co_ci_u32_e64 v11, null, 0, v11, vcc_lo
	s_waitcnt lgkmcnt(0)
	s_add_i32 s8, s11, -1
	s_mov_b32 s9, -1
	s_cmp_eq_u32 s6, s8
	s_cbranch_scc1 .LBB157_29
; %bb.28:
	s_lshl_b64 s[10:11], s[16:17], 6
	s_mov_b32 s9, 0
	v_add_co_u32 v19, vcc_lo, v10, s10
	v_add_co_ci_u32_e64 v20, null, s11, v11, vcc_lo
	v_add_co_u32 v21, vcc_lo, v19, s10
	v_add_co_ci_u32_e64 v22, null, s11, v20, vcc_lo
	;; [unrolled: 2-line block ×3, first 2 shown]
	s_clause 0x3
	flat_load_dwordx2 v[25:26], v[10:11]
	flat_load_dwordx2 v[19:20], v[19:20]
	;; [unrolled: 1-line block ×4, first 2 shown]
	s_waitcnt vmcnt(2) lgkmcnt(2)
	ds_write2st64_b64 v17, v[25:26], v[19:20] offset1:4
	s_waitcnt vmcnt(0) lgkmcnt(1)
	ds_write2st64_b64 v17, v[21:22], v[23:24] offset0:8 offset1:12
.LBB157_29:
	v_add_nc_u32_e32 v19, v18, v0
	s_andn2_b32 vcc_lo, exec_lo, s9
	s_cbranch_vccnz .LBB157_39
; %bb.30:
	s_mov_b32 s10, 0
	v_cmp_gt_i32_e32 vcc_lo, s7, v0
	s_mov_b32 s11, s10
	v_mov_b32_e32 v21, s11
	v_mov_b32_e32 v20, s10
	s_nor_b32 s9, s1, vcc_lo
	ds_write2st64_b64 v17, v[20:21], v[20:21] offset1:4
	ds_write2st64_b64 v17, v[20:21], v[20:21] offset0:8 offset1:12
	s_and_saveexec_b32 s1, s9
; %bb.31:
	v_mov_b32_e32 v20, 0
	v_mov_b32_e32 v21, v20
	ds_write_b64 v16, v[20:21] offset:12288
; %bb.32:
	s_or_b32 exec_lo, exec_lo, s1
	s_and_saveexec_b32 s1, vcc_lo
	s_cbranch_execz .LBB157_38
; %bb.33:
	s_cmp_lt_u32 s7, 8
	s_mov_b32 s9, 0
	s_cbranch_scc1 .LBB157_36
; %bb.34:
	v_add_co_u32 v12, vcc_lo, s4, v12
	v_add_co_ci_u32_e64 v13, null, s5, v13, vcc_lo
	s_lshr_b32 s9, s7, 3
	v_add_co_u32 v20, vcc_lo, v12, v16
	v_add_co_ci_u32_e64 v13, null, 0, v13, vcc_lo
	v_lshl_add_u32 v12, v18, 3, v16
	v_add_co_u32 v8, vcc_lo, v8, v20
	v_add_co_ci_u32_e64 v9, null, v9, v13, vcc_lo
	s_lshl_b64 s[4:5], s[16:17], 6
	s_mov_b32 s10, s9
.LBB157_35:                             ; =>This Inner Loop Header: Depth=1
	flat_load_dwordx2 v[20:21], v[8:9]
	v_add_co_u32 v8, vcc_lo, v8, s4
	v_add_co_ci_u32_e64 v9, null, s5, v9, vcc_lo
	s_add_i32 s10, s10, -1
	s_cmp_lg_u32 s10, 0
	s_waitcnt vmcnt(0) lgkmcnt(0)
	ds_write_b64 v12, v[20:21]
	v_add_nc_u32_e32 v12, 0x800, v12
	s_cbranch_scc1 .LBB157_35
.LBB157_36:
	s_and_b32 s4, s7, 7
	v_cmp_gt_u32_e32 vcc_lo, s4, v1
	s_and_b32 exec_lo, exec_lo, vcc_lo
	s_cbranch_execz .LBB157_38
; %bb.37:
	s_lshl_b32 s4, s9, 3
	s_mul_i32 s5, s17, s4
	s_mul_hi_u32 s10, s16, s4
	s_mul_i32 s4, s16, s4
	s_add_i32 s5, s10, s5
	s_lshl_b64 s[4:5], s[4:5], 3
	v_add_co_u32 v8, vcc_lo, v10, s4
	v_add_co_ci_u32_e64 v9, null, s5, v11, vcc_lo
	v_lshlrev_b32_e32 v10, 3, v19
	flat_load_dwordx2 v[8:9], v[8:9]
	v_lshl_add_u32 v10, s9, 11, v10
	s_waitcnt vmcnt(0) lgkmcnt(0)
	ds_write_b64 v10, v[8:9]
.LBB157_38:
	s_or_b32 exec_lo, exec_lo, s1
.LBB157_39:
	v_sub_nc_u32_e32 v8, v0, v1
	s_mov_b32 s1, exec_lo
	s_waitcnt lgkmcnt(0)
	s_waitcnt_vscnt null, 0x0
	s_barrier
	buffer_gl0_inv
	v_sub_nc_u32_e32 v9, 0, v8
	v_max_i32_e32 v9, v8, v9
	v_mad_u32_u24 v8, 0xf8, v0, v16
	v_lshl_add_u32 v8, v1, 3, v8
	v_cmpx_lt_u32_e32 16, v9
	s_cbranch_execz .LBB157_41
; %bb.40:
	ds_read_b64 v[10:11], v8 offset:128
	s_waitcnt lgkmcnt(0)
	ds_write_b64 v17, v[10:11] offset:4096
.LBB157_41:
	s_or_b32 exec_lo, exec_lo, s1
	s_mov_b32 s1, exec_lo
	v_cmpx_lt_u32_e32 24, v9
	s_cbranch_execz .LBB157_43
; %bb.42:
	ds_read_b64 v[10:11], v8 offset:192
	s_waitcnt lgkmcnt(0)
	ds_write_b64 v17, v[10:11] offset:6144
.LBB157_43:
	s_or_b32 exec_lo, exec_lo, s1
	s_mov_b32 s1, exec_lo
	v_cmpx_ge_u32_e64 v0, v1
	s_cbranch_execz .LBB157_45
; %bb.44:
	ds_read_b64 v[10:11], v8
	v_lshl_add_u32 v12, v18, 3, v16
	s_waitcnt lgkmcnt(0)
	ds_write_b64 v12, v[10:11]
.LBB157_45:
	s_or_b32 exec_lo, exec_lo, s1
	v_lshl_add_u32 v10, v1, 8, 0x800
	v_cmp_lt_u32_e32 vcc_lo, 8, v9
	v_add_nc_u32_e32 v9, v16, v10
	s_and_saveexec_b32 s1, vcc_lo
	s_cbranch_execz .LBB157_47
; %bb.46:
	ds_read_b64 v[10:11], v8 offset:64
	s_waitcnt lgkmcnt(0)
	ds_write_b64 v9, v[10:11]
.LBB157_47:
	s_or_b32 exec_lo, exec_lo, s1
	v_lshlrev_b32_e32 v8, 3, v1
	s_waitcnt lgkmcnt(0)
	s_barrier
	buffer_gl0_inv
	v_lshl_add_u32 v1, v1, 8, v16
	v_add_nc_u32_e32 v20, 0x3000, v8
	ds_read2_b64 v[10:13], v20 offset1:8
	ds_read_b64 v[17:18], v17
	ds_read_b64 v[8:9], v9
	s_waitcnt lgkmcnt(1)
	v_fma_f64 v[10:11], v[17:18], v[10:11], 0
	s_waitcnt lgkmcnt(0)
	v_fma_f64 v[12:13], v[8:9], v[12:13], v[10:11]
	ds_read2st64_b64 v[8:11], v1 offset0:8 offset1:12
	ds_read2_b64 v[20:23], v20 offset0:16 offset1:24
	v_lshlrev_b32_e32 v1, 3, v19
	s_waitcnt lgkmcnt(0)
	v_fma_f64 v[8:9], v[8:9], v[20:21], v[12:13]
	v_fma_f64 v[8:9], v[10:11], v[22:23], v[8:9]
	ds_write_b64 v1, v[8:9] offset:8192
	s_waitcnt lgkmcnt(0)
	s_barrier
	buffer_gl0_inv
	s_and_saveexec_b32 s1, s0
	s_cbranch_execz .LBB157_50
; %bb.48:
	v_cmp_gt_i32_e32 vcc_lo, s7, v0
	s_cmp_lt_u32 s6, s8
	s_cselect_b32 s0, -1, 0
	s_or_b32 s0, vcc_lo, s0
	s_and_b32 exec_lo, exec_lo, s0
	s_cbranch_execz .LBB157_50
; %bb.49:
	v_add_nc_u32_e32 v1, 0x2000, v16
	v_cmp_neq_f64_e32 vcc_lo, 0, v[2:3]
	ds_read2_b64 v[8:11], v1 offset1:32
	s_waitcnt lgkmcnt(0)
	v_add_f64 v[8:9], v[8:9], 0
	v_add_f64 v[12:13], v[8:9], v[10:11]
	ds_read2_b64 v[8:11], v1 offset0:64 offset1:96
	s_waitcnt lgkmcnt(0)
	v_add_f64 v[8:9], v[12:13], v[8:9]
	v_add_f64 v[12:13], v[8:9], v[10:11]
	ds_read2_b64 v[8:11], v1 offset0:128 offset1:160
	;; [unrolled: 4-line block ×3, first 2 shown]
	s_waitcnt lgkmcnt(0)
	v_add_f64 v[8:9], v[12:13], v[8:9]
	v_add_f64 v[8:9], v[8:9], v[10:11]
	v_mad_u64_u32 v[10:11], null, s2, v0, 0
	v_mov_b32_e32 v1, v11
	v_mad_u64_u32 v[0:1], null, s3, v0, v[1:2]
	v_mov_b32_e32 v11, v0
	v_mul_f64 v[12:13], v[4:5], v[8:9]
	v_fma_f64 v[4:5], v[4:5], v[8:9], v[6:7]
	v_lshlrev_b64 v[0:1], 3, v[10:11]
	v_cndmask_b32_e32 v3, v13, v5, vcc_lo
	v_cndmask_b32_e32 v2, v12, v4, vcc_lo
	v_add_co_u32 v0, vcc_lo, v14, v0
	v_add_co_ci_u32_e64 v1, null, v15, v1, vcc_lo
	flat_store_dwordx2 v[0:1], v[2:3]
.LBB157_50:
	s_endpgm
	.section	.rodata,"a",@progbits
	.p2align	6, 0x0
	.amdhsa_kernel _ZL58rocblas_symv_kernel_upper_double_buffered_diagonal_genericILi32ELi8E24rocblas_internal_val_ptrIdEPKPKdPKPdEvbiT1_lT2_lllSA_lllS9_lT3_lllii
		.amdhsa_group_segment_fixed_size 12544
		.amdhsa_private_segment_fixed_size 0
		.amdhsa_kernarg_size 400
		.amdhsa_user_sgpr_count 6
		.amdhsa_user_sgpr_private_segment_buffer 1
		.amdhsa_user_sgpr_dispatch_ptr 0
		.amdhsa_user_sgpr_queue_ptr 0
		.amdhsa_user_sgpr_kernarg_segment_ptr 1
		.amdhsa_user_sgpr_dispatch_id 0
		.amdhsa_user_sgpr_flat_scratch_init 0
		.amdhsa_user_sgpr_private_segment_size 0
		.amdhsa_wavefront_size32 1
		.amdhsa_uses_dynamic_stack 0
		.amdhsa_system_sgpr_private_segment_wavefront_offset 0
		.amdhsa_system_sgpr_workgroup_id_x 1
		.amdhsa_system_sgpr_workgroup_id_y 0
		.amdhsa_system_sgpr_workgroup_id_z 1
		.amdhsa_system_sgpr_workgroup_info 0
		.amdhsa_system_vgpr_workitem_id 1
		.amdhsa_next_free_vgpr 27
		.amdhsa_next_free_sgpr 20
		.amdhsa_reserve_vcc 1
		.amdhsa_reserve_flat_scratch 1
		.amdhsa_float_round_mode_32 0
		.amdhsa_float_round_mode_16_64 0
		.amdhsa_float_denorm_mode_32 3
		.amdhsa_float_denorm_mode_16_64 3
		.amdhsa_dx10_clamp 1
		.amdhsa_ieee_mode 1
		.amdhsa_fp16_overflow 0
		.amdhsa_workgroup_processor_mode 1
		.amdhsa_memory_ordered 1
		.amdhsa_forward_progress 1
		.amdhsa_shared_vgpr_count 0
		.amdhsa_exception_fp_ieee_invalid_op 0
		.amdhsa_exception_fp_denorm_src 0
		.amdhsa_exception_fp_ieee_div_zero 0
		.amdhsa_exception_fp_ieee_overflow 0
		.amdhsa_exception_fp_ieee_underflow 0
		.amdhsa_exception_fp_ieee_inexact 0
		.amdhsa_exception_int_div_zero 0
	.end_amdhsa_kernel
	.section	.text._ZL58rocblas_symv_kernel_upper_double_buffered_diagonal_genericILi32ELi8E24rocblas_internal_val_ptrIdEPKPKdPKPdEvbiT1_lT2_lllSA_lllS9_lT3_lllii,"axG",@progbits,_ZL58rocblas_symv_kernel_upper_double_buffered_diagonal_genericILi32ELi8E24rocblas_internal_val_ptrIdEPKPKdPKPdEvbiT1_lT2_lllSA_lllS9_lT3_lllii,comdat
.Lfunc_end157:
	.size	_ZL58rocblas_symv_kernel_upper_double_buffered_diagonal_genericILi32ELi8E24rocblas_internal_val_ptrIdEPKPKdPKPdEvbiT1_lT2_lllSA_lllS9_lT3_lllii, .Lfunc_end157-_ZL58rocblas_symv_kernel_upper_double_buffered_diagonal_genericILi32ELi8E24rocblas_internal_val_ptrIdEPKPKdPKPdEvbiT1_lT2_lllSA_lllS9_lT3_lllii
                                        ; -- End function
	.set _ZL58rocblas_symv_kernel_upper_double_buffered_diagonal_genericILi32ELi8E24rocblas_internal_val_ptrIdEPKPKdPKPdEvbiT1_lT2_lllSA_lllS9_lT3_lllii.num_vgpr, 27
	.set _ZL58rocblas_symv_kernel_upper_double_buffered_diagonal_genericILi32ELi8E24rocblas_internal_val_ptrIdEPKPKdPKPdEvbiT1_lT2_lllSA_lllS9_lT3_lllii.num_agpr, 0
	.set _ZL58rocblas_symv_kernel_upper_double_buffered_diagonal_genericILi32ELi8E24rocblas_internal_val_ptrIdEPKPKdPKPdEvbiT1_lT2_lllSA_lllS9_lT3_lllii.numbered_sgpr, 20
	.set _ZL58rocblas_symv_kernel_upper_double_buffered_diagonal_genericILi32ELi8E24rocblas_internal_val_ptrIdEPKPKdPKPdEvbiT1_lT2_lllSA_lllS9_lT3_lllii.num_named_barrier, 0
	.set _ZL58rocblas_symv_kernel_upper_double_buffered_diagonal_genericILi32ELi8E24rocblas_internal_val_ptrIdEPKPKdPKPdEvbiT1_lT2_lllSA_lllS9_lT3_lllii.private_seg_size, 0
	.set _ZL58rocblas_symv_kernel_upper_double_buffered_diagonal_genericILi32ELi8E24rocblas_internal_val_ptrIdEPKPKdPKPdEvbiT1_lT2_lllSA_lllS9_lT3_lllii.uses_vcc, 1
	.set _ZL58rocblas_symv_kernel_upper_double_buffered_diagonal_genericILi32ELi8E24rocblas_internal_val_ptrIdEPKPKdPKPdEvbiT1_lT2_lllSA_lllS9_lT3_lllii.uses_flat_scratch, 1
	.set _ZL58rocblas_symv_kernel_upper_double_buffered_diagonal_genericILi32ELi8E24rocblas_internal_val_ptrIdEPKPKdPKPdEvbiT1_lT2_lllSA_lllS9_lT3_lllii.has_dyn_sized_stack, 0
	.set _ZL58rocblas_symv_kernel_upper_double_buffered_diagonal_genericILi32ELi8E24rocblas_internal_val_ptrIdEPKPKdPKPdEvbiT1_lT2_lllSA_lllS9_lT3_lllii.has_recursion, 0
	.set _ZL58rocblas_symv_kernel_upper_double_buffered_diagonal_genericILi32ELi8E24rocblas_internal_val_ptrIdEPKPKdPKPdEvbiT1_lT2_lllSA_lllS9_lT3_lllii.has_indirect_call, 0
	.section	.AMDGPU.csdata,"",@progbits
; Kernel info:
; codeLenInByte = 2244
; TotalNumSgprs: 22
; NumVgprs: 27
; ScratchSize: 0
; MemoryBound: 0
; FloatMode: 240
; IeeeMode: 1
; LDSByteSize: 12544 bytes/workgroup (compile time only)
; SGPRBlocks: 0
; VGPRBlocks: 3
; NumSGPRsForWavesPerEU: 22
; NumVGPRsForWavesPerEU: 27
; Occupancy: 16
; WaveLimiterHint : 1
; COMPUTE_PGM_RSRC2:SCRATCH_EN: 0
; COMPUTE_PGM_RSRC2:USER_SGPR: 6
; COMPUTE_PGM_RSRC2:TRAP_HANDLER: 0
; COMPUTE_PGM_RSRC2:TGID_X_EN: 1
; COMPUTE_PGM_RSRC2:TGID_Y_EN: 0
; COMPUTE_PGM_RSRC2:TGID_Z_EN: 1
; COMPUTE_PGM_RSRC2:TIDIG_COMP_CNT: 1
	.section	.text._ZL62rocblas_symv_kernel_upper_double_buffered_non_diagonal_genericILi32ELi8ELi2ELi0E24rocblas_internal_val_ptrIdEPKPKdPKPdEvbiT3_lT4_lllSA_lllT5_lllii,"axG",@progbits,_ZL62rocblas_symv_kernel_upper_double_buffered_non_diagonal_genericILi32ELi8ELi2ELi0E24rocblas_internal_val_ptrIdEPKPKdPKPdEvbiT3_lT4_lllSA_lllT5_lllii,comdat
	.globl	_ZL62rocblas_symv_kernel_upper_double_buffered_non_diagonal_genericILi32ELi8ELi2ELi0E24rocblas_internal_val_ptrIdEPKPKdPKPdEvbiT3_lT4_lllSA_lllT5_lllii ; -- Begin function _ZL62rocblas_symv_kernel_upper_double_buffered_non_diagonal_genericILi32ELi8ELi2ELi0E24rocblas_internal_val_ptrIdEPKPKdPKPdEvbiT3_lT4_lllSA_lllT5_lllii
	.p2align	8
	.type	_ZL62rocblas_symv_kernel_upper_double_buffered_non_diagonal_genericILi32ELi8ELi2ELi0E24rocblas_internal_val_ptrIdEPKPKdPKPdEvbiT3_lT4_lllSA_lllT5_lllii,@function
_ZL62rocblas_symv_kernel_upper_double_buffered_non_diagonal_genericILi32ELi8ELi2ELi0E24rocblas_internal_val_ptrIdEPKPKdPKPdEvbiT3_lT4_lllSA_lllT5_lllii: ; @_ZL62rocblas_symv_kernel_upper_double_buffered_non_diagonal_genericILi32ELi8ELi2ELi0E24rocblas_internal_val_ptrIdEPKPKdPKPdEvbiT3_lT4_lllSA_lllT5_lllii
; %bb.0:
	s_clause 0x2
	s_load_dword s0, s[4:5], 0x0
	s_load_dwordx8 s[12:19], s[4:5], 0x8
	s_load_dwordx2 s[20:21], s[4:5], 0x28
	s_waitcnt lgkmcnt(0)
	s_bitcmp1_b32 s0, 0
	v_mov_b32_e32 v14, s13
	v_mov_b32_e32 v13, s12
	s_cselect_b32 s0, -1, 0
	s_and_b32 vcc_lo, exec_lo, s0
	s_cbranch_vccnz .LBB158_2
; %bb.1:
	s_mul_i32 s0, s15, s8
	s_mul_hi_u32 s1, s14, s8
	s_add_i32 s1, s1, s0
	s_mul_i32 s0, s14, s8
	s_lshl_b64 s[0:1], s[0:1], 3
	s_add_u32 s0, s12, s0
	s_addc_u32 s1, s13, s1
	v_mov_b32_e32 v3, s1
	v_mov_b32_e32 v2, s0
	flat_load_dwordx2 v[13:14], v[2:3]
.LBB158_2:
	s_mov_b32 s0, exec_lo
	s_waitcnt vmcnt(0) lgkmcnt(0)
	v_cmpx_neq_f64_e32 0, v[13:14]
	s_cbranch_execz .LBB158_46
; %bb.3:
	s_load_dword s15, s[4:5], 0x84
	s_add_u32 s10, s4, 0x80
	s_addc_u32 s11, s5, 0
	s_cmp_eq_u32 s6, 0
	s_mov_b32 s9, 0
	s_waitcnt lgkmcnt(0)
	v_cvt_f32_u32_e32 v2, s15
	v_rcp_iflag_f32_e32 v2, v2
	v_mul_f32_e32 v2, 0x4f7ffffe, v2
	v_cvt_u32_f32_e32 v2, v2
	v_readfirstlane_b32 s12, v2
	s_cbranch_scc1 .LBB158_46
; %bb.4:
	s_clause 0x1
	s_load_dwordx4 s[0:3], s[4:5], 0x38
	s_load_dwordx2 s[22:23], s[4:5], 0x58
	s_sub_i32 s13, 0, s15
	s_lshl_b64 s[24:25], s[8:9], 3
	s_mul_i32 s13, s13, s12
	s_mul_hi_u32 s13, s12, s13
	s_add_i32 s12, s12, s13
	s_add_u32 s8, s16, s24
	s_mul_hi_u32 s14, s6, s12
	s_addc_u32 s9, s17, s25
	s_mul_i32 s16, s14, s15
	s_waitcnt lgkmcnt(0)
	s_add_u32 s12, s0, s24
	s_addc_u32 s13, s1, s25
	s_add_u32 s0, s22, s24
	s_addc_u32 s1, s23, s25
	s_sub_i32 s16, s6, s16
	s_add_i32 s17, s14, 1
	s_sub_i32 s22, s16, s15
	s_cmp_ge_u32 s16, s15
	s_cselect_b32 s14, s17, s14
	s_cselect_b32 s16, s22, s16
	s_add_i32 s17, s14, 1
	s_cmp_ge_u32 s16, s15
	s_cselect_b32 s14, s17, s14
	s_add_i32 s16, s15, -1
	s_mov_b32 s25, s14
	s_cmp_lg_u32 s7, s16
	s_cbranch_scc1 .LBB158_6
; %bb.5:
	s_mul_i32 s15, s14, s15
	s_sub_i32 s15, s6, s15
	s_add_i32 s25, s15, s14
.LBB158_6:
	s_cmp_eq_u32 s25, 0
	s_cbranch_scc1 .LBB158_46
; %bb.7:
	s_load_dwordx2 s[16:17], s[12:13], 0x0
	s_load_dwordx2 s[12:13], s[4:5], 0x48
	s_load_dword s22, s[10:11], 0x0
	s_load_dwordx2 s[8:9], s[8:9], 0x0
	s_lshl_b64 s[10:11], s[2:3], 3
	s_load_dwordx2 s[2:3], s[0:1], 0x0
	v_lshl_add_u32 v2, v1, 5, v0
	v_and_b32_e32 v15, 15, v0
	v_lshrrev_b32_e32 v5, 4, v2
	s_waitcnt lgkmcnt(0)
	s_add_u32 s26, s16, s10
	s_addc_u32 s27, s17, s11
	s_lshl_b32 s1, s6, 5
	s_load_dword s17, s[4:5], 0x78
	s_ashr_i32 s16, s1, 31
	s_mul_hi_u32 s0, s12, s1
	s_mul_i32 s10, s12, s16
	s_mul_i32 s11, s13, s1
	s_add_i32 s0, s0, s10
	s_mul_i32 s10, s12, s1
	s_add_i32 s11, s0, s11
	v_cmp_eq_u32_e64 s0, 0, v1
	s_lshl_b64 s[10:11], s[10:11], 3
	s_add_u32 s15, s26, s10
	s_addc_u32 s23, s27, s11
	s_add_i32 s22, s22, -1
	s_mov_b32 s10, -1
	s_cmp_lg_u32 s6, s22
	s_cselect_b32 s24, -1, 0
	s_and_b32 vcc_lo, exec_lo, s24
	s_cbranch_vccnz .LBB158_13
; %bb.8:
	s_and_saveexec_b32 s10, s0
	s_cbranch_execz .LBB158_12
; %bb.9:
	v_mov_b32_e32 v1, 0
	v_mov_b32_e32 v2, 0
	s_mov_b32 s11, exec_lo
	s_waitcnt lgkmcnt(0)
	v_cmpx_gt_i32_e64 s17, v0
	s_cbranch_execz .LBB158_11
; %bb.10:
	v_mad_u64_u32 v[1:2], null, s12, v0, 0
	v_mad_u64_u32 v[2:3], null, s13, v0, v[2:3]
	v_lshlrev_b64 v[1:2], 3, v[1:2]
	v_add_co_u32 v1, vcc_lo, s15, v1
	v_add_co_ci_u32_e64 v2, null, s23, v2, vcc_lo
	flat_load_dwordx2 v[1:2], v[1:2]
.LBB158_11:
	s_or_b32 exec_lo, exec_lo, s11
	v_lshlrev_b32_e32 v3, 3, v0
	s_waitcnt vmcnt(0) lgkmcnt(0)
	ds_write_b64 v3, v[1:2] offset:8192
.LBB158_12:
	s_or_b32 exec_lo, exec_lo, s10
	v_lshlrev_b32_e32 v1, 3, v15
	s_mov_b32 s10, 0
	s_mov_b32 s11, s10
	v_lshl_or_b32 v3, v5, 8, v1
	v_mov_b32_e32 v1, s10
	v_mov_b32_e32 v2, s11
	v_add_nc_u32_e32 v4, 0x1000, v3
	ds_write2_b64 v3, v[1:2], v[1:2] offset1:16
	ds_write2_b64 v4, v[1:2], v[1:2] offset1:16
.LBB158_13:
	s_and_b32 vcc_lo, exec_lo, s10
	s_cbranch_vccz .LBB158_17
; %bb.14:
	s_and_saveexec_b32 s10, s0
	s_cbranch_execz .LBB158_16
; %bb.15:
	v_mad_u64_u32 v[1:2], null, s12, v0, 0
	v_mad_u64_u32 v[2:3], null, s13, v0, v[2:3]
	v_lshlrev_b32_e32 v3, 3, v0
	v_lshlrev_b64 v[1:2], 3, v[1:2]
	v_add_co_u32 v1, vcc_lo, s15, v1
	v_add_co_ci_u32_e64 v2, null, s23, v2, vcc_lo
	flat_load_dwordx2 v[1:2], v[1:2]
	s_waitcnt vmcnt(0) lgkmcnt(0)
	ds_write_b64 v3, v[1:2] offset:8192
.LBB158_16:
	s_or_b32 exec_lo, exec_lo, s10
.LBB158_17:
	v_lshlrev_b32_e32 v7, 1, v5
	v_mov_b32_e32 v16, 0
	s_waitcnt lgkmcnt(0)
	s_lshr_b32 s15, s17, 31
	s_lshl_b64 s[10:11], s[18:19], 3
	s_add_i32 s15, s17, s15
	s_mul_i32 s18, s20, s16
	v_mad_u64_u32 v[8:9], null, s20, v7, v[15:16]
	s_ashr_i32 s28, s15, 1
	s_add_u32 s10, s8, s10
	s_mul_hi_u32 s8, s20, s1
	s_addc_u32 s11, s9, s11
	s_add_i32 s8, s8, s18
	s_mul_i32 s9, s21, s1
	v_mov_b32_e32 v1, v9
	s_add_i32 s9, s8, s9
	s_mul_i32 s8, s20, s1
	s_mul_i32 s7, s7, s14
	s_lshl_b64 s[8:9], s[8:9], 3
	v_mad_u64_u32 v[1:2], null, s21, v7, v[1:2]
	s_add_u32 s10, s10, s8
	s_addc_u32 s11, s11, s9
	s_lshl_b32 s14, s7, 5
	v_cmp_gt_i32_e32 vcc_lo, s28, v5
	s_ashr_i32 s15, s14, 31
	v_mov_b32_e32 v2, v16
	v_mov_b32_e32 v9, v1
	s_lshl_b64 s[8:9], s[14:15], 3
	v_mov_b32_e32 v1, v16
	v_mov_b32_e32 v3, v16
	;; [unrolled: 1-line block ×3, first 2 shown]
	v_lshlrev_b64 v[17:18], 3, v[8:9]
	s_add_u32 s19, s10, s8
	s_addc_u32 s23, s11, s9
	s_or_b32 s24, s24, vcc_lo
	s_barrier
	buffer_gl0_inv
	s_and_saveexec_b32 s7, s24
	s_cbranch_execz .LBB158_19
; %bb.18:
	v_add_co_u32 v1, vcc_lo, s19, v17
	v_add_co_ci_u32_e64 v2, null, s23, v18, vcc_lo
	s_lshl_b64 s[8:9], s[20:21], 3
	v_add_co_u32 v3, vcc_lo, v1, s8
	v_add_co_ci_u32_e64 v4, null, s9, v2, vcc_lo
	s_clause 0x1
	flat_load_dwordx2 v[1:2], v[1:2]
	flat_load_dwordx2 v[3:4], v[3:4]
.LBB158_19:
	s_or_b32 exec_lo, exec_lo, s7
	s_load_dwordx4 s[8:11], s[4:5], 0x60
	v_lshlrev_b32_e32 v45, 8, v5
	s_waitcnt lgkmcnt(0)
	s_lshl_b64 s[4:5], s[8:9], 3
	s_add_u32 s7, s2, s4
	s_addc_u32 s18, s3, s5
	s_cmp_gt_i32 s25, 0
	s_cbranch_scc1 .LBB158_21
; %bb.20:
	v_lshlrev_b32_e32 v8, 8, v5
	s_mov_b32 s2, 0
	s_branch .LBB158_22
.LBB158_21:
	s_mov_b32 s2, -1
                                        ; implicit-def: $vgpr8
.LBB158_22:
	v_mov_b32_e32 v5, 0
	v_mov_b32_e32 v11, 0
	;; [unrolled: 1-line block ×4, first 2 shown]
	s_andn2_b32 vcc_lo, exec_lo, s2
	s_cbranch_vccnz .LBB158_42
; %bb.23:
	v_mad_u64_u32 v[5:6], null, s12, v15, 0
	s_mul_i32 s2, s12, s15
	s_mul_hi_u32 s3, s12, s14
	s_mul_i32 s4, s13, s14
	s_add_i32 s3, s3, s2
	s_mul_i32 s2, s12, s14
	s_add_i32 s3, s3, s4
	v_mad_u64_u32 v[8:9], null, s13, v15, v[6:7]
	s_lshl_b64 s[2:3], s[2:3], 3
	v_or_b32_e32 v10, 16, v15
	s_add_u32 s26, s26, s2
	s_addc_u32 s27, s27, s3
	s_mul_i32 s2, s10, s15
	s_mul_hi_u32 s3, s10, s14
	v_mov_b32_e32 v6, v8
	v_mad_u64_u32 v[8:9], null, s10, v0, 0
	s_add_i32 s2, s3, s2
	s_mul_i32 s3, s11, s14
	v_lshlrev_b64 v[31:32], 3, v[5:6]
	s_add_i32 s3, s2, s3
	s_mul_i32 s2, s10, s14
	v_mov_b32_e32 v19, 0
	s_lshl_b64 s[2:3], s[2:3], 3
	v_lshl_add_u32 v47, v7, 3, 0x2000
	v_add_co_u32 v5, vcc_lo, s26, v31
	v_add_co_ci_u32_e64 v6, null, s27, v32, vcc_lo
	v_lshlrev_b32_e32 v16, 3, v0
	v_mov_b32_e32 v20, 0
	s_add_u32 s8, s7, s2
	flat_load_dwordx2 v[35:36], v[5:6]
	v_mad_u64_u32 v[5:6], null, s12, v10, 0
	s_addc_u32 s9, s18, s3
	s_cmp_eq_u32 s25, 1
	v_mad_u64_u32 v[10:11], null, s13, v10, v[6:7]
	v_mad_u64_u32 v[11:12], null, s11, v0, v[9:10]
	v_mov_b32_e32 v6, v10
	v_lshlrev_b32_e32 v12, 3, v15
	v_lshlrev_b64 v[33:34], 3, v[5:6]
	v_mov_b32_e32 v9, v11
	v_add_nc_u32_e32 v46, v12, v45
	v_lshlrev_b64 v[23:24], 3, v[8:9]
	s_cbranch_scc1 .LBB158_35
; %bb.24:
	v_mov_b32_e32 v27, 0
	v_mov_b32_e32 v26, s9
	v_mov_b32_e32 v29, 0
	v_mov_b32_e32 v21, 0
	v_mov_b32_e32 v19, 0
	v_mov_b32_e32 v28, 0
	v_mov_b32_e32 v25, s8
	v_mov_b32_e32 v30, 0
	v_mov_b32_e32 v22, 0
	v_mov_b32_e32 v20, 0
	v_add_nc_u32_e32 v48, 0x800, v16
	s_lshl_b64 s[2:3], s[12:13], 8
	s_lshl_b64 s[4:5], s[10:11], 8
	s_add_i32 s12, s25, -2
	s_mov_b32 s13, 0
	s_lshl_b64 s[8:9], s[20:21], 3
.LBB158_25:                             ; =>This Loop Header: Depth=1
                                        ;     Child Loop BB158_31 Depth 2
	v_add_co_u32 v5, vcc_lo, s26, v33
	v_add_co_ci_u32_e64 v6, null, s27, v34, vcc_lo
	flat_load_dwordx2 v[39:40], v[5:6]
	s_and_saveexec_b32 s14, s24
	s_cbranch_execz .LBB158_27
; %bb.26:                               ;   in Loop: Header=BB158_25 Depth=1
	v_add_co_u32 v5, vcc_lo, s19, v17
	v_add_co_ci_u32_e64 v6, null, s23, v18, vcc_lo
	v_add_co_u32 v7, vcc_lo, v5, s8
	v_add_co_ci_u32_e64 v8, null, s9, v6, vcc_lo
	s_clause 0x1
	flat_load_dwordx2 v[21:22], v[5:6] offset:128
	flat_load_dwordx2 v[19:20], v[7:8] offset:128
.LBB158_27:                             ;   in Loop: Header=BB158_25 Depth=1
	s_or_b32 exec_lo, exec_lo, s14
	ds_read_b128 v[9:12], v47
	s_waitcnt vmcnt(2)
	v_mov_b32_e32 v8, v4
	v_mov_b32_e32 v7, v3
	;; [unrolled: 1-line block ×4, first 2 shown]
	s_and_saveexec_b32 s14, s24
	s_cbranch_execz .LBB158_29
; %bb.28:                               ;   in Loop: Header=BB158_25 Depth=1
	v_add_co_u32 v5, vcc_lo, s19, v17
	v_add_co_ci_u32_e64 v6, null, s23, v18, vcc_lo
	v_add_co_u32 v7, vcc_lo, v5, s8
	v_add_co_ci_u32_e64 v8, null, s9, v6, vcc_lo
	s_clause 0x1
	flat_load_dwordx2 v[5:6], v[5:6] offset:256
	flat_load_dwordx2 v[7:8], v[7:8] offset:256
.LBB158_29:                             ;   in Loop: Header=BB158_25 Depth=1
	s_or_b32 exec_lo, exec_lo, s14
	s_add_u32 s26, s26, s2
	s_addc_u32 s27, s27, s3
	v_add_co_u32 v37, vcc_lo, s26, v31
	v_add_co_ci_u32_e64 v38, null, s27, v32, vcc_lo
	s_waitcnt lgkmcnt(0)
	v_fma_f64 v[41:42], v[1:2], v[9:10], 0
	s_waitcnt vmcnt(1)
	v_fma_f64 v[9:10], v[21:22], v[9:10], 0
	flat_load_dwordx2 v[37:38], v[37:38]
	s_waitcnt vmcnt(0) lgkmcnt(0)
	s_barrier
	buffer_gl0_inv
	v_fma_f64 v[41:42], v[3:4], v[11:12], v[41:42]
	v_fma_f64 v[9:10], v[19:20], v[11:12], v[9:10]
	ds_write2_b64 v46, v[41:42], v[9:10] offset1:16
	s_waitcnt lgkmcnt(0)
	s_barrier
	buffer_gl0_inv
	s_and_saveexec_b32 s14, s0
	s_cbranch_execz .LBB158_33
; %bb.30:                               ;   in Loop: Header=BB158_25 Depth=1
	ds_read2_b64 v[9:12], v16 offset1:32
	ds_read2_b64 v[41:44], v16 offset0:64 offset1:96
	ds_read2_b64 v[49:52], v16 offset0:128 offset1:160
	s_mov_b32 s15, 0
	s_waitcnt lgkmcnt(2)
	v_add_f64 v[9:10], v[9:10], 0
	v_add_f64 v[9:10], v[9:10], v[11:12]
	s_waitcnt lgkmcnt(1)
	v_add_f64 v[9:10], v[9:10], v[41:42]
	v_add_co_u32 v41, vcc_lo, v25, v23
	v_add_co_ci_u32_e64 v42, null, v26, v24, vcc_lo
	flat_load_dwordx2 v[11:12], v[41:42]
	v_add_f64 v[9:10], v[9:10], v[43:44]
	s_waitcnt lgkmcnt(1)
	v_add_f64 v[9:10], v[9:10], v[49:50]
	v_add_f64 v[9:10], v[9:10], v[51:52]
	ds_read2_b64 v[49:52], v16 offset0:192 offset1:224
	s_waitcnt lgkmcnt(0)
	v_add_f64 v[9:10], v[9:10], v[49:50]
	v_add_f64 v[9:10], v[9:10], v[51:52]
	ds_read2_b64 v[49:52], v48 offset1:32
	s_waitcnt lgkmcnt(0)
	v_add_f64 v[9:10], v[9:10], v[49:50]
	v_add_f64 v[9:10], v[9:10], v[51:52]
	ds_read2_b64 v[49:52], v48 offset0:64 offset1:96
	s_waitcnt lgkmcnt(0)
	v_add_f64 v[9:10], v[9:10], v[49:50]
	v_add_f64 v[9:10], v[9:10], v[51:52]
	ds_read2_b64 v[49:52], v48 offset0:128 offset1:160
	;; [unrolled: 4-line block ×3, first 2 shown]
	s_waitcnt lgkmcnt(0)
	v_add_f64 v[9:10], v[9:10], v[49:50]
	v_add_f64 v[9:10], v[9:10], v[51:52]
	v_mul_f64 v[43:44], v[13:14], v[9:10]
.LBB158_31:                             ;   Parent Loop BB158_25 Depth=1
                                        ; =>  This Inner Loop Header: Depth=2
	s_waitcnt vmcnt(0)
	v_add_f64 v[9:10], v[11:12], v[43:44]
	flat_atomic_cmpswap_x2 v[9:10], v[41:42], v[9:12] glc
	s_waitcnt vmcnt(0) lgkmcnt(0)
	v_cmp_eq_u64_e32 vcc_lo, v[9:10], v[11:12]
	v_mov_b32_e32 v12, v10
	v_mov_b32_e32 v11, v9
	s_or_b32 s15, vcc_lo, s15
	s_andn2_b32 exec_lo, exec_lo, s15
	s_cbranch_execnz .LBB158_31
; %bb.32:                               ;   in Loop: Header=BB158_25 Depth=1
	s_or_b32 exec_lo, exec_lo, s15
	v_add_co_u32 v25, vcc_lo, v25, s4
	v_add_co_ci_u32_e64 v26, null, s5, v26, vcc_lo
.LBB158_33:                             ;   in Loop: Header=BB158_25 Depth=1
	s_or_b32 exec_lo, exec_lo, s14
	v_fma_f64 v[1:2], v[35:36], v[1:2], v[27:28]
	v_fma_f64 v[3:4], v[35:36], v[3:4], v[29:30]
	s_add_u32 s19, s19, 0x100
	s_addc_u32 s23, s23, 0
	s_add_i32 s14, s13, 1
	s_cmp_eq_u32 s13, s12
	v_fma_f64 v[27:28], v[39:40], v[21:22], v[1:2]
	v_fma_f64 v[29:30], v[39:40], v[19:20], v[3:4]
	s_cbranch_scc1 .LBB158_36
; %bb.34:                               ;   in Loop: Header=BB158_25 Depth=1
	v_mov_b32_e32 v35, v37
	v_mov_b32_e32 v1, v5
	;; [unrolled: 1-line block ×6, first 2 shown]
	s_mov_b32 s13, s14
	s_branch .LBB158_25
.LBB158_35:
	v_mov_b32_e32 v26, s9
	v_mov_b32_e32 v21, 0
	;; [unrolled: 1-line block ×4, first 2 shown]
	s_waitcnt vmcnt(1)
	v_mov_b32_e32 v8, v4
	s_waitcnt vmcnt(0) lgkmcnt(0)
	v_mov_b32_e32 v38, v36
	v_mov_b32_e32 v25, s8
	;; [unrolled: 1-line block ×9, first 2 shown]
.LBB158_36:
	v_add_co_u32 v1, vcc_lo, s26, v33
	v_add_co_ci_u32_e64 v2, null, s27, v34, vcc_lo
	flat_load_dwordx2 v[9:10], v[1:2]
	s_and_saveexec_b32 s2, s24
	s_cbranch_execz .LBB158_38
; %bb.37:
	v_add_co_u32 v1, vcc_lo, s19, v17
	v_add_co_ci_u32_e64 v2, null, s23, v18, vcc_lo
	s_lshl_b64 s[4:5], s[20:21], 3
	v_add_co_u32 v3, vcc_lo, v1, s4
	v_add_co_ci_u32_e64 v4, null, s5, v2, vcc_lo
	s_clause 0x1
	flat_load_dwordx2 v[21:22], v[1:2] offset:128
	flat_load_dwordx2 v[19:20], v[3:4] offset:128
.LBB158_38:
	s_or_b32 exec_lo, exec_lo, s2
	ds_read_b128 v[1:4], v47
	s_waitcnt vmcnt(0) lgkmcnt(0)
	s_barrier
	buffer_gl0_inv
	v_fma_f64 v[11:12], v[5:6], v[1:2], 0
	v_fma_f64 v[1:2], v[21:22], v[1:2], 0
	v_fma_f64 v[5:6], v[37:38], v[5:6], v[27:28]
	v_fma_f64 v[11:12], v[7:8], v[3:4], v[11:12]
	v_fma_f64 v[1:2], v[19:20], v[3:4], v[1:2]
	v_fma_f64 v[7:8], v[37:38], v[7:8], v[29:30]
	ds_write2_b64 v46, v[11:12], v[1:2] offset1:16
	s_waitcnt lgkmcnt(0)
	s_barrier
	buffer_gl0_inv
	s_and_saveexec_b32 s2, s0
	s_cbranch_execz .LBB158_41
; %bb.39:
	ds_read2_b64 v[1:4], v16 offset1:32
	ds_read2_b64 v[27:30], v16 offset0:64 offset1:96
	v_add_co_u32 v11, vcc_lo, v25, v23
	v_add_co_ci_u32_e64 v12, null, v26, v24, vcc_lo
	ds_read2_b64 v[23:26], v16 offset0:128 offset1:160
	s_mov_b32 s3, 0
	s_waitcnt lgkmcnt(2)
	v_add_f64 v[1:2], v[1:2], 0
	v_add_f64 v[1:2], v[1:2], v[3:4]
	flat_load_dwordx2 v[3:4], v[11:12]
	s_waitcnt lgkmcnt(2)
	v_add_f64 v[1:2], v[1:2], v[27:28]
	v_add_f64 v[1:2], v[1:2], v[29:30]
	s_waitcnt lgkmcnt(1)
	v_add_f64 v[1:2], v[1:2], v[23:24]
	v_add_f64 v[1:2], v[1:2], v[25:26]
	ds_read2_b64 v[23:26], v16 offset0:192 offset1:224
	v_add_nc_u32_e32 v16, 0x800, v16
	s_waitcnt lgkmcnt(0)
	v_add_f64 v[1:2], v[1:2], v[23:24]
	v_add_f64 v[1:2], v[1:2], v[25:26]
	ds_read2_b64 v[23:26], v16 offset1:32
	s_waitcnt lgkmcnt(0)
	v_add_f64 v[1:2], v[1:2], v[23:24]
	v_add_f64 v[1:2], v[1:2], v[25:26]
	ds_read2_b64 v[23:26], v16 offset0:64 offset1:96
	s_waitcnt lgkmcnt(0)
	v_add_f64 v[1:2], v[1:2], v[23:24]
	v_add_f64 v[1:2], v[1:2], v[25:26]
	ds_read2_b64 v[23:26], v16 offset0:128 offset1:160
	;; [unrolled: 4-line block ×3, first 2 shown]
	s_waitcnt lgkmcnt(0)
	v_add_f64 v[1:2], v[1:2], v[23:24]
	v_add_f64 v[1:2], v[1:2], v[25:26]
	v_mul_f64 v[16:17], v[13:14], v[1:2]
.LBB158_40:                             ; =>This Inner Loop Header: Depth=1
	s_waitcnt vmcnt(0)
	v_add_f64 v[1:2], v[3:4], v[16:17]
	flat_atomic_cmpswap_x2 v[1:2], v[11:12], v[1:4] glc
	s_waitcnt vmcnt(0) lgkmcnt(0)
	v_cmp_eq_u64_e32 vcc_lo, v[1:2], v[3:4]
	v_mov_b32_e32 v4, v2
	v_mov_b32_e32 v3, v1
	s_or_b32 s3, vcc_lo, s3
	s_andn2_b32 exec_lo, exec_lo, s3
	s_cbranch_execnz .LBB158_40
.LBB158_41:
	s_or_b32 exec_lo, exec_lo, s2
	v_fma_f64 v[11:12], v[9:10], v[21:22], v[5:6]
	v_fma_f64 v[5:6], v[9:10], v[19:20], v[7:8]
	v_mov_b32_e32 v8, v45
.LBB158_42:
	s_waitcnt vmcnt(1)
	v_lshl_add_u32 v1, v15, 3, v8
	v_add_nc_u32_e32 v1, 0x1000, v1
	ds_write2_b64 v1, v[11:12], v[5:6] offset1:16
	s_waitcnt vmcnt(0) lgkmcnt(0)
	s_barrier
	buffer_gl0_inv
	s_and_b32 exec_lo, exec_lo, s0
	s_cbranch_execz .LBB158_46
; %bb.43:
	v_cmp_gt_i32_e32 vcc_lo, s17, v0
	s_cmp_lt_u32 s6, s22
	s_cselect_b32 s0, -1, 0
	s_or_b32 s0, vcc_lo, s0
	s_and_b32 exec_lo, exec_lo, s0
	s_cbranch_execz .LBB158_46
; %bb.44:
	v_lshl_add_u32 v20, v0, 7, 0x1000
	v_add_nc_u32_e32 v3, 1, v0
	v_add_nc_u32_e32 v4, 2, v0
	;; [unrolled: 1-line block ×3, first 2 shown]
	v_mad_u64_u32 v[9:10], null, s10, v0, 0
	v_lshl_or_b32 v1, v15, 3, v20
	v_and_b32_e32 v3, 15, v3
	v_and_b32_e32 v4, 15, v4
	;; [unrolled: 1-line block ×3, first 2 shown]
	s_mul_i32 s0, s10, s16
	ds_read_b64 v[1:2], v1
	v_lshl_or_b32 v3, v3, 3, v20
	v_lshl_or_b32 v6, v4, 3, v20
	;; [unrolled: 1-line block ×3, first 2 shown]
	ds_read_b64 v[3:4], v3
	ds_read_b64 v[5:6], v6
	;; [unrolled: 1-line block ×3, first 2 shown]
	s_mul_hi_u32 s2, s10, s1
	s_add_i32 s0, s2, s0
	s_mul_i32 s2, s11, s1
	s_add_i32 s3, s0, s2
	s_mul_i32 s2, s10, s1
	s_lshl_b64 s[0:1], s[2:3], 3
	s_add_u32 s0, s7, s0
	s_addc_u32 s1, s18, s1
	s_waitcnt lgkmcnt(3)
	v_add_f64 v[1:2], v[1:2], 0
	s_waitcnt lgkmcnt(2)
	v_add_f64 v[1:2], v[1:2], v[3:4]
	v_mov_b32_e32 v3, v10
	v_mad_u64_u32 v[3:4], null, s11, v0, v[3:4]
	v_mov_b32_e32 v10, v3
	v_lshlrev_b64 v[9:10], 3, v[9:10]
	s_waitcnt lgkmcnt(1)
	v_add_f64 v[11:12], v[1:2], v[5:6]
	v_add_nc_u32_e32 v1, 4, v0
	v_add_co_u32 v4, vcc_lo, s0, v9
	v_add_co_ci_u32_e64 v5, null, s1, v10, vcc_lo
	v_and_b32_e32 v1, 15, v1
	v_add_nc_u32_e32 v10, 6, v0
	s_mov_b32 s0, 0
	flat_load_dwordx2 v[2:3], v[4:5]
	v_lshl_or_b32 v1, v1, 3, v20
	v_and_b32_e32 v10, 15, v10
	s_waitcnt lgkmcnt(1)
	v_add_f64 v[6:7], v[11:12], v[7:8]
	ds_read_b64 v[8:9], v1
	v_add_nc_u32_e32 v1, 5, v0
	v_add_nc_u32_e32 v11, 7, v0
	v_lshl_or_b32 v12, v10, 3, v20
	v_and_b32_e32 v1, 15, v1
	v_and_b32_e32 v11, 15, v11
	v_lshl_or_b32 v1, v1, 3, v20
	v_lshl_or_b32 v18, v11, 3, v20
	ds_read_b64 v[10:11], v1
	ds_read_b64 v[16:17], v12
	;; [unrolled: 1-line block ×3, first 2 shown]
	v_xor_b32_e32 v1, 8, v15
	s_waitcnt lgkmcnt(3)
	v_add_f64 v[6:7], v[6:7], v[8:9]
	v_lshl_or_b32 v1, v1, 3, v20
	ds_read_b64 v[8:9], v1
	v_add_nc_u32_e32 v1, 9, v0
	v_and_b32_e32 v1, 15, v1
	v_lshl_or_b32 v1, v1, 3, v20
	s_waitcnt lgkmcnt(3)
	v_add_f64 v[6:7], v[6:7], v[10:11]
	v_add_nc_u32_e32 v10, 10, v0
	v_add_nc_u32_e32 v11, 11, v0
	v_and_b32_e32 v10, 15, v10
	v_and_b32_e32 v11, 15, v11
	v_lshl_or_b32 v12, v10, 3, v20
	s_waitcnt lgkmcnt(2)
	v_add_f64 v[6:7], v[6:7], v[16:17]
	v_lshl_or_b32 v17, v11, 3, v20
	s_waitcnt lgkmcnt(1)
	v_add_f64 v[6:7], v[6:7], v[18:19]
	ds_read_b64 v[10:11], v1
	ds_read_b64 v[15:16], v12
	;; [unrolled: 1-line block ×3, first 2 shown]
	v_add_nc_u32_e32 v1, 12, v0
	v_and_b32_e32 v1, 15, v1
	v_lshl_or_b32 v1, v1, 3, v20
	s_waitcnt lgkmcnt(3)
	v_add_f64 v[6:7], v[6:7], v[8:9]
	ds_read_b64 v[8:9], v1
	v_add_nc_u32_e32 v1, 13, v0
	v_and_b32_e32 v1, 15, v1
	v_lshl_or_b32 v1, v1, 3, v20
	s_waitcnt lgkmcnt(3)
	v_add_f64 v[6:7], v[6:7], v[10:11]
	v_add_nc_u32_e32 v10, 14, v0
	v_add_nc_u32_e32 v0, -1, v0
	v_and_b32_e32 v10, 15, v10
	v_and_b32_e32 v0, 15, v0
	v_lshl_or_b32 v10, v10, 3, v20
	v_lshl_or_b32 v12, v0, 3, v20
	s_waitcnt lgkmcnt(2)
	v_add_f64 v[6:7], v[6:7], v[15:16]
	ds_read_b64 v[0:1], v1
	ds_read_b64 v[10:11], v10
	;; [unrolled: 1-line block ×3, first 2 shown]
	s_waitcnt lgkmcnt(4)
	v_add_f64 v[6:7], v[6:7], v[17:18]
	s_waitcnt lgkmcnt(3)
	v_add_f64 v[6:7], v[6:7], v[8:9]
	;; [unrolled: 2-line block ×5, first 2 shown]
	v_mul_f64 v[6:7], v[13:14], v[0:1]
.LBB158_45:                             ; =>This Inner Loop Header: Depth=1
	s_waitcnt vmcnt(0)
	v_add_f64 v[0:1], v[2:3], v[6:7]
	flat_atomic_cmpswap_x2 v[0:1], v[4:5], v[0:3] glc
	s_waitcnt vmcnt(0) lgkmcnt(0)
	v_cmp_eq_u64_e32 vcc_lo, v[0:1], v[2:3]
	v_mov_b32_e32 v3, v1
	v_mov_b32_e32 v2, v0
	s_or_b32 s0, vcc_lo, s0
	s_andn2_b32 exec_lo, exec_lo, s0
	s_cbranch_execnz .LBB158_45
.LBB158_46:
	s_endpgm
	.section	.rodata,"a",@progbits
	.p2align	6, 0x0
	.amdhsa_kernel _ZL62rocblas_symv_kernel_upper_double_buffered_non_diagonal_genericILi32ELi8ELi2ELi0E24rocblas_internal_val_ptrIdEPKPKdPKPdEvbiT3_lT4_lllSA_lllT5_lllii
		.amdhsa_group_segment_fixed_size 8448
		.amdhsa_private_segment_fixed_size 0
		.amdhsa_kernarg_size 384
		.amdhsa_user_sgpr_count 6
		.amdhsa_user_sgpr_private_segment_buffer 1
		.amdhsa_user_sgpr_dispatch_ptr 0
		.amdhsa_user_sgpr_queue_ptr 0
		.amdhsa_user_sgpr_kernarg_segment_ptr 1
		.amdhsa_user_sgpr_dispatch_id 0
		.amdhsa_user_sgpr_flat_scratch_init 0
		.amdhsa_user_sgpr_private_segment_size 0
		.amdhsa_wavefront_size32 1
		.amdhsa_uses_dynamic_stack 0
		.amdhsa_system_sgpr_private_segment_wavefront_offset 0
		.amdhsa_system_sgpr_workgroup_id_x 1
		.amdhsa_system_sgpr_workgroup_id_y 1
		.amdhsa_system_sgpr_workgroup_id_z 1
		.amdhsa_system_sgpr_workgroup_info 0
		.amdhsa_system_vgpr_workitem_id 1
		.amdhsa_next_free_vgpr 53
		.amdhsa_next_free_sgpr 29
		.amdhsa_reserve_vcc 1
		.amdhsa_reserve_flat_scratch 1
		.amdhsa_float_round_mode_32 0
		.amdhsa_float_round_mode_16_64 0
		.amdhsa_float_denorm_mode_32 3
		.amdhsa_float_denorm_mode_16_64 3
		.amdhsa_dx10_clamp 1
		.amdhsa_ieee_mode 1
		.amdhsa_fp16_overflow 0
		.amdhsa_workgroup_processor_mode 1
		.amdhsa_memory_ordered 1
		.amdhsa_forward_progress 1
		.amdhsa_shared_vgpr_count 0
		.amdhsa_exception_fp_ieee_invalid_op 0
		.amdhsa_exception_fp_denorm_src 0
		.amdhsa_exception_fp_ieee_div_zero 0
		.amdhsa_exception_fp_ieee_overflow 0
		.amdhsa_exception_fp_ieee_underflow 0
		.amdhsa_exception_fp_ieee_inexact 0
		.amdhsa_exception_int_div_zero 0
	.end_amdhsa_kernel
	.section	.text._ZL62rocblas_symv_kernel_upper_double_buffered_non_diagonal_genericILi32ELi8ELi2ELi0E24rocblas_internal_val_ptrIdEPKPKdPKPdEvbiT3_lT4_lllSA_lllT5_lllii,"axG",@progbits,_ZL62rocblas_symv_kernel_upper_double_buffered_non_diagonal_genericILi32ELi8ELi2ELi0E24rocblas_internal_val_ptrIdEPKPKdPKPdEvbiT3_lT4_lllSA_lllT5_lllii,comdat
.Lfunc_end158:
	.size	_ZL62rocblas_symv_kernel_upper_double_buffered_non_diagonal_genericILi32ELi8ELi2ELi0E24rocblas_internal_val_ptrIdEPKPKdPKPdEvbiT3_lT4_lllSA_lllT5_lllii, .Lfunc_end158-_ZL62rocblas_symv_kernel_upper_double_buffered_non_diagonal_genericILi32ELi8ELi2ELi0E24rocblas_internal_val_ptrIdEPKPKdPKPdEvbiT3_lT4_lllSA_lllT5_lllii
                                        ; -- End function
	.set _ZL62rocblas_symv_kernel_upper_double_buffered_non_diagonal_genericILi32ELi8ELi2ELi0E24rocblas_internal_val_ptrIdEPKPKdPKPdEvbiT3_lT4_lllSA_lllT5_lllii.num_vgpr, 53
	.set _ZL62rocblas_symv_kernel_upper_double_buffered_non_diagonal_genericILi32ELi8ELi2ELi0E24rocblas_internal_val_ptrIdEPKPKdPKPdEvbiT3_lT4_lllSA_lllT5_lllii.num_agpr, 0
	.set _ZL62rocblas_symv_kernel_upper_double_buffered_non_diagonal_genericILi32ELi8ELi2ELi0E24rocblas_internal_val_ptrIdEPKPKdPKPdEvbiT3_lT4_lllSA_lllT5_lllii.numbered_sgpr, 29
	.set _ZL62rocblas_symv_kernel_upper_double_buffered_non_diagonal_genericILi32ELi8ELi2ELi0E24rocblas_internal_val_ptrIdEPKPKdPKPdEvbiT3_lT4_lllSA_lllT5_lllii.num_named_barrier, 0
	.set _ZL62rocblas_symv_kernel_upper_double_buffered_non_diagonal_genericILi32ELi8ELi2ELi0E24rocblas_internal_val_ptrIdEPKPKdPKPdEvbiT3_lT4_lllSA_lllT5_lllii.private_seg_size, 0
	.set _ZL62rocblas_symv_kernel_upper_double_buffered_non_diagonal_genericILi32ELi8ELi2ELi0E24rocblas_internal_val_ptrIdEPKPKdPKPdEvbiT3_lT4_lllSA_lllT5_lllii.uses_vcc, 1
	.set _ZL62rocblas_symv_kernel_upper_double_buffered_non_diagonal_genericILi32ELi8ELi2ELi0E24rocblas_internal_val_ptrIdEPKPKdPKPdEvbiT3_lT4_lllSA_lllT5_lllii.uses_flat_scratch, 1
	.set _ZL62rocblas_symv_kernel_upper_double_buffered_non_diagonal_genericILi32ELi8ELi2ELi0E24rocblas_internal_val_ptrIdEPKPKdPKPdEvbiT3_lT4_lllSA_lllT5_lllii.has_dyn_sized_stack, 0
	.set _ZL62rocblas_symv_kernel_upper_double_buffered_non_diagonal_genericILi32ELi8ELi2ELi0E24rocblas_internal_val_ptrIdEPKPKdPKPdEvbiT3_lT4_lllSA_lllT5_lllii.has_recursion, 0
	.set _ZL62rocblas_symv_kernel_upper_double_buffered_non_diagonal_genericILi32ELi8ELi2ELi0E24rocblas_internal_val_ptrIdEPKPKdPKPdEvbiT3_lT4_lllSA_lllT5_lllii.has_indirect_call, 0
	.section	.AMDGPU.csdata,"",@progbits
; Kernel info:
; codeLenInByte = 3452
; TotalNumSgprs: 31
; NumVgprs: 53
; ScratchSize: 0
; MemoryBound: 1
; FloatMode: 240
; IeeeMode: 1
; LDSByteSize: 8448 bytes/workgroup (compile time only)
; SGPRBlocks: 0
; VGPRBlocks: 6
; NumSGPRsForWavesPerEU: 31
; NumVGPRsForWavesPerEU: 53
; Occupancy: 16
; WaveLimiterHint : 1
; COMPUTE_PGM_RSRC2:SCRATCH_EN: 0
; COMPUTE_PGM_RSRC2:USER_SGPR: 6
; COMPUTE_PGM_RSRC2:TRAP_HANDLER: 0
; COMPUTE_PGM_RSRC2:TGID_X_EN: 1
; COMPUTE_PGM_RSRC2:TGID_Y_EN: 1
; COMPUTE_PGM_RSRC2:TGID_Z_EN: 1
; COMPUTE_PGM_RSRC2:TIDIG_COMP_CNT: 1
	.section	.text._ZL62rocblas_symv_kernel_upper_double_buffered_non_diagonal_genericILi32ELi8ELi2ELi1E24rocblas_internal_val_ptrIdEPKPKdPKPdEvbiT3_lT4_lllSA_lllT5_lllii,"axG",@progbits,_ZL62rocblas_symv_kernel_upper_double_buffered_non_diagonal_genericILi32ELi8ELi2ELi1E24rocblas_internal_val_ptrIdEPKPKdPKPdEvbiT3_lT4_lllSA_lllT5_lllii,comdat
	.globl	_ZL62rocblas_symv_kernel_upper_double_buffered_non_diagonal_genericILi32ELi8ELi2ELi1E24rocblas_internal_val_ptrIdEPKPKdPKPdEvbiT3_lT4_lllSA_lllT5_lllii ; -- Begin function _ZL62rocblas_symv_kernel_upper_double_buffered_non_diagonal_genericILi32ELi8ELi2ELi1E24rocblas_internal_val_ptrIdEPKPKdPKPdEvbiT3_lT4_lllSA_lllT5_lllii
	.p2align	8
	.type	_ZL62rocblas_symv_kernel_upper_double_buffered_non_diagonal_genericILi32ELi8ELi2ELi1E24rocblas_internal_val_ptrIdEPKPKdPKPdEvbiT3_lT4_lllSA_lllT5_lllii,@function
_ZL62rocblas_symv_kernel_upper_double_buffered_non_diagonal_genericILi32ELi8ELi2ELi1E24rocblas_internal_val_ptrIdEPKPKdPKPdEvbiT3_lT4_lllSA_lllT5_lllii: ; @_ZL62rocblas_symv_kernel_upper_double_buffered_non_diagonal_genericILi32ELi8ELi2ELi1E24rocblas_internal_val_ptrIdEPKPKdPKPdEvbiT3_lT4_lllSA_lllT5_lllii
; %bb.0:
	s_clause 0x2
	s_load_dword s0, s[4:5], 0x0
	s_load_dwordx8 s[12:19], s[4:5], 0x8
	s_load_dwordx2 s[20:21], s[4:5], 0x28
	s_waitcnt lgkmcnt(0)
	s_bitcmp1_b32 s0, 0
	v_mov_b32_e32 v14, s13
	v_mov_b32_e32 v13, s12
	s_cselect_b32 s0, -1, 0
	s_and_b32 vcc_lo, exec_lo, s0
	s_cbranch_vccnz .LBB159_2
; %bb.1:
	s_mul_i32 s0, s15, s8
	s_mul_hi_u32 s1, s14, s8
	s_add_i32 s1, s1, s0
	s_mul_i32 s0, s14, s8
	s_lshl_b64 s[0:1], s[0:1], 3
	s_add_u32 s0, s12, s0
	s_addc_u32 s1, s13, s1
	v_mov_b32_e32 v3, s1
	v_mov_b32_e32 v2, s0
	flat_load_dwordx2 v[13:14], v[2:3]
.LBB159_2:
	s_mov_b32 s0, exec_lo
	s_waitcnt vmcnt(0) lgkmcnt(0)
	v_cmpx_neq_f64_e32 0, v[13:14]
	s_cbranch_execz .LBB159_78
; %bb.3:
	s_load_dword s15, s[4:5], 0x84
	s_add_u32 s10, s4, 0x80
	s_addc_u32 s11, s5, 0
	s_cmp_eq_u32 s6, 0
	s_mov_b32 s9, 0
	s_waitcnt lgkmcnt(0)
	v_cvt_f32_u32_e32 v2, s15
	v_rcp_iflag_f32_e32 v2, v2
	v_mul_f32_e32 v2, 0x4f7ffffe, v2
	v_cvt_u32_f32_e32 v2, v2
	v_readfirstlane_b32 s12, v2
	s_cbranch_scc1 .LBB159_78
; %bb.4:
	s_clause 0x1
	s_load_dwordx4 s[0:3], s[4:5], 0x38
	s_load_dwordx2 s[22:23], s[4:5], 0x58
	s_sub_i32 s13, 0, s15
	s_lshl_b64 s[24:25], s[8:9], 3
	s_mul_i32 s13, s13, s12
	s_mul_hi_u32 s13, s12, s13
	s_add_i32 s12, s12, s13
	s_add_u32 s8, s16, s24
	s_mul_hi_u32 s14, s6, s12
	s_addc_u32 s9, s17, s25
	s_mul_i32 s16, s14, s15
	s_waitcnt lgkmcnt(0)
	s_add_u32 s12, s0, s24
	s_addc_u32 s13, s1, s25
	s_add_u32 s0, s22, s24
	s_addc_u32 s1, s23, s25
	s_sub_i32 s16, s6, s16
	s_add_i32 s17, s14, 1
	s_sub_i32 s22, s16, s15
	s_cmp_ge_u32 s16, s15
	s_cselect_b32 s14, s17, s14
	s_cselect_b32 s16, s22, s16
	s_add_i32 s17, s14, 1
	s_cmp_ge_u32 s16, s15
	s_cselect_b32 s14, s17, s14
	s_add_i32 s16, s15, -1
	s_mov_b32 s24, s14
	s_cmp_lg_u32 s7, s16
	s_cbranch_scc1 .LBB159_6
; %bb.5:
	s_mul_i32 s15, s14, s15
	s_sub_i32 s15, s6, s15
	s_add_i32 s24, s15, s14
.LBB159_6:
	s_cmp_eq_u32 s24, 0
	s_cbranch_scc1 .LBB159_78
; %bb.7:
	s_load_dwordx2 s[16:17], s[12:13], 0x0
	s_load_dwordx2 s[12:13], s[4:5], 0x48
	s_load_dword s22, s[10:11], 0x0
	s_lshl_b64 s[2:3], s[2:3], 3
	s_load_dwordx2 s[8:9], s[8:9], 0x0
	v_lshl_add_u32 v2, v1, 5, v0
	s_mov_b32 s15, -1
	s_waitcnt lgkmcnt(0)
	s_add_u32 s25, s16, s2
	s_addc_u32 s26, s17, s3
	s_lshl_b32 s16, s6, 5
	s_load_dwordx2 s[2:3], s[0:1], 0x0
	s_ashr_i32 s17, s16, 31
	s_mul_hi_u32 s0, s12, s16
	s_mul_i32 s1, s12, s17
	s_mul_i32 s10, s13, s16
	s_add_i32 s1, s0, s1
	s_mul_i32 s0, s12, s16
	s_add_i32 s1, s1, s10
	s_lshl_b64 s[0:1], s[0:1], 3
	s_add_u32 s10, s25, s0
	s_addc_u32 s11, s26, s1
	s_add_i32 s22, s22, -1
	v_cmp_eq_u32_e64 s0, 0, v1
	s_cmp_lg_u32 s6, s22
	s_cselect_b32 s1, -1, 0
	s_and_b32 vcc_lo, exec_lo, s1
	s_cbranch_vccz .LBB159_11
; %bb.8:
	s_and_saveexec_b32 s15, s0
	s_cbranch_execz .LBB159_10
; %bb.9:
	v_mad_u64_u32 v[3:4], null, s12, v0, 0
	v_mov_b32_e32 v1, v4
	v_mad_u64_u32 v[4:5], null, s13, v0, v[1:2]
	v_lshlrev_b32_e32 v1, 3, v0
	v_lshlrev_b64 v[3:4], 3, v[3:4]
	v_add_co_u32 v3, vcc_lo, s10, v3
	v_add_co_ci_u32_e64 v4, null, s11, v4, vcc_lo
	flat_load_dwordx2 v[3:4], v[3:4]
	s_waitcnt vmcnt(0) lgkmcnt(0)
	ds_write_b64 v1, v[3:4] offset:8192
.LBB159_10:
	s_or_b32 exec_lo, exec_lo, s15
	s_mov_b32 s15, 0
.LBB159_11:
	s_load_dword s23, s[4:5], 0x78
	v_and_b32_e32 v15, 15, v0
	v_lshrrev_b32_e32 v7, 4, v2
	s_andn2_b32 vcc_lo, exec_lo, s15
	s_cbranch_vccnz .LBB159_17
; %bb.12:
	s_and_saveexec_b32 s15, s0
	s_cbranch_execz .LBB159_16
; %bb.13:
	v_mov_b32_e32 v1, 0
	v_mov_b32_e32 v2, 0
	s_mov_b32 s27, exec_lo
	s_waitcnt lgkmcnt(0)
	v_cmpx_gt_i32_e64 s23, v0
	s_cbranch_execz .LBB159_15
; %bb.14:
	v_mad_u64_u32 v[1:2], null, s12, v0, 0
	v_mad_u64_u32 v[2:3], null, s13, v0, v[2:3]
	v_lshlrev_b64 v[1:2], 3, v[1:2]
	v_add_co_u32 v1, vcc_lo, s10, v1
	v_add_co_ci_u32_e64 v2, null, s11, v2, vcc_lo
	flat_load_dwordx2 v[1:2], v[1:2]
.LBB159_15:
	s_or_b32 exec_lo, exec_lo, s27
	v_lshlrev_b32_e32 v3, 3, v0
	s_waitcnt vmcnt(0) lgkmcnt(0)
	ds_write_b64 v3, v[1:2] offset:8192
.LBB159_16:
	s_or_b32 exec_lo, exec_lo, s15
	v_lshlrev_b32_e32 v1, 3, v15
	s_mov_b32 s10, 0
	s_mov_b32 s11, s10
	v_lshl_or_b32 v3, v7, 8, v1
	v_mov_b32_e32 v1, s10
	v_mov_b32_e32 v2, s11
	v_add_nc_u32_e32 v4, 0x1000, v3
	ds_write2_b64 v3, v[1:2], v[1:2] offset1:16
	ds_write2_b64 v4, v[1:2], v[1:2] offset1:16
.LBB159_17:
	v_lshlrev_b32_e32 v8, 1, v7
	v_mov_b32_e32 v16, 0
	s_waitcnt lgkmcnt(0)
	s_lshr_b32 s15, s23, 31
	s_lshl_b64 s[10:11], s[18:19], 3
	s_add_i32 s15, s23, s15
	s_mul_i32 s18, s20, s17
	v_mad_u64_u32 v[16:17], null, s20, v8, v[15:16]
	s_ashr_i32 s27, s15, 1
	s_add_u32 s10, s8, s10
	s_mul_hi_u32 s8, s20, s16
	s_addc_u32 s11, s9, s11
	s_add_i32 s8, s8, s18
	s_mul_i32 s9, s21, s16
	v_mov_b32_e32 v1, v17
	s_add_i32 s9, s8, s9
	s_mul_i32 s8, s20, s16
	s_mul_i32 s7, s7, s14
	s_lshl_b64 s[8:9], s[8:9], 3
	v_mad_u64_u32 v[1:2], null, s21, v8, v[1:2]
	s_add_u32 s10, s10, s8
	s_addc_u32 s11, s11, s9
	s_lshl_b32 s14, s7, 5
	v_cndmask_b32_e64 v47, 0, 1, s1
	s_ashr_i32 s15, s14, 31
	s_lshl_b64 s[8:9], s[14:15], 3
	v_mov_b32_e32 v17, v1
	s_add_u32 s18, s10, s8
	s_addc_u32 s19, s11, s9
	s_andn2_b32 vcc_lo, exec_lo, s1
	s_barrier
	buffer_gl0_inv
	s_cbranch_vccnz .LBB159_19
; %bb.18:
	v_lshlrev_b64 v[1:2], 3, v[16:17]
	s_lshl_b64 s[8:9], s[20:21], 3
	v_add_co_u32 v1, vcc_lo, s18, v1
	v_add_co_ci_u32_e64 v2, null, s19, v2, vcc_lo
	v_add_co_u32 v3, vcc_lo, v1, s8
	v_add_co_ci_u32_e64 v4, null, s9, v2, vcc_lo
	s_clause 0x1
	flat_load_dwordx2 v[1:2], v[1:2]
	flat_load_dwordx2 v[3:4], v[3:4]
	v_cmp_le_i32_e64 s1, s27, v7
	s_cbranch_execz .LBB159_20
	s_branch .LBB159_27
.LBB159_19:
                                        ; implicit-def: $vgpr1_vgpr2_vgpr3_vgpr4
	v_cmp_le_i32_e64 s1, s27, v7
.LBB159_20:
                                        ; implicit-def: $vgpr1_vgpr2_vgpr3_vgpr4
	s_and_saveexec_b32 s7, s1
	s_xor_b32 s1, exec_lo, s7
	s_cbranch_execz .LBB159_24
; %bb.21:
	s_waitcnt vmcnt(1) lgkmcnt(1)
	v_mov_b32_e32 v1, 0
	s_mov_b32 s7, exec_lo
	v_mov_b32_e32 v2, v1
	s_waitcnt vmcnt(0) lgkmcnt(0)
	v_mov_b32_e32 v3, v1
	v_mov_b32_e32 v4, v1
	v_cmpx_eq_u32_e64 s27, v7
	s_cbranch_execz .LBB159_23
; %bb.22:
	v_lshlrev_b64 v[2:3], 3, v[16:17]
	v_mov_b32_e32 v5, v1
	v_mov_b32_e32 v4, v1
	v_add_co_u32 v2, vcc_lo, s18, v2
	v_add_co_ci_u32_e64 v3, null, s19, v3, vcc_lo
	flat_load_dwordx2 v[2:3], v[2:3]
	s_waitcnt vmcnt(0) lgkmcnt(0)
	v_mov_b32_e32 v1, v2
	v_mov_b32_e32 v2, v3
	;; [unrolled: 1-line block ×4, first 2 shown]
.LBB159_23:
	s_or_b32 exec_lo, exec_lo, s7
.LBB159_24:
	s_andn2_saveexec_b32 s1, s1
	s_cbranch_execz .LBB159_26
; %bb.25:
	s_waitcnt vmcnt(1) lgkmcnt(1)
	v_lshlrev_b64 v[1:2], 3, v[16:17]
	s_lshl_b64 s[8:9], s[20:21], 3
	v_add_co_u32 v1, vcc_lo, s18, v1
	v_add_co_ci_u32_e64 v2, null, s19, v2, vcc_lo
	s_waitcnt vmcnt(0) lgkmcnt(0)
	v_add_co_u32 v3, vcc_lo, v1, s8
	v_add_co_ci_u32_e64 v4, null, s9, v2, vcc_lo
	s_clause 0x1
	flat_load_dwordx2 v[1:2], v[1:2]
	flat_load_dwordx2 v[3:4], v[3:4]
.LBB159_26:
	s_or_b32 exec_lo, exec_lo, s1
.LBB159_27:
	s_load_dwordx4 s[8:11], s[4:5], 0x60
	v_lshlrev_b32_e32 v46, 8, v7
	s_mov_b32 s1, 0
	s_waitcnt lgkmcnt(0)
	s_lshl_b64 s[4:5], s[8:9], 3
	s_add_u32 s7, s2, s4
	s_addc_u32 s3, s3, s5
	s_cmp_gt_i32 s24, 0
	s_cbranch_scc1 .LBB159_29
; %bb.28:
	v_lshlrev_b32_e32 v9, 8, v7
	s_branch .LBB159_30
.LBB159_29:
	s_mov_b32 s1, -1
                                        ; implicit-def: $vgpr9
.LBB159_30:
	v_mov_b32_e32 v5, 0
	v_mov_b32_e32 v11, 0
	;; [unrolled: 1-line block ×4, first 2 shown]
	s_andn2_b32 vcc_lo, exec_lo, s1
	s_cbranch_vccnz .LBB159_74
; %bb.31:
	v_mad_u64_u32 v[5:6], null, s12, v15, 0
	s_mul_i32 s1, s12, s15
	s_mul_hi_u32 s2, s12, s14
	s_mul_i32 s5, s13, s14
	s_add_i32 s1, s2, s1
	s_mul_i32 s4, s12, s14
	s_add_i32 s5, s1, s5
	v_mad_u64_u32 v[9:10], null, s13, v15, v[6:7]
	s_lshl_b64 s[4:5], s[4:5], 3
	v_or_b32_e32 v11, 16, v15
	s_add_u32 s25, s25, s4
	s_addc_u32 s26, s26, s5
	s_mul_i32 s1, s10, s15
	s_mul_hi_u32 s2, s10, s14
	v_mov_b32_e32 v6, v9
	v_mad_u64_u32 v[9:10], null, s10, v0, 0
	s_add_i32 s1, s2, s1
	s_mul_i32 s2, s11, s14
	v_lshlrev_b64 v[26:27], 3, v[5:6]
	s_add_i32 s5, s1, s2
	s_mul_i32 s4, s10, s14
	v_mov_b32_e32 v32, 0
	s_lshl_b64 s[4:5], s[4:5], 3
	v_cmp_le_i32_e64 s2, s27, v7
	v_add_co_u32 v5, vcc_lo, s25, v26
	v_add_co_ci_u32_e64 v6, null, s26, v27, vcc_lo
	v_cmp_eq_u32_e64 s1, s27, v7
	v_lshl_add_u32 v50, v8, 3, 0x2000
	v_lshlrev_b32_e32 v48, 3, v0
	flat_load_dwordx2 v[30:31], v[5:6]
	v_mad_u64_u32 v[5:6], null, s12, v11, 0
	v_mov_b32_e32 v33, 0
	s_add_u32 s14, s7, s4
	s_addc_u32 s15, s3, s5
	s_cmp_eq_u32 s24, 1
	v_mad_u64_u32 v[11:12], null, s13, v11, v[6:7]
	v_lshlrev_b32_e32 v12, 3, v15
	v_add_nc_u32_e32 v49, v12, v46
	v_mad_u64_u32 v[18:19], null, s11, v0, v[10:11]
	v_mov_b32_e32 v6, v11
	v_lshlrev_b64 v[28:29], 3, v[5:6]
	v_mov_b32_e32 v10, v18
	v_lshlrev_b64 v[18:19], 3, v[9:10]
	s_cbranch_scc1 .LBB159_59
; %bb.32:
	v_mov_b32_e32 v22, 0
	v_mov_b32_e32 v21, s15
	v_lshlrev_b64 v[36:37], 3, v[16:17]
	v_mov_b32_e32 v24, 0
	v_mov_b32_e32 v7, 0
	;; [unrolled: 1-line block ×8, first 2 shown]
	v_add_nc_u32_e32 v51, 0x800, v48
	s_lshl_b64 s[4:5], s[12:13], 8
	s_lshl_b64 s[8:9], s[10:11], 8
	s_add_i32 s14, s24, -2
	s_mov_b32 s15, 0
	s_lshl_b64 s[12:13], s[20:21], 3
.LBB159_33:                             ; =>This Loop Header: Depth=1
                                        ;     Child Loop BB159_55 Depth 2
	v_add_co_u32 v9, vcc_lo, s25, v28
	v_add_co_ci_u32_e64 v10, null, s26, v29, vcc_lo
	v_cmp_ne_u32_e32 vcc_lo, 1, v47
	s_mov_b32 s24, -1
                                        ; implicit-def: $vgpr32_vgpr33
                                        ; implicit-def: $vgpr34_vgpr35
	flat_load_dwordx2 v[38:39], v[9:10]
	s_cbranch_vccnz .LBB159_35
; %bb.34:                               ;   in Loop: Header=BB159_33 Depth=1
	v_add_co_u32 v9, vcc_lo, s18, v36
	v_add_co_ci_u32_e64 v10, null, s19, v37, vcc_lo
	s_mov_b32 s24, 0
	v_add_co_u32 v11, vcc_lo, v9, s12
	v_add_co_ci_u32_e64 v12, null, s13, v10, vcc_lo
	s_clause 0x1
	flat_load_dwordx2 v[34:35], v[9:10] offset:128
	flat_load_dwordx2 v[32:33], v[11:12] offset:128
.LBB159_35:                             ;   in Loop: Header=BB159_33 Depth=1
	s_andn2_b32 vcc_lo, exec_lo, s24
	s_cbranch_vccnz .LBB159_43
; %bb.36:                               ;   in Loop: Header=BB159_33 Depth=1
	s_and_saveexec_b32 s24, s2
	s_xor_b32 s24, exec_lo, s24
	s_cbranch_execz .LBB159_40
; %bb.37:                               ;   in Loop: Header=BB159_33 Depth=1
	s_and_saveexec_b32 s27, s1
	s_cbranch_execz .LBB159_39
; %bb.38:                               ;   in Loop: Header=BB159_33 Depth=1
	v_add_co_u32 v7, vcc_lo, s18, v36
	v_add_co_ci_u32_e64 v8, null, s19, v37, vcc_lo
	flat_load_dwordx2 v[7:8], v[7:8] offset:128
.LBB159_39:                             ;   in Loop: Header=BB159_33 Depth=1
	s_or_b32 exec_lo, exec_lo, s27
.LBB159_40:                             ;   in Loop: Header=BB159_33 Depth=1
	s_andn2_saveexec_b32 s24, s24
	s_cbranch_execz .LBB159_42
; %bb.41:                               ;   in Loop: Header=BB159_33 Depth=1
	v_add_co_u32 v5, vcc_lo, s18, v36
	v_add_co_ci_u32_e64 v6, null, s19, v37, vcc_lo
	v_add_co_u32 v9, vcc_lo, v5, s12
	v_add_co_ci_u32_e64 v10, null, s13, v6, vcc_lo
	s_waitcnt vmcnt(0) lgkmcnt(0)
	s_clause 0x1
	flat_load_dwordx2 v[7:8], v[5:6] offset:128
	flat_load_dwordx2 v[5:6], v[9:10] offset:128
.LBB159_42:                             ;   in Loop: Header=BB159_33 Depth=1
	s_or_b32 exec_lo, exec_lo, s24
	s_waitcnt vmcnt(0) lgkmcnt(0)
	v_mov_b32_e32 v35, v8
	v_mov_b32_e32 v33, v6
	;; [unrolled: 1-line block ×4, first 2 shown]
.LBB159_43:                             ;   in Loop: Header=BB159_33 Depth=1
	ds_read_b128 v[9:12], v50
	v_cmp_ne_u32_e32 vcc_lo, 1, v47
	s_mov_b32 s24, -1
                                        ; implicit-def: $vgpr5_vgpr6_vgpr7_vgpr8
	s_cbranch_vccnz .LBB159_45
; %bb.44:                               ;   in Loop: Header=BB159_33 Depth=1
	v_add_co_u32 v5, vcc_lo, s18, v36
	v_add_co_ci_u32_e64 v6, null, s19, v37, vcc_lo
	s_mov_b32 s24, 0
	v_add_co_u32 v7, vcc_lo, v5, s12
	v_add_co_ci_u32_e64 v8, null, s13, v6, vcc_lo
	s_clause 0x1
	flat_load_dwordx2 v[5:6], v[5:6] offset:256
	flat_load_dwordx2 v[7:8], v[7:8] offset:256
.LBB159_45:                             ;   in Loop: Header=BB159_33 Depth=1
	s_andn2_b32 vcc_lo, exec_lo, s24
	s_cbranch_vccnz .LBB159_53
; %bb.46:                               ;   in Loop: Header=BB159_33 Depth=1
                                        ; implicit-def: $vgpr5_vgpr6_vgpr7_vgpr8
	s_and_saveexec_b32 s24, s2
	s_xor_b32 s24, exec_lo, s24
	s_cbranch_execz .LBB159_50
; %bb.47:                               ;   in Loop: Header=BB159_33 Depth=1
	s_waitcnt vmcnt(0) lgkmcnt(0)
	v_mov_b32_e32 v8, v4
	v_mov_b32_e32 v7, v3
	;; [unrolled: 1-line block ×4, first 2 shown]
	s_and_saveexec_b32 s27, s1
	s_cbranch_execz .LBB159_49
; %bb.48:                               ;   in Loop: Header=BB159_33 Depth=1
	v_add_co_u32 v5, vcc_lo, s18, v36
	v_add_co_ci_u32_e64 v6, null, s19, v37, vcc_lo
	flat_load_dwordx2 v[40:41], v[5:6] offset:256
	v_mov_b32_e32 v8, v4
	v_mov_b32_e32 v6, v2
	v_mov_b32_e32 v5, v1
	v_mov_b32_e32 v7, v3
	s_waitcnt vmcnt(0) lgkmcnt(0)
	v_mov_b32_e32 v5, v40
	v_mov_b32_e32 v6, v41
.LBB159_49:                             ;   in Loop: Header=BB159_33 Depth=1
	s_or_b32 exec_lo, exec_lo, s27
.LBB159_50:                             ;   in Loop: Header=BB159_33 Depth=1
	s_andn2_saveexec_b32 s24, s24
	s_cbranch_execz .LBB159_52
; %bb.51:                               ;   in Loop: Header=BB159_33 Depth=1
	s_waitcnt vmcnt(1) lgkmcnt(1)
	v_add_co_u32 v5, vcc_lo, s18, v36
	v_add_co_ci_u32_e64 v6, null, s19, v37, vcc_lo
	s_waitcnt vmcnt(0) lgkmcnt(0)
	v_add_co_u32 v7, vcc_lo, v5, s12
	v_add_co_ci_u32_e64 v8, null, s13, v6, vcc_lo
	s_clause 0x1
	flat_load_dwordx2 v[5:6], v[5:6] offset:256
	flat_load_dwordx2 v[7:8], v[7:8] offset:256
.LBB159_52:                             ;   in Loop: Header=BB159_33 Depth=1
	s_or_b32 exec_lo, exec_lo, s24
.LBB159_53:                             ;   in Loop: Header=BB159_33 Depth=1
	s_add_u32 s25, s25, s4
	s_addc_u32 s26, s26, s5
	v_add_co_u32 v40, vcc_lo, s25, v26
	v_add_co_ci_u32_e64 v41, null, s26, v27, vcc_lo
	s_waitcnt vmcnt(3) lgkmcnt(0)
	v_fma_f64 v[42:43], v[1:2], v[9:10], 0
	s_waitcnt vmcnt(1)
	v_fma_f64 v[9:10], v[34:35], v[9:10], 0
	flat_load_dwordx2 v[40:41], v[40:41]
	s_waitcnt vmcnt(0) lgkmcnt(0)
	s_barrier
	buffer_gl0_inv
	v_fma_f64 v[42:43], v[3:4], v[11:12], v[42:43]
	v_fma_f64 v[9:10], v[32:33], v[11:12], v[9:10]
	ds_write2_b64 v49, v[42:43], v[9:10] offset1:16
	s_waitcnt lgkmcnt(0)
	s_barrier
	buffer_gl0_inv
	s_and_saveexec_b32 s24, s0
	s_cbranch_execz .LBB159_57
; %bb.54:                               ;   in Loop: Header=BB159_33 Depth=1
	ds_read2_b64 v[9:12], v48 offset1:32
	ds_read2_b64 v[42:45], v48 offset0:64 offset1:96
	ds_read2_b64 v[52:55], v48 offset0:128 offset1:160
	s_mov_b32 s27, 0
	s_waitcnt lgkmcnt(2)
	v_add_f64 v[9:10], v[9:10], 0
	v_add_f64 v[9:10], v[9:10], v[11:12]
	s_waitcnt lgkmcnt(1)
	v_add_f64 v[9:10], v[9:10], v[42:43]
	v_add_co_u32 v42, vcc_lo, v20, v18
	v_add_co_ci_u32_e64 v43, null, v21, v19, vcc_lo
	flat_load_dwordx2 v[11:12], v[42:43]
	v_add_f64 v[9:10], v[9:10], v[44:45]
	s_waitcnt lgkmcnt(1)
	v_add_f64 v[9:10], v[9:10], v[52:53]
	v_add_f64 v[9:10], v[9:10], v[54:55]
	ds_read2_b64 v[52:55], v48 offset0:192 offset1:224
	s_waitcnt lgkmcnt(0)
	v_add_f64 v[9:10], v[9:10], v[52:53]
	v_add_f64 v[9:10], v[9:10], v[54:55]
	ds_read2_b64 v[52:55], v51 offset1:32
	s_waitcnt lgkmcnt(0)
	v_add_f64 v[9:10], v[9:10], v[52:53]
	v_add_f64 v[9:10], v[9:10], v[54:55]
	ds_read2_b64 v[52:55], v51 offset0:64 offset1:96
	s_waitcnt lgkmcnt(0)
	v_add_f64 v[9:10], v[9:10], v[52:53]
	v_add_f64 v[9:10], v[9:10], v[54:55]
	ds_read2_b64 v[52:55], v51 offset0:128 offset1:160
	;; [unrolled: 4-line block ×3, first 2 shown]
	s_waitcnt lgkmcnt(0)
	v_add_f64 v[9:10], v[9:10], v[52:53]
	v_add_f64 v[9:10], v[9:10], v[54:55]
	v_mul_f64 v[44:45], v[13:14], v[9:10]
.LBB159_55:                             ;   Parent Loop BB159_33 Depth=1
                                        ; =>  This Inner Loop Header: Depth=2
	s_waitcnt vmcnt(0)
	v_add_f64 v[9:10], v[11:12], v[44:45]
	flat_atomic_cmpswap_x2 v[9:10], v[42:43], v[9:12] glc
	s_waitcnt vmcnt(0) lgkmcnt(0)
	v_cmp_eq_u64_e32 vcc_lo, v[9:10], v[11:12]
	v_mov_b32_e32 v12, v10
	v_mov_b32_e32 v11, v9
	s_or_b32 s27, vcc_lo, s27
	s_andn2_b32 exec_lo, exec_lo, s27
	s_cbranch_execnz .LBB159_55
; %bb.56:                               ;   in Loop: Header=BB159_33 Depth=1
	s_or_b32 exec_lo, exec_lo, s27
	v_add_co_u32 v20, vcc_lo, v20, s8
	v_add_co_ci_u32_e64 v21, null, s9, v21, vcc_lo
.LBB159_57:                             ;   in Loop: Header=BB159_33 Depth=1
	s_or_b32 exec_lo, exec_lo, s24
	v_fma_f64 v[1:2], v[30:31], v[1:2], v[22:23]
	v_fma_f64 v[3:4], v[30:31], v[3:4], v[24:25]
	s_add_u32 s18, s18, 0x100
	s_addc_u32 s19, s19, 0
	s_add_i32 s24, s15, 1
	s_cmp_eq_u32 s15, s14
	v_fma_f64 v[22:23], v[38:39], v[34:35], v[1:2]
	v_fma_f64 v[24:25], v[38:39], v[32:33], v[3:4]
	s_cbranch_scc1 .LBB159_60
; %bb.58:                               ;   in Loop: Header=BB159_33 Depth=1
	v_mov_b32_e32 v1, v5
	v_mov_b32_e32 v30, v40
	;; [unrolled: 1-line block ×10, first 2 shown]
	s_mov_b32 s15, s24
	s_branch .LBB159_33
.LBB159_59:
	v_mov_b32_e32 v21, s15
	v_mov_b32_e32 v34, 0
	;; [unrolled: 1-line block ×4, first 2 shown]
	s_waitcnt vmcnt(1)
	v_mov_b32_e32 v8, v4
	s_waitcnt vmcnt(0) lgkmcnt(0)
	v_mov_b32_e32 v41, v31
	v_mov_b32_e32 v20, s14
	;; [unrolled: 1-line block ×9, first 2 shown]
.LBB159_60:
	v_add_co_u32 v1, vcc_lo, s25, v28
	v_add_co_ci_u32_e64 v2, null, s26, v29, vcc_lo
	v_cmp_ne_u32_e32 vcc_lo, 1, v47
	flat_load_dwordx2 v[9:10], v[1:2]
	s_cbranch_vccnz .LBB159_62
; %bb.61:
	v_lshlrev_b64 v[1:2], 3, v[16:17]
	s_lshl_b64 s[4:5], s[20:21], 3
	v_add_co_u32 v1, vcc_lo, s18, v1
	v_add_co_ci_u32_e64 v2, null, s19, v2, vcc_lo
	v_add_co_u32 v3, vcc_lo, v1, s4
	v_add_co_ci_u32_e64 v4, null, s5, v2, vcc_lo
	s_clause 0x1
	flat_load_dwordx2 v[11:12], v[1:2] offset:128
	flat_load_dwordx2 v[26:27], v[3:4] offset:128
	s_cbranch_execz .LBB159_63
	s_branch .LBB159_70
.LBB159_62:
                                        ; implicit-def: $vgpr26_vgpr27
                                        ; implicit-def: $vgpr11_vgpr12
.LBB159_63:
	s_and_saveexec_b32 s4, s2
	s_xor_b32 s2, exec_lo, s4
	s_cbranch_execz .LBB159_67
; %bb.64:
	s_and_saveexec_b32 s4, s1
	s_cbranch_execz .LBB159_66
; %bb.65:
	v_lshlrev_b64 v[1:2], 3, v[16:17]
	v_add_co_u32 v1, vcc_lo, s18, v1
	v_add_co_ci_u32_e64 v2, null, s19, v2, vcc_lo
	flat_load_dwordx2 v[34:35], v[1:2] offset:128
.LBB159_66:
	s_or_b32 exec_lo, exec_lo, s4
                                        ; implicit-def: $vgpr16_vgpr17
.LBB159_67:
	s_andn2_saveexec_b32 s1, s2
	s_cbranch_execz .LBB159_69
; %bb.68:
	v_lshlrev_b64 v[1:2], 3, v[16:17]
	s_lshl_b64 s[4:5], s[20:21], 3
	v_add_co_u32 v1, vcc_lo, s18, v1
	v_add_co_ci_u32_e64 v2, null, s19, v2, vcc_lo
	v_add_co_u32 v3, vcc_lo, v1, s4
	v_add_co_ci_u32_e64 v4, null, s5, v2, vcc_lo
	s_waitcnt vmcnt(0) lgkmcnt(0)
	s_clause 0x1
	flat_load_dwordx2 v[34:35], v[1:2] offset:128
	flat_load_dwordx2 v[32:33], v[3:4] offset:128
.LBB159_69:
	s_or_b32 exec_lo, exec_lo, s1
	s_waitcnt vmcnt(0) lgkmcnt(0)
	v_mov_b32_e32 v11, v34
	v_mov_b32_e32 v26, v32
	;; [unrolled: 1-line block ×4, first 2 shown]
.LBB159_70:
	ds_read_b128 v[1:4], v50
	s_waitcnt vmcnt(0) lgkmcnt(0)
	s_barrier
	buffer_gl0_inv
	v_fma_f64 v[16:17], v[5:6], v[1:2], 0
	v_fma_f64 v[1:2], v[11:12], v[1:2], 0
	;; [unrolled: 1-line block ×6, first 2 shown]
	ds_write2_b64 v49, v[16:17], v[1:2] offset1:16
	s_waitcnt lgkmcnt(0)
	s_barrier
	buffer_gl0_inv
	s_and_saveexec_b32 s1, s0
	s_cbranch_execz .LBB159_73
; %bb.71:
	ds_read2_b64 v[1:4], v48 offset1:32
	ds_read2_b64 v[22:25], v48 offset0:64 offset1:96
	v_add_co_u32 v16, vcc_lo, v20, v18
	v_add_co_ci_u32_e64 v17, null, v21, v19, vcc_lo
	ds_read2_b64 v[18:21], v48 offset0:128 offset1:160
	s_mov_b32 s2, 0
	s_waitcnt lgkmcnt(2)
	v_add_f64 v[1:2], v[1:2], 0
	v_add_f64 v[1:2], v[1:2], v[3:4]
	flat_load_dwordx2 v[3:4], v[16:17]
	s_waitcnt lgkmcnt(2)
	v_add_f64 v[1:2], v[1:2], v[22:23]
	v_add_nc_u32_e32 v22, 0x800, v48
	v_add_f64 v[1:2], v[1:2], v[24:25]
	s_waitcnt lgkmcnt(1)
	v_add_f64 v[1:2], v[1:2], v[18:19]
	v_add_f64 v[1:2], v[1:2], v[20:21]
	ds_read2_b64 v[18:21], v48 offset0:192 offset1:224
	s_waitcnt lgkmcnt(0)
	v_add_f64 v[1:2], v[1:2], v[18:19]
	v_add_f64 v[1:2], v[1:2], v[20:21]
	ds_read2_b64 v[18:21], v22 offset1:32
	s_waitcnt lgkmcnt(0)
	v_add_f64 v[1:2], v[1:2], v[18:19]
	v_add_f64 v[1:2], v[1:2], v[20:21]
	ds_read2_b64 v[18:21], v22 offset0:64 offset1:96
	s_waitcnt lgkmcnt(0)
	v_add_f64 v[1:2], v[1:2], v[18:19]
	v_add_f64 v[1:2], v[1:2], v[20:21]
	ds_read2_b64 v[18:21], v22 offset0:128 offset1:160
	;; [unrolled: 4-line block ×3, first 2 shown]
	s_waitcnt lgkmcnt(0)
	v_add_f64 v[1:2], v[1:2], v[18:19]
	v_add_f64 v[1:2], v[1:2], v[20:21]
	v_mul_f64 v[18:19], v[13:14], v[1:2]
.LBB159_72:                             ; =>This Inner Loop Header: Depth=1
	s_waitcnt vmcnt(0)
	v_add_f64 v[1:2], v[3:4], v[18:19]
	flat_atomic_cmpswap_x2 v[1:2], v[16:17], v[1:4] glc
	s_waitcnt vmcnt(0) lgkmcnt(0)
	v_cmp_eq_u64_e32 vcc_lo, v[1:2], v[3:4]
	v_mov_b32_e32 v4, v2
	v_mov_b32_e32 v3, v1
	s_or_b32 s2, vcc_lo, s2
	s_andn2_b32 exec_lo, exec_lo, s2
	s_cbranch_execnz .LBB159_72
.LBB159_73:
	s_or_b32 exec_lo, exec_lo, s1
	v_fma_f64 v[11:12], v[9:10], v[11:12], v[5:6]
	v_fma_f64 v[5:6], v[9:10], v[26:27], v[7:8]
	v_mov_b32_e32 v9, v46
.LBB159_74:
	s_waitcnt vmcnt(1)
	v_lshl_add_u32 v1, v15, 3, v9
	v_add_nc_u32_e32 v1, 0x1000, v1
	ds_write2_b64 v1, v[11:12], v[5:6] offset1:16
	s_waitcnt vmcnt(0) lgkmcnt(0)
	s_barrier
	buffer_gl0_inv
	s_and_b32 exec_lo, exec_lo, s0
	s_cbranch_execz .LBB159_78
; %bb.75:
	v_cmp_gt_i32_e32 vcc_lo, s23, v0
	s_cmp_lt_u32 s6, s22
	s_cselect_b32 s0, -1, 0
	s_or_b32 s0, vcc_lo, s0
	s_and_b32 exec_lo, exec_lo, s0
	s_cbranch_execz .LBB159_78
; %bb.76:
	v_lshl_add_u32 v20, v0, 7, 0x1000
	v_add_nc_u32_e32 v3, 1, v0
	v_add_nc_u32_e32 v4, 2, v0
	;; [unrolled: 1-line block ×3, first 2 shown]
	v_mad_u64_u32 v[9:10], null, s10, v0, 0
	v_lshl_or_b32 v1, v15, 3, v20
	v_and_b32_e32 v3, 15, v3
	v_and_b32_e32 v4, 15, v4
	v_and_b32_e32 v5, 15, v5
	s_mul_i32 s0, s10, s17
	ds_read_b64 v[1:2], v1
	v_lshl_or_b32 v3, v3, 3, v20
	v_lshl_or_b32 v6, v4, 3, v20
	;; [unrolled: 1-line block ×3, first 2 shown]
	ds_read_b64 v[3:4], v3
	ds_read_b64 v[5:6], v6
	;; [unrolled: 1-line block ×3, first 2 shown]
	s_mul_hi_u32 s1, s10, s16
	s_add_i32 s0, s1, s0
	s_mul_i32 s1, s11, s16
	s_add_i32 s1, s0, s1
	s_mul_i32 s0, s10, s16
	s_lshl_b64 s[0:1], s[0:1], 3
	s_add_u32 s0, s7, s0
	s_addc_u32 s1, s3, s1
	s_waitcnt lgkmcnt(3)
	v_add_f64 v[1:2], v[1:2], 0
	s_waitcnt lgkmcnt(2)
	v_add_f64 v[1:2], v[1:2], v[3:4]
	v_mov_b32_e32 v3, v10
	v_mad_u64_u32 v[3:4], null, s11, v0, v[3:4]
	v_mov_b32_e32 v10, v3
	v_lshlrev_b64 v[9:10], 3, v[9:10]
	s_waitcnt lgkmcnt(1)
	v_add_f64 v[11:12], v[1:2], v[5:6]
	v_add_nc_u32_e32 v1, 4, v0
	v_add_co_u32 v4, vcc_lo, s0, v9
	v_add_co_ci_u32_e64 v5, null, s1, v10, vcc_lo
	v_and_b32_e32 v1, 15, v1
	v_add_nc_u32_e32 v10, 6, v0
	s_mov_b32 s0, 0
	flat_load_dwordx2 v[2:3], v[4:5]
	v_lshl_or_b32 v1, v1, 3, v20
	v_and_b32_e32 v10, 15, v10
	s_waitcnt lgkmcnt(1)
	v_add_f64 v[6:7], v[11:12], v[7:8]
	ds_read_b64 v[8:9], v1
	v_add_nc_u32_e32 v1, 5, v0
	v_add_nc_u32_e32 v11, 7, v0
	v_lshl_or_b32 v12, v10, 3, v20
	v_and_b32_e32 v1, 15, v1
	v_and_b32_e32 v11, 15, v11
	v_lshl_or_b32 v1, v1, 3, v20
	v_lshl_or_b32 v18, v11, 3, v20
	ds_read_b64 v[10:11], v1
	ds_read_b64 v[16:17], v12
	;; [unrolled: 1-line block ×3, first 2 shown]
	v_xor_b32_e32 v1, 8, v15
	s_waitcnt lgkmcnt(3)
	v_add_f64 v[6:7], v[6:7], v[8:9]
	v_lshl_or_b32 v1, v1, 3, v20
	ds_read_b64 v[8:9], v1
	v_add_nc_u32_e32 v1, 9, v0
	v_and_b32_e32 v1, 15, v1
	v_lshl_or_b32 v1, v1, 3, v20
	s_waitcnt lgkmcnt(3)
	v_add_f64 v[6:7], v[6:7], v[10:11]
	v_add_nc_u32_e32 v10, 10, v0
	v_add_nc_u32_e32 v11, 11, v0
	v_and_b32_e32 v10, 15, v10
	v_and_b32_e32 v11, 15, v11
	v_lshl_or_b32 v12, v10, 3, v20
	s_waitcnt lgkmcnt(2)
	v_add_f64 v[6:7], v[6:7], v[16:17]
	v_lshl_or_b32 v17, v11, 3, v20
	s_waitcnt lgkmcnt(1)
	v_add_f64 v[6:7], v[6:7], v[18:19]
	ds_read_b64 v[10:11], v1
	ds_read_b64 v[15:16], v12
	;; [unrolled: 1-line block ×3, first 2 shown]
	v_add_nc_u32_e32 v1, 12, v0
	v_and_b32_e32 v1, 15, v1
	v_lshl_or_b32 v1, v1, 3, v20
	s_waitcnt lgkmcnt(3)
	v_add_f64 v[6:7], v[6:7], v[8:9]
	ds_read_b64 v[8:9], v1
	v_add_nc_u32_e32 v1, 13, v0
	v_and_b32_e32 v1, 15, v1
	v_lshl_or_b32 v1, v1, 3, v20
	s_waitcnt lgkmcnt(3)
	v_add_f64 v[6:7], v[6:7], v[10:11]
	v_add_nc_u32_e32 v10, 14, v0
	v_add_nc_u32_e32 v0, -1, v0
	v_and_b32_e32 v10, 15, v10
	v_and_b32_e32 v0, 15, v0
	v_lshl_or_b32 v10, v10, 3, v20
	v_lshl_or_b32 v12, v0, 3, v20
	s_waitcnt lgkmcnt(2)
	v_add_f64 v[6:7], v[6:7], v[15:16]
	ds_read_b64 v[0:1], v1
	ds_read_b64 v[10:11], v10
	;; [unrolled: 1-line block ×3, first 2 shown]
	s_waitcnt lgkmcnt(4)
	v_add_f64 v[6:7], v[6:7], v[17:18]
	s_waitcnt lgkmcnt(3)
	v_add_f64 v[6:7], v[6:7], v[8:9]
	;; [unrolled: 2-line block ×5, first 2 shown]
	v_mul_f64 v[6:7], v[13:14], v[0:1]
.LBB159_77:                             ; =>This Inner Loop Header: Depth=1
	s_waitcnt vmcnt(0)
	v_add_f64 v[0:1], v[2:3], v[6:7]
	flat_atomic_cmpswap_x2 v[0:1], v[4:5], v[0:3] glc
	s_waitcnt vmcnt(0) lgkmcnt(0)
	v_cmp_eq_u64_e32 vcc_lo, v[0:1], v[2:3]
	v_mov_b32_e32 v3, v1
	v_mov_b32_e32 v2, v0
	s_or_b32 s0, vcc_lo, s0
	s_andn2_b32 exec_lo, exec_lo, s0
	s_cbranch_execnz .LBB159_77
.LBB159_78:
	s_endpgm
	.section	.rodata,"a",@progbits
	.p2align	6, 0x0
	.amdhsa_kernel _ZL62rocblas_symv_kernel_upper_double_buffered_non_diagonal_genericILi32ELi8ELi2ELi1E24rocblas_internal_val_ptrIdEPKPKdPKPdEvbiT3_lT4_lllSA_lllT5_lllii
		.amdhsa_group_segment_fixed_size 8448
		.amdhsa_private_segment_fixed_size 0
		.amdhsa_kernarg_size 384
		.amdhsa_user_sgpr_count 6
		.amdhsa_user_sgpr_private_segment_buffer 1
		.amdhsa_user_sgpr_dispatch_ptr 0
		.amdhsa_user_sgpr_queue_ptr 0
		.amdhsa_user_sgpr_kernarg_segment_ptr 1
		.amdhsa_user_sgpr_dispatch_id 0
		.amdhsa_user_sgpr_flat_scratch_init 0
		.amdhsa_user_sgpr_private_segment_size 0
		.amdhsa_wavefront_size32 1
		.amdhsa_uses_dynamic_stack 0
		.amdhsa_system_sgpr_private_segment_wavefront_offset 0
		.amdhsa_system_sgpr_workgroup_id_x 1
		.amdhsa_system_sgpr_workgroup_id_y 1
		.amdhsa_system_sgpr_workgroup_id_z 1
		.amdhsa_system_sgpr_workgroup_info 0
		.amdhsa_system_vgpr_workitem_id 1
		.amdhsa_next_free_vgpr 56
		.amdhsa_next_free_sgpr 28
		.amdhsa_reserve_vcc 1
		.amdhsa_reserve_flat_scratch 1
		.amdhsa_float_round_mode_32 0
		.amdhsa_float_round_mode_16_64 0
		.amdhsa_float_denorm_mode_32 3
		.amdhsa_float_denorm_mode_16_64 3
		.amdhsa_dx10_clamp 1
		.amdhsa_ieee_mode 1
		.amdhsa_fp16_overflow 0
		.amdhsa_workgroup_processor_mode 1
		.amdhsa_memory_ordered 1
		.amdhsa_forward_progress 1
		.amdhsa_shared_vgpr_count 0
		.amdhsa_exception_fp_ieee_invalid_op 0
		.amdhsa_exception_fp_denorm_src 0
		.amdhsa_exception_fp_ieee_div_zero 0
		.amdhsa_exception_fp_ieee_overflow 0
		.amdhsa_exception_fp_ieee_underflow 0
		.amdhsa_exception_fp_ieee_inexact 0
		.amdhsa_exception_int_div_zero 0
	.end_amdhsa_kernel
	.section	.text._ZL62rocblas_symv_kernel_upper_double_buffered_non_diagonal_genericILi32ELi8ELi2ELi1E24rocblas_internal_val_ptrIdEPKPKdPKPdEvbiT3_lT4_lllSA_lllT5_lllii,"axG",@progbits,_ZL62rocblas_symv_kernel_upper_double_buffered_non_diagonal_genericILi32ELi8ELi2ELi1E24rocblas_internal_val_ptrIdEPKPKdPKPdEvbiT3_lT4_lllSA_lllT5_lllii,comdat
.Lfunc_end159:
	.size	_ZL62rocblas_symv_kernel_upper_double_buffered_non_diagonal_genericILi32ELi8ELi2ELi1E24rocblas_internal_val_ptrIdEPKPKdPKPdEvbiT3_lT4_lllSA_lllT5_lllii, .Lfunc_end159-_ZL62rocblas_symv_kernel_upper_double_buffered_non_diagonal_genericILi32ELi8ELi2ELi1E24rocblas_internal_val_ptrIdEPKPKdPKPdEvbiT3_lT4_lllSA_lllT5_lllii
                                        ; -- End function
	.set _ZL62rocblas_symv_kernel_upper_double_buffered_non_diagonal_genericILi32ELi8ELi2ELi1E24rocblas_internal_val_ptrIdEPKPKdPKPdEvbiT3_lT4_lllSA_lllT5_lllii.num_vgpr, 56
	.set _ZL62rocblas_symv_kernel_upper_double_buffered_non_diagonal_genericILi32ELi8ELi2ELi1E24rocblas_internal_val_ptrIdEPKPKdPKPdEvbiT3_lT4_lllSA_lllT5_lllii.num_agpr, 0
	.set _ZL62rocblas_symv_kernel_upper_double_buffered_non_diagonal_genericILi32ELi8ELi2ELi1E24rocblas_internal_val_ptrIdEPKPKdPKPdEvbiT3_lT4_lllSA_lllT5_lllii.numbered_sgpr, 28
	.set _ZL62rocblas_symv_kernel_upper_double_buffered_non_diagonal_genericILi32ELi8ELi2ELi1E24rocblas_internal_val_ptrIdEPKPKdPKPdEvbiT3_lT4_lllSA_lllT5_lllii.num_named_barrier, 0
	.set _ZL62rocblas_symv_kernel_upper_double_buffered_non_diagonal_genericILi32ELi8ELi2ELi1E24rocblas_internal_val_ptrIdEPKPKdPKPdEvbiT3_lT4_lllSA_lllT5_lllii.private_seg_size, 0
	.set _ZL62rocblas_symv_kernel_upper_double_buffered_non_diagonal_genericILi32ELi8ELi2ELi1E24rocblas_internal_val_ptrIdEPKPKdPKPdEvbiT3_lT4_lllSA_lllT5_lllii.uses_vcc, 1
	.set _ZL62rocblas_symv_kernel_upper_double_buffered_non_diagonal_genericILi32ELi8ELi2ELi1E24rocblas_internal_val_ptrIdEPKPKdPKPdEvbiT3_lT4_lllSA_lllT5_lllii.uses_flat_scratch, 1
	.set _ZL62rocblas_symv_kernel_upper_double_buffered_non_diagonal_genericILi32ELi8ELi2ELi1E24rocblas_internal_val_ptrIdEPKPKdPKPdEvbiT3_lT4_lllSA_lllT5_lllii.has_dyn_sized_stack, 0
	.set _ZL62rocblas_symv_kernel_upper_double_buffered_non_diagonal_genericILi32ELi8ELi2ELi1E24rocblas_internal_val_ptrIdEPKPKdPKPdEvbiT3_lT4_lllSA_lllT5_lllii.has_recursion, 0
	.set _ZL62rocblas_symv_kernel_upper_double_buffered_non_diagonal_genericILi32ELi8ELi2ELi1E24rocblas_internal_val_ptrIdEPKPKdPKPdEvbiT3_lT4_lllSA_lllT5_lllii.has_indirect_call, 0
	.section	.AMDGPU.csdata,"",@progbits
; Kernel info:
; codeLenInByte = 4180
; TotalNumSgprs: 30
; NumVgprs: 56
; ScratchSize: 0
; MemoryBound: 1
; FloatMode: 240
; IeeeMode: 1
; LDSByteSize: 8448 bytes/workgroup (compile time only)
; SGPRBlocks: 0
; VGPRBlocks: 6
; NumSGPRsForWavesPerEU: 30
; NumVGPRsForWavesPerEU: 56
; Occupancy: 16
; WaveLimiterHint : 1
; COMPUTE_PGM_RSRC2:SCRATCH_EN: 0
; COMPUTE_PGM_RSRC2:USER_SGPR: 6
; COMPUTE_PGM_RSRC2:TRAP_HANDLER: 0
; COMPUTE_PGM_RSRC2:TGID_X_EN: 1
; COMPUTE_PGM_RSRC2:TGID_Y_EN: 1
; COMPUTE_PGM_RSRC2:TGID_Z_EN: 1
; COMPUTE_PGM_RSRC2:TIDIG_COMP_CNT: 1
	.section	.text._ZL26rocblas_hemvn_kernel_upperILb0ELi64ELi4ELi33ELi32ELi16ElPKdPKS1_PdEviT6_lT7_lT5_lS6_lS7_lS5_lT8_i,"axG",@progbits,_ZL26rocblas_hemvn_kernel_upperILb0ELi64ELi4ELi33ELi32ELi16ElPKdPKS1_PdEviT6_lT7_lT5_lS6_lS7_lS5_lT8_i,comdat
	.globl	_ZL26rocblas_hemvn_kernel_upperILb0ELi64ELi4ELi33ELi32ELi16ElPKdPKS1_PdEviT6_lT7_lT5_lS6_lS7_lS5_lT8_i ; -- Begin function _ZL26rocblas_hemvn_kernel_upperILb0ELi64ELi4ELi33ELi32ELi16ElPKdPKS1_PdEviT6_lT7_lT5_lS6_lS7_lS5_lT8_i
	.p2align	8
	.type	_ZL26rocblas_hemvn_kernel_upperILb0ELi64ELi4ELi33ELi32ELi16ElPKdPKS1_PdEviT6_lT7_lT5_lS6_lS7_lS5_lT8_i,@function
_ZL26rocblas_hemvn_kernel_upperILb0ELi64ELi4ELi33ELi32ELi16ElPKdPKS1_PdEviT6_lT7_lT5_lS6_lS7_lS5_lT8_i: ; @_ZL26rocblas_hemvn_kernel_upperILb0ELi64ELi4ELi33ELi32ELi16ElPKdPKS1_PdEviT6_lT7_lT5_lS6_lS7_lS5_lT8_i
; %bb.0:
	s_load_dwordx2 s[2:3], s[4:5], 0x84
	s_add_u32 s0, s4, 0x78
	s_mov_b32 s18, s7
	s_addc_u32 s1, s5, 0
	s_waitcnt lgkmcnt(0)
	s_lshr_b32 s7, s2, 16
	s_and_b32 s2, s2, 0xffff
	s_and_b32 s3, s3, 0xffff
	s_mul_i32 s2, s7, s2
	s_mul_i32 s2, s2, s3
	s_cmpk_lg_i32 s2, 0x100
	s_cbranch_scc1 .LBB160_4
; %bb.1:
	s_clause 0x1
	s_load_dwordx8 s[8:15], s[4:5], 0x8
	s_load_dwordx4 s[20:23], s[4:5], 0x58
	s_waitcnt lgkmcnt(0)
	s_mul_i32 s3, s11, s18
	s_mul_hi_u32 s7, s10, s18
	s_mul_i32 s2, s10, s18
	s_add_i32 s3, s7, s3
	s_mul_i32 s7, s23, s18
	s_lshl_b64 s[2:3], s[2:3], 3
	s_mul_hi_u32 s10, s22, s18
	s_add_u32 s2, s8, s2
	s_addc_u32 s3, s9, s3
	s_add_i32 s9, s10, s7
	s_mul_i32 s8, s22, s18
	s_lshl_b64 s[8:9], s[8:9], 3
	s_add_u32 s8, s20, s8
	s_addc_u32 s9, s21, s9
	s_load_dwordx2 s[2:3], s[2:3], 0x0
	s_load_dwordx2 s[8:9], s[8:9], 0x0
	s_waitcnt lgkmcnt(0)
	v_cmp_eq_f64_e64 s2, s[2:3], 0
	v_cmp_eq_f64_e64 s3, s[8:9], 1.0
	s_and_b32 s3, s2, s3
	s_and_b32 vcc_lo, exec_lo, s3
	s_cbranch_vccnz .LBB160_4
; %bb.2:
	s_and_b32 vcc_lo, exec_lo, s2
	s_cbranch_vccz .LBB160_5
; %bb.3:
	s_cbranch_execz .LBB160_6
.LBB160_4:
	s_endpgm
.LBB160_5:
.LBB160_6:
	s_clause 0x1
	s_load_dwordx4 s[20:23], s[4:5], 0x38
	s_load_dword s24, s[4:5], 0x0
	s_mov_b32 s19, 0
	s_load_dwordx2 s[8:9], s[4:5], 0x48
	s_lshl_b64 s[2:3], s[18:19], 3
	s_load_dword s19, s[0:1], 0x0
	s_add_u32 s10, s12, s2
	s_addc_u32 s11, s13, s3
	s_waitcnt lgkmcnt(0)
	s_add_u32 s2, s20, s2
	s_addc_u32 s3, s21, s3
	s_lshl_b64 s[12:13], s[22:23], 3
	s_load_dwordx2 s[2:3], s[2:3], 0x0
	s_waitcnt lgkmcnt(0)
	s_add_u32 s7, s2, s12
	s_addc_u32 s13, s3, s13
	s_lshl_b32 s12, s6, 6
	s_clause 0x1
	s_load_dwordx2 s[16:17], s[4:5], 0x28
	s_load_dwordx2 s[20:21], s[4:5], 0x68
	;; [unrolled: 1-line block ×3, first 2 shown]
	v_add_nc_u32_e32 v58, s12, v0
	s_ashr_i32 s25, s24, 31
	s_add_i32 s1, s19, -1
	s_lshr_b32 s0, s25, 26
	v_ashrrev_i32_e32 v59, 31, v58
	v_mul_lo_u32 v4, s9, v58
	v_mad_u64_u32 v[2:3], null, s8, v58, 0
	s_add_i32 s0, s24, s0
	v_mul_lo_u32 v5, s8, v59
	s_andn2_b32 s0, s0, 63
	s_sub_i32 s22, s24, s0
	v_cmp_eq_u32_e64 s0, 0, v1
	s_cmp_eq_u32 s6, s1
	s_cselect_b32 s10, s22, 0
	v_add3_u32 v3, v3, v5, v4
	v_lshlrev_b64 v[2:3], 3, v[2:3]
	v_add_co_u32 v16, vcc_lo, s7, v2
	v_add_co_ci_u32_e64 v17, null, s13, v3, vcc_lo
	s_and_saveexec_b32 s1, s0
	s_cbranch_execz .LBB160_10
; %bb.7:
	v_cmp_gt_i32_e32 vcc_lo, s10, v0
	s_cmp_eq_u32 s10, 0
	v_mov_b32_e32 v2, 0
	v_mov_b32_e32 v3, 0
	s_cselect_b32 s4, -1, 0
	s_or_b32 s5, s4, vcc_lo
	s_and_saveexec_b32 s4, s5
	s_cbranch_execz .LBB160_9
; %bb.8:
	flat_load_dwordx2 v[2:3], v[16:17]
.LBB160_9:
	s_or_b32 exec_lo, exec_lo, s4
	v_lshlrev_b32_e32 v4, 3, v0
	s_waitcnt vmcnt(0) lgkmcnt(0)
	ds_write_b64 v4, v[2:3] offset:9088
.LBB160_10:
	s_or_b32 exec_lo, exec_lo, s1
	v_lshl_add_u32 v24, v1, 6, v0
	v_and_b32_e32 v2, 31, v0
	v_mov_b32_e32 v3, 0
	s_lshl_b64 s[4:5], s[14:15], 3
	s_waitcnt lgkmcnt(0)
	s_mul_hi_u32 s1, s16, s12
	v_lshrrev_b32_e32 v13, 5, v24
	s_add_u32 s11, s2, s4
	s_addc_u32 s3, s3, s5
	s_ashr_i32 s13, s12, 31
	s_mul_i32 s7, s17, s12
	v_mad_u64_u32 v[3:4], null, s16, v13, v[2:3]
	s_lshl_b64 s[4:5], s[12:13], 3
	s_mul_i32 s14, s16, s13
	s_add_u32 s4, s11, s4
	s_addc_u32 s5, s3, s5
	s_add_i32 s1, s1, s14
	s_mul_i32 s2, s16, s12
	v_mad_u64_u32 v[4:5], null, s17, v13, v[4:5]
	s_add_i32 s3, s1, s7
	v_cmp_gt_i32_e64 s1, s10, v2
	s_lshl_b64 s[2:3], s[2:3], 3
	s_cmp_eq_u32 s10, 0
	v_lshlrev_b32_e32 v20, 3, v2
	s_cselect_b32 s23, -1, 0
	v_lshlrev_b64 v[14:15], 3, v[3:4]
	s_cmp_lg_u32 s10, 0
	s_cselect_b32 s26, -1, 0
	v_add_co_u32 v3, vcc_lo, s4, v14
	v_add_co_ci_u32_e64 v4, null, s5, v15, vcc_lo
	s_and_b32 vcc_lo, exec_lo, s26
	v_add_co_u32 v5, s2, v3, s2
	v_add_co_ci_u32_e64 v6, null, s3, v4, s2
	s_cbranch_vccz .LBB160_20
; %bb.11:
	v_sub_co_u32 v3, vcc_lo, v5, v20
	s_ashr_i32 s11, s10, 31
	v_subrev_co_ci_u32_e64 v4, null, 0, v6, vcc_lo
	s_lshl_b64 s[2:3], s[10:11], 3
	v_mov_b32_e32 v9, 0
	v_add_co_u32 v3, vcc_lo, v3, s2
	v_add_co_ci_u32_e64 v4, null, s3, v4, vcc_lo
	v_mov_b32_e32 v7, 0
	v_add_co_u32 v3, vcc_lo, v3, -8
	v_add_co_ci_u32_e64 v4, null, -1, v4, vcc_lo
	v_mov_b32_e32 v10, 0
	v_cndmask_b32_e64 v3, v3, v5, s1
	v_mov_b32_e32 v8, 0
	v_cndmask_b32_e64 v4, v4, v6, s1
	s_mov_b32 s4, exec_lo
	v_cmpx_gt_i32_e64 s10, v13
	s_cbranch_execz .LBB160_13
; %bb.12:
	flat_load_dwordx2 v[7:8], v[3:4]
.LBB160_13:
	s_or_b32 exec_lo, exec_lo, s4
	v_lshlrev_b32_e32 v11, 3, v2
	v_add_nc_u32_e32 v18, 8, v13
	v_mul_u32_u24_e32 v12, 0x108, v13
	s_mov_b32 s4, exec_lo
	v_mad_u32_u24 v19, 0x108, v13, v11
	s_waitcnt vmcnt(0) lgkmcnt(0)
	ds_write_b64 v19, v[7:8]
	v_cmpx_gt_i32_e64 s10, v18
	s_cbranch_execz .LBB160_15
; %bb.14:
	s_lshl_b64 s[14:15], s[16:17], 6
	v_add_co_u32 v7, vcc_lo, v3, s14
	v_add_co_ci_u32_e64 v8, null, s15, v4, vcc_lo
	flat_load_dwordx2 v[9:10], v[7:8]
.LBB160_15:
	s_or_b32 exec_lo, exec_lo, s4
	v_add_nc_u32_e32 v18, v12, v11
	v_mov_b32_e32 v7, 0
	v_mov_b32_e32 v11, 0
	v_add_nc_u32_e32 v19, 16, v13
	v_mov_b32_e32 v8, 0
	v_mov_b32_e32 v12, 0
	s_mov_b32 s4, exec_lo
	s_waitcnt vmcnt(0) lgkmcnt(0)
	ds_write_b64 v18, v[9:10] offset:2112
	v_cmpx_gt_i32_e64 s10, v19
	s_cbranch_execz .LBB160_17
; %bb.16:
	s_lshl_b64 s[14:15], s[16:17], 7
	v_add_co_u32 v9, vcc_lo, v3, s14
	v_add_co_ci_u32_e64 v10, null, s15, v4, vcc_lo
	flat_load_dwordx2 v[11:12], v[9:10]
.LBB160_17:
	s_or_b32 exec_lo, exec_lo, s4
	v_add_nc_u32_e32 v9, 24, v13
	s_mov_b32 s4, exec_lo
	s_waitcnt vmcnt(0) lgkmcnt(0)
	ds_write_b64 v18, v[11:12] offset:4224
	v_cmpx_gt_i32_e64 s10, v9
	s_cbranch_execz .LBB160_19
; %bb.18:
	v_mad_u64_u32 v[7:8], null, 0xc0, s16, v[3:4]
	v_mad_u64_u32 v[8:9], null, 0xc0, s17, v[8:9]
	flat_load_dwordx2 v[7:8], v[7:8]
.LBB160_19:
	s_or_b32 exec_lo, exec_lo, s4
	v_add_co_u32 v3, vcc_lo, v3, v20
	v_add_co_ci_u32_e64 v4, null, 0, v4, vcc_lo
	s_waitcnt vmcnt(0) lgkmcnt(0)
	ds_write_b64 v18, v[7:8] offset:6336
	v_sub_co_u32 v3, vcc_lo, v3, s2
	v_subrev_co_ci_u32_e64 v4, null, s3, v4, vcc_lo
	v_add_co_u32 v3, vcc_lo, v3, 8
	v_add_co_ci_u32_e64 v4, null, 0, v4, vcc_lo
	v_cndmask_b32_e64 v3, v3, v5, s1
	v_cndmask_b32_e64 v4, v4, v6, s1
	v_mul_u32_u24_e32 v22, 0x108, v13
	s_branch .LBB160_22
.LBB160_20:
                                        ; implicit-def: $vgpr3_vgpr4
	v_mul_u32_u24_e32 v22, 0x108, v13
	s_cbranch_execz .LBB160_22
; %bb.21:
	s_lshl_b64 s[2:3], s[16:17], 6
	v_lshl_add_u32 v21, v2, 3, v22
	v_add_co_u32 v3, vcc_lo, v5, s2
	v_add_co_ci_u32_e64 v4, null, s3, v6, vcc_lo
	v_add_co_u32 v7, vcc_lo, v3, s2
	v_add_co_ci_u32_e64 v8, null, s3, v4, vcc_lo
	v_add_co_u32 v9, vcc_lo, v7, s2
	v_add_co_ci_u32_e64 v10, null, s3, v8, vcc_lo
	s_clause 0x3
	flat_load_dwordx2 v[11:12], v[5:6]
	flat_load_dwordx2 v[18:19], v[3:4]
	;; [unrolled: 1-line block ×4, first 2 shown]
	v_mov_b32_e32 v3, v5
	v_mov_b32_e32 v4, v6
	s_waitcnt vmcnt(3) lgkmcnt(3)
	ds_write_b64 v21, v[11:12]
	s_waitcnt vmcnt(2) lgkmcnt(3)
	ds_write_b64 v21, v[18:19] offset:2112
	s_waitcnt vmcnt(1) lgkmcnt(3)
	ds_write_b64 v21, v[7:8] offset:4224
	;; [unrolled: 2-line block ×3, first 2 shown]
.LBB160_22:
	v_lshlrev_b32_e32 v23, 3, v2
	v_lshlrev_b32_e32 v27, 2, v13
	s_waitcnt lgkmcnt(0)
	s_barrier
	buffer_gl0_inv
	v_lshl_or_b32 v5, v2, 8, v23
	v_cmp_gt_u32_e64 s2, v27, v2
	v_mad_u32_u24 v6, 0x420, v13, v23
	v_lshl_add_u32 v7, v27, 3, v5
	s_and_saveexec_b32 s1, s2
	s_cbranch_execz .LBB160_24
; %bb.23:
	ds_read_b64 v[8:9], v6
	s_waitcnt lgkmcnt(0)
	ds_write_b64 v7, v[8:9]
.LBB160_24:
	s_or_b32 exec_lo, exec_lo, s1
	v_or_b32_e32 v28, 1, v27
	v_cmp_ge_u32_e64 s3, v27, v2
	v_mad_u32_u24 v5, 0x108, v28, v23
	s_and_saveexec_b32 s1, s3
	s_cbranch_execz .LBB160_26
; %bb.25:
	ds_read_b64 v[8:9], v5
	s_waitcnt lgkmcnt(0)
	ds_write_b64 v7, v[8:9] offset:8
.LBB160_26:
	s_or_b32 exec_lo, exec_lo, s1
	v_or_b32_e32 v8, 2, v27
	v_cmp_gt_u32_e64 s4, v8, v2
	s_and_saveexec_b32 s1, s4
	s_cbranch_execz .LBB160_28
; %bb.27:
	v_mad_u32_u24 v8, 0x108, v8, v23
	ds_read_b64 v[8:9], v8
	s_waitcnt lgkmcnt(0)
	ds_write_b64 v7, v[8:9] offset:16
.LBB160_28:
	s_or_b32 exec_lo, exec_lo, s1
	v_or_b32_e32 v9, 3, v27
	s_mov_b32 s1, exec_lo
	v_cmp_gt_u32_e64 s5, v9, v2
	v_mul_u32_u24_e32 v8, 0x108, v9
	v_cmpx_le_u32_e64 v9, v2
	s_xor_b32 s1, exec_lo, s1
; %bb.29:
	v_mul_u32_u24_e32 v8, 0x108, v9
                                        ; implicit-def: $vgpr9
                                        ; implicit-def: $vgpr7
; %bb.30:
	s_andn2_saveexec_b32 s1, s1
	s_cbranch_execz .LBB160_32
; %bb.31:
	v_mad_u32_u24 v9, 0x108, v9, v23
	ds_read_b64 v[9:10], v9
	s_waitcnt lgkmcnt(0)
	ds_write_b64 v7, v[9:10] offset:24
.LBB160_32:
	s_or_b32 exec_lo, exec_lo, s1
	v_lshlrev_b32_e32 v30, 3, v27
	s_waitcnt lgkmcnt(0)
	s_barrier
	buffer_gl0_inv
	ds_read_b64 v[6:7], v6
	ds_read_b128 v[9:12], v30 offset:9088
	v_add_nc_u32_e32 v21, v23, v8
	ds_read_b128 v[31:34], v30 offset:9104
	ds_read_b64 v[18:19], v21
	v_mov_b32_e32 v60, 0
	v_mov_b32_e32 v61, 0
	v_cmp_gt_u32_e64 s1, 32, v24
	s_waitcnt lgkmcnt(2)
	v_fma_f64 v[9:10], v[6:7], v[9:10], 0
	ds_read2_b64 v[5:8], v5 offset1:33
	s_waitcnt lgkmcnt(0)
	s_barrier
	buffer_gl0_inv
	v_fma_f64 v[5:6], v[5:6], v[11:12], v[9:10]
	v_fma_f64 v[5:6], v[7:8], v[31:32], v[5:6]
	v_mul_u32_u24_e32 v7, 33, v2
	v_lshlrev_b32_e32 v25, 3, v7
	v_lshl_add_u32 v26, v13, 3, v25
	v_fma_f64 v[5:6], v[18:19], v[33:34], v[5:6]
	ds_write_b64 v26, v[5:6]
	s_waitcnt lgkmcnt(0)
	s_barrier
	buffer_gl0_inv
	s_and_saveexec_b32 s7, s1
	s_cbranch_execz .LBB160_34
; %bb.33:
	ds_read2_b64 v[5:8], v25 offset1:1
	ds_read2_b64 v[9:12], v25 offset0:2 offset1:3
	s_waitcnt lgkmcnt(1)
	v_add_f64 v[5:6], v[5:6], v[7:8]
	s_waitcnt lgkmcnt(0)
	v_add_f64 v[5:6], v[5:6], v[9:10]
	v_add_f64 v[18:19], v[5:6], v[11:12]
	ds_read2_b64 v[5:8], v25 offset0:4 offset1:5
	ds_read2_b64 v[9:12], v25 offset0:6 offset1:7
	s_waitcnt lgkmcnt(1)
	v_add_f64 v[5:6], v[18:19], v[5:6]
	v_add_f64 v[5:6], v[5:6], v[7:8]
	s_waitcnt lgkmcnt(0)
	v_add_f64 v[5:6], v[5:6], v[9:10]
	v_add_f64 v[60:61], v[5:6], v[11:12]
.LBB160_34:
	s_or_b32 exec_lo, exec_lo, s7
	s_lshl_b64 s[14:15], s[16:17], 8
	v_add_co_u32 v5, vcc_lo, v3, s14
	v_add_co_ci_u32_e64 v6, null, s15, v4, vcc_lo
	s_barrier
	v_add_co_u32 v3, vcc_lo, 0x100, v5
	v_add_co_ci_u32_e64 v4, null, 0, v6, vcc_lo
	s_and_b32 vcc_lo, exec_lo, s26
	buffer_gl0_inv
	s_cbranch_vccz .LBB160_44
; %bb.35:
	v_sub_co_u32 v7, vcc_lo, v5, v20
	s_ashr_i32 s11, s10, 31
	v_subrev_co_ci_u32_e64 v8, null, 0, v6, vcc_lo
	s_lshl_b64 s[14:15], s[10:11], 3
	v_or_b32_e32 v9, 32, v2
	v_add_co_u32 v7, vcc_lo, v7, s14
	v_add_co_ci_u32_e64 v8, null, s15, v8, vcc_lo
	v_mov_b32_e32 v11, 0
	v_add_co_u32 v7, vcc_lo, v7, -8
	v_add_co_ci_u32_e64 v8, null, -1, v8, vcc_lo
	v_cmp_gt_i32_e32 vcc_lo, s10, v9
	v_mov_b32_e32 v9, 0
	v_mov_b32_e32 v12, 0
	;; [unrolled: 1-line block ×3, first 2 shown]
	s_sub_i32 s11, s10, 32
	v_cndmask_b32_e32 v8, v8, v4, vcc_lo
	v_cndmask_b32_e32 v7, v7, v3, vcc_lo
	s_mov_b32 s27, exec_lo
	v_cmpx_gt_i32_e64 s11, v13
	s_cbranch_execz .LBB160_37
; %bb.36:
	flat_load_dwordx2 v[9:10], v[7:8]
.LBB160_37:
	s_or_b32 exec_lo, exec_lo, s27
	v_add_nc_u32_e32 v18, 8, v13
	v_mad_u32_u24 v19, 0x108, v13, v23
	s_mov_b32 s27, exec_lo
	s_waitcnt vmcnt(0) lgkmcnt(0)
	ds_write_b64 v19, v[9:10]
	v_cmpx_gt_i32_e64 s11, v18
	s_cbranch_execz .LBB160_39
; %bb.38:
	s_lshl_b64 s[28:29], s[16:17], 6
	v_add_co_u32 v9, s7, v7, s28
	v_add_co_ci_u32_e64 v10, null, s29, v8, s7
	flat_load_dwordx2 v[11:12], v[9:10]
.LBB160_39:
	s_or_b32 exec_lo, exec_lo, s27
	v_mov_b32_e32 v9, 0
	v_mov_b32_e32 v18, 0
	v_add_nc_u32_e32 v31, 16, v13
	v_add_nc_u32_e32 v29, v22, v23
	v_mov_b32_e32 v10, 0
	v_mov_b32_e32 v19, 0
	s_mov_b32 s27, exec_lo
	s_waitcnt vmcnt(0) lgkmcnt(0)
	ds_write_b64 v29, v[11:12] offset:2112
	v_cmpx_gt_i32_e64 s11, v31
	s_cbranch_execz .LBB160_41
; %bb.40:
	s_lshl_b64 s[28:29], s[16:17], 7
	v_add_co_u32 v11, s7, v7, s28
	v_add_co_ci_u32_e64 v12, null, s29, v8, s7
	flat_load_dwordx2 v[18:19], v[11:12]
.LBB160_41:
	s_or_b32 exec_lo, exec_lo, s27
	v_add_nc_u32_e32 v11, 24, v13
	s_waitcnt vmcnt(0) lgkmcnt(0)
	ds_write_b64 v29, v[18:19] offset:4224
	v_cmp_gt_i32_e64 s7, s11, v11
	s_and_saveexec_b32 s11, s7
	s_cbranch_execz .LBB160_43
; %bb.42:
	v_mad_u64_u32 v[9:10], null, 0xc0, s16, v[7:8]
	v_mad_u64_u32 v[10:11], null, 0xc0, s17, v[10:11]
	flat_load_dwordx2 v[9:10], v[9:10]
.LBB160_43:
	s_or_b32 exec_lo, exec_lo, s11
	v_add_co_u32 v7, s7, v7, v20
	v_add_co_ci_u32_e64 v8, null, 0, v8, s7
	s_waitcnt vmcnt(0) lgkmcnt(0)
	ds_write_b64 v29, v[9:10] offset:6336
	v_sub_co_u32 v7, s7, v7, s14
	v_subrev_co_ci_u32_e64 v8, null, s15, v8, s7
	v_add_co_u32 v7, s7, 0x108, v7
	v_add_co_ci_u32_e64 v8, null, 0, v8, s7
	v_cndmask_b32_e32 v7, v7, v3, vcc_lo
	v_cndmask_b32_e32 v8, v8, v4, vcc_lo
	v_mul_u32_u24_e32 v9, 0x420, v13
	v_mad_u32_u24 v29, 0x108, v13, v23
	s_branch .LBB160_46
.LBB160_44:
                                        ; implicit-def: $vgpr7_vgpr8
	v_mul_u32_u24_e32 v9, 0x420, v13
	v_mad_u32_u24 v29, 0x108, v13, v23
	s_cbranch_execz .LBB160_46
; %bb.45:
	s_lshl_b64 s[14:15], s[16:17], 6
	v_add_co_u32 v7, vcc_lo, v5, s14
	v_add_co_ci_u32_e64 v8, null, s15, v6, vcc_lo
	v_add_co_u32 v10, vcc_lo, v7, s14
	v_add_co_ci_u32_e64 v11, null, s15, v8, vcc_lo
	;; [unrolled: 2-line block ×3, first 2 shown]
	s_clause 0x3
	flat_load_dwordx2 v[5:6], v[5:6] offset:256
	flat_load_dwordx2 v[31:32], v[7:8] offset:256
	;; [unrolled: 1-line block ×4, first 2 shown]
	v_mov_b32_e32 v8, v4
	v_mov_b32_e32 v7, v3
	s_waitcnt vmcnt(3) lgkmcnt(3)
	ds_write_b64 v29, v[5:6]
	s_waitcnt vmcnt(2) lgkmcnt(3)
	ds_write_b64 v29, v[31:32] offset:2112
	s_waitcnt vmcnt(1) lgkmcnt(3)
	ds_write_b64 v29, v[10:11] offset:4224
	;; [unrolled: 2-line block ×3, first 2 shown]
.LBB160_46:
	v_mul_u32_u24_e32 v4, 0x108, v28
	v_add_nc_u32_e32 v28, v23, v9
	v_lshl_add_u32 v3, v27, 3, v25
	s_waitcnt lgkmcnt(0)
	s_barrier
	buffer_gl0_inv
	s_and_saveexec_b32 s7, s2
	s_cbranch_execz .LBB160_50
; %bb.47:
	ds_read_b64 v[5:6], v28
	s_waitcnt lgkmcnt(0)
	ds_write_b64 v3, v[5:6]
	s_or_b32 exec_lo, exec_lo, s7
	v_add_nc_u32_e32 v27, v23, v4
	s_and_saveexec_b32 s2, s3
	s_cbranch_execnz .LBB160_51
.LBB160_48:
	s_or_b32 exec_lo, exec_lo, s2
	s_and_saveexec_b32 s2, s4
	s_cbranch_execz .LBB160_52
.LBB160_49:
	ds_read_b64 v[4:5], v27 offset:264
	s_waitcnt lgkmcnt(0)
	ds_write_b64 v3, v[4:5] offset:16
	s_or_b32 exec_lo, exec_lo, s2
	v_add_nc_u32_e32 v30, 0x2380, v30
	s_and_saveexec_b32 s2, s5
	s_cbranch_execnz .LBB160_53
	s_branch .LBB160_54
.LBB160_50:
	s_or_b32 exec_lo, exec_lo, s7
	v_add_nc_u32_e32 v27, v23, v4
	s_and_saveexec_b32 s2, s3
	s_cbranch_execz .LBB160_48
.LBB160_51:
	ds_read_b64 v[4:5], v27
	s_waitcnt lgkmcnt(0)
	ds_write_b64 v3, v[4:5] offset:8
	s_or_b32 exec_lo, exec_lo, s2
	s_and_saveexec_b32 s2, s4
	s_cbranch_execnz .LBB160_49
.LBB160_52:
	s_or_b32 exec_lo, exec_lo, s2
	v_add_nc_u32_e32 v30, 0x2380, v30
	s_and_saveexec_b32 s2, s5
	s_cbranch_execz .LBB160_54
.LBB160_53:
	ds_read_b64 v[4:5], v21
	s_waitcnt lgkmcnt(0)
	ds_write_b64 v3, v[4:5] offset:24
.LBB160_54:
	s_or_b32 exec_lo, exec_lo, s2
	s_waitcnt lgkmcnt(0)
	s_barrier
	buffer_gl0_inv
	ds_read_b64 v[18:19], v28
	ds_read_b128 v[3:6], v30 offset:256
	ds_read_b128 v[9:12], v30 offset:272
	ds_read_b64 v[35:36], v21
	ds_read2_b64 v[31:34], v27 offset1:33
	v_cmp_eq_u32_e64 s2, 1, v13
	s_waitcnt lgkmcnt(0)
	s_barrier
	buffer_gl0_inv
	v_fma_f64 v[3:4], v[18:19], v[3:4], 0
	v_fma_f64 v[3:4], v[31:32], v[5:6], v[3:4]
	;; [unrolled: 1-line block ×4, first 2 shown]
	ds_write_b64 v26, v[3:4]
	s_waitcnt lgkmcnt(0)
	s_barrier
	buffer_gl0_inv
	s_and_saveexec_b32 s3, s2
	s_cbranch_execz .LBB160_56
; %bb.55:
	ds_read2_b64 v[3:6], v25 offset1:1
	ds_read2_b64 v[9:12], v25 offset0:2 offset1:3
	s_waitcnt lgkmcnt(1)
	v_add_f64 v[3:4], v[3:4], v[5:6]
	s_waitcnt lgkmcnt(0)
	v_add_f64 v[3:4], v[3:4], v[9:10]
	v_add_f64 v[18:19], v[3:4], v[11:12]
	ds_read2_b64 v[3:6], v25 offset0:4 offset1:5
	ds_read2_b64 v[9:12], v25 offset0:6 offset1:7
	s_waitcnt lgkmcnt(1)
	v_add_f64 v[3:4], v[18:19], v[3:4]
	v_add_f64 v[3:4], v[3:4], v[5:6]
	s_waitcnt lgkmcnt(0)
	v_add_f64 v[3:4], v[3:4], v[9:10]
	v_add_f64 v[60:61], v[3:4], v[11:12]
.LBB160_56:
	s_or_b32 exec_lo, exec_lo, s3
	v_add_co_u32 v3, vcc_lo, 0xffffff00, v7
	v_add_co_ci_u32_e64 v4, null, -1, v8, vcc_lo
	s_and_b32 vcc_lo, exec_lo, s26
	s_barrier
	buffer_gl0_inv
	s_cbranch_vccz .LBB160_66
; %bb.57:
	v_sub_co_u32 v5, vcc_lo, v3, v20
	s_ashr_i32 s11, s10, 31
	v_subrev_co_ci_u32_e64 v6, null, 0, v4, vcc_lo
	s_lshl_b64 s[4:5], s[10:11], 3
	v_mov_b32_e32 v9, 0
	v_add_co_u32 v5, vcc_lo, v5, s4
	v_add_co_ci_u32_e64 v6, null, s5, v6, vcc_lo
	v_mov_b32_e32 v7, 0
	v_add_co_u32 v5, vcc_lo, v5, -8
	v_add_co_ci_u32_e64 v6, null, -1, v6, vcc_lo
	v_cmp_gt_i32_e32 vcc_lo, s10, v2
	v_mov_b32_e32 v10, 0
	v_mov_b32_e32 v8, 0
	s_sub_i32 s7, s10, 32
	s_mov_b32 s11, exec_lo
	v_cndmask_b32_e32 v6, v6, v4, vcc_lo
	v_cndmask_b32_e32 v5, v5, v3, vcc_lo
	v_cmpx_gt_i32_e64 s7, v13
	s_cbranch_execz .LBB160_59
; %bb.58:
	flat_load_dwordx2 v[7:8], v[5:6]
.LBB160_59:
	s_or_b32 exec_lo, exec_lo, s11
	v_add_nc_u32_e32 v31, 8, v13
	s_mov_b32 s11, exec_lo
	s_waitcnt vmcnt(0) lgkmcnt(0)
	ds_write_b64 v29, v[7:8]
	v_cmpx_gt_i32_e64 s7, v31
	s_cbranch_execz .LBB160_61
; %bb.60:
	s_lshl_b64 s[14:15], s[16:17], 6
	v_add_co_u32 v7, s3, v5, s14
	v_add_co_ci_u32_e64 v8, null, s15, v6, s3
	flat_load_dwordx2 v[9:10], v[7:8]
.LBB160_61:
	s_or_b32 exec_lo, exec_lo, s11
	v_mov_b32_e32 v7, 0
	v_mov_b32_e32 v11, 0
	v_add_nc_u32_e32 v2, 16, v13
	v_add_nc_u32_e32 v22, v22, v23
	v_mov_b32_e32 v8, 0
	v_mov_b32_e32 v12, 0
	s_mov_b32 s11, exec_lo
	s_waitcnt vmcnt(0) lgkmcnt(0)
	ds_write_b64 v22, v[9:10] offset:2112
	v_cmpx_gt_i32_e64 s7, v2
	s_cbranch_execz .LBB160_63
; %bb.62:
	s_lshl_b64 s[14:15], s[16:17], 7
	v_add_co_u32 v9, s3, v5, s14
	v_add_co_ci_u32_e64 v10, null, s15, v6, s3
	flat_load_dwordx2 v[11:12], v[9:10]
.LBB160_63:
	s_or_b32 exec_lo, exec_lo, s11
	v_add_nc_u32_e32 v9, 24, v13
	s_waitcnt vmcnt(0) lgkmcnt(0)
	ds_write_b64 v22, v[11:12] offset:4224
	v_cmp_gt_i32_e64 s3, s7, v9
	s_and_saveexec_b32 s7, s3
	s_cbranch_execz .LBB160_65
; %bb.64:
	v_mad_u64_u32 v[7:8], null, 0xc0, s16, v[5:6]
	v_mad_u64_u32 v[10:11], null, 0xc0, s17, v[8:9]
	v_mov_b32_e32 v8, v10
	flat_load_dwordx2 v[7:8], v[7:8]
.LBB160_65:
	s_or_b32 exec_lo, exec_lo, s7
	v_add_co_u32 v5, s3, v5, v20
	v_add_co_ci_u32_e64 v6, null, 0, v6, s3
	s_waitcnt vmcnt(0) lgkmcnt(0)
	ds_write_b64 v22, v[7:8] offset:6336
	v_sub_co_u32 v5, s3, v5, s4
	v_subrev_co_ci_u32_e64 v6, null, s5, v6, s3
	v_add_co_u32 v5, s3, v5, 8
	v_add_co_ci_u32_e64 v6, null, 0, v6, s3
	v_cndmask_b32_e32 v18, v5, v3, vcc_lo
	v_cndmask_b32_e32 v19, v6, v4, vcc_lo
	s_branch .LBB160_68
.LBB160_66:
                                        ; implicit-def: $vgpr18_vgpr19
                                        ; implicit-def: $vgpr31
                                        ; implicit-def: $vgpr2
                                        ; implicit-def: $vgpr9
	s_cbranch_execz .LBB160_68
; %bb.67:
	s_lshl_b64 s[4:5], s[16:17], 6
	v_mov_b32_e32 v19, v4
	v_add_co_u32 v5, vcc_lo, v3, s4
	v_add_co_ci_u32_e64 v6, null, s5, v4, vcc_lo
	v_add_nc_u32_e32 v31, 8, v13
	v_add_co_u32 v7, vcc_lo, v5, s4
	v_add_co_ci_u32_e64 v8, null, s5, v6, vcc_lo
	v_add_nc_u32_e32 v2, 16, v13
	v_add_co_u32 v9, vcc_lo, v7, s4
	v_add_co_ci_u32_e64 v10, null, s5, v8, vcc_lo
	s_clause 0x3
	flat_load_dwordx2 v[11:12], v[3:4]
	flat_load_dwordx2 v[5:6], v[5:6]
	;; [unrolled: 1-line block ×4, first 2 shown]
	v_add_nc_u32_e32 v9, 24, v13
	v_mov_b32_e32 v18, v3
	s_waitcnt vmcnt(3) lgkmcnt(3)
	ds_write_b64 v29, v[11:12]
	s_waitcnt vmcnt(2) lgkmcnt(3)
	ds_write_b64 v29, v[5:6] offset:2112
	s_waitcnt vmcnt(1) lgkmcnt(3)
	ds_write_b64 v29, v[7:8] offset:4224
	;; [unrolled: 2-line block ×3, first 2 shown]
.LBB160_68:
	v_lshlrev_b32_e32 v7, 3, v13
	v_lshlrev_b32_e32 v10, 3, v31
	s_waitcnt lgkmcnt(0)
	s_barrier
	buffer_gl0_inv
	v_add_nc_u32_e32 v3, v25, v7
	v_lshlrev_b32_e32 v2, 3, v2
	v_lshlrev_b32_e32 v13, 3, v9
	ds_read_b64 v[3:4], v3
	ds_read_b64 v[5:6], v10 offset:9088
	ds_read_b64 v[7:8], v7 offset:9088
	v_add_nc_u32_e32 v10, v25, v10
	ds_read_b64 v[20:21], v21
	v_add_nc_u32_e32 v22, v25, v2
	s_waitcnt lgkmcnt(1)
	v_fma_f64 v[3:4], v[3:4], v[7:8], 0
	ds_read_b64 v[7:8], v10
	ds_read_b64 v[9:10], v13 offset:9088
	ds_read_b64 v[11:12], v2 offset:9088
	s_waitcnt lgkmcnt(2)
	v_fma_f64 v[2:3], v[7:8], v[5:6], v[3:4]
	ds_read_b64 v[4:5], v22
	v_add_nc_u32_e32 v6, v25, v13
	s_waitcnt lgkmcnt(0)
	v_fma_f64 v[2:3], v[4:5], v[11:12], v[2:3]
	ds_read_b64 v[4:5], v6
	ds_read_b64 v[22:23], v28
	s_waitcnt lgkmcnt(1)
	v_fma_f64 v[28:29], v[4:5], v[9:10], v[2:3]
	ds_read_b128 v[10:13], v30 offset:256
	ds_read_b128 v[2:5], v30 offset:272
	ds_read2_b64 v[6:9], v27 offset1:33
	s_waitcnt lgkmcnt(0)
	s_barrier
	buffer_gl0_inv
	ds_write_b64 v26, v[28:29]
	s_waitcnt lgkmcnt(0)
	s_barrier
	buffer_gl0_inv
	s_and_saveexec_b32 s3, s2
	s_cbranch_execz .LBB160_70
; %bb.69:
	ds_read2_b64 v[27:30], v25 offset1:1
	ds_read2_b64 v[31:34], v25 offset0:2 offset1:3
	s_waitcnt lgkmcnt(1)
	v_add_f64 v[27:28], v[60:61], v[27:28]
	v_add_f64 v[27:28], v[27:28], v[29:30]
	s_waitcnt lgkmcnt(0)
	v_add_f64 v[27:28], v[27:28], v[31:32]
	v_add_f64 v[35:36], v[27:28], v[33:34]
	ds_read2_b64 v[27:30], v25 offset0:4 offset1:5
	ds_read2_b64 v[31:34], v25 offset0:6 offset1:7
	s_waitcnt lgkmcnt(1)
	v_add_f64 v[27:28], v[35:36], v[27:28]
	v_add_f64 v[27:28], v[27:28], v[29:30]
	s_waitcnt lgkmcnt(0)
	v_add_f64 v[27:28], v[27:28], v[31:32]
	v_add_f64 v[60:61], v[27:28], v[33:34]
.LBB160_70:
	s_or_b32 exec_lo, exec_lo, s3
	v_fma_f64 v[10:11], v[22:23], v[10:11], 0
	s_barrier
	buffer_gl0_inv
	v_fma_f64 v[6:7], v[6:7], v[12:13], v[10:11]
	v_fma_f64 v[2:3], v[8:9], v[2:3], v[6:7]
	;; [unrolled: 1-line block ×3, first 2 shown]
	ds_write_b64 v26, v[2:3]
	s_waitcnt lgkmcnt(0)
	s_barrier
	buffer_gl0_inv
	s_and_saveexec_b32 s2, s1
	s_cbranch_execz .LBB160_72
; %bb.71:
	ds_read2_b64 v[2:5], v25 offset1:1
	ds_read2_b64 v[6:9], v25 offset0:2 offset1:3
	s_waitcnt lgkmcnt(1)
	v_add_f64 v[2:3], v[60:61], v[2:3]
	v_add_f64 v[2:3], v[2:3], v[4:5]
	s_waitcnt lgkmcnt(0)
	v_add_f64 v[2:3], v[2:3], v[6:7]
	v_add_f64 v[10:11], v[2:3], v[8:9]
	ds_read2_b64 v[2:5], v25 offset0:4 offset1:5
	ds_read2_b64 v[6:9], v25 offset0:6 offset1:7
	s_waitcnt lgkmcnt(1)
	v_add_f64 v[2:3], v[10:11], v[2:3]
	v_add_f64 v[2:3], v[2:3], v[4:5]
	s_waitcnt lgkmcnt(0)
	v_add_f64 v[2:3], v[2:3], v[6:7]
	v_add_f64 v[60:61], v[2:3], v[8:9]
.LBB160_72:
	s_or_b32 exec_lo, exec_lo, s2
	s_mul_hi_u32 s1, s24, s18
	s_mul_i32 s25, s25, s18
	s_mul_i32 s2, s24, s18
	s_add_i32 s1, s1, s25
	s_mul_hi_u32 s3, s2, s19
	s_mul_i32 s1, s1, s19
	s_mul_i32 s2, s2, s19
	s_add_i32 s3, s3, s1
	s_mul_hi_i32 s5, s24, s6
	s_lshl_b64 s[2:3], s[2:3], 3
	s_mul_i32 s4, s24, s6
	s_add_u32 s1, s20, s2
	s_addc_u32 s2, s21, s3
	s_lshl_b64 s[4:5], s[4:5], 3
	v_lshlrev_b32_e32 v94, 3, v0
	s_add_u32 s3, s1, s4
	s_addc_u32 s7, s2, s5
	s_add_i32 s1, s6, 1
	s_cmp_ge_u32 s1, s19
	s_barrier
	buffer_gl0_inv
	s_cbranch_scc1 .LBB160_129
; %bb.73:
	v_lshrrev_b32_e32 v2, 4, v24
	v_lshlrev_b32_e32 v12, 5, v1
	v_and_b32_e32 v5, 48, v0
	v_and_b32_e32 v4, 15, v0
	v_or_b32_e32 v7, 0x78, v94
	v_lshlrev_b32_e32 v3, 5, v2
	v_add_nc_u32_e32 v6, 0x110, v12
	v_lshlrev_b32_e32 v5, 3, v5
	v_add_nc_u32_e32 v9, 0x118, v12
	s_mul_i32 s1, s8, s13
	s_mul_hi_u32 s2, s8, s12
	v_mad_u32_u24 v101, 0x218, v4, v3
	v_mul_i32_i24_e32 v13, 0xffffffe8, v2
	v_mad_u64_u32 v[2:3], null, s16, v6, 0
	v_mad_u32_u24 v102, 0x218, v4, v5
	v_mad_u32_u24 v103, 0x218, v4, v7
	v_mad_u64_u32 v[4:5], null, s16, v9, 0
	s_mul_i32 s4, s9, s12
	s_add_i32 s1, s2, s1
	v_add_nc_u32_e32 v25, 0x188, v12
	s_add_i32 s5, s1, s4
	s_mul_i32 s4, s8, s12
	v_cmp_gt_u32_e64 s1, 64, v24
	s_lshl_b64 s[4:5], s[4:5], 3
	v_mad_u64_u32 v[6:7], null, s17, v6, v[3:4]
	v_sub_co_u32 v96, vcc_lo, v16, s4
	v_mov_b32_e32 v3, v5
	v_subrev_co_ci_u32_e64 v97, null, s5, v17, vcc_lo
	v_add_nc_u32_e32 v16, 0x108, v12
	v_add_nc_u32_e32 v17, 0x100, v12
	v_mad_u64_u32 v[9:10], null, s17, v9, v[3:4]
	v_sub_co_u32 v20, vcc_lo, v2, v14
	v_mad_u64_u32 v[7:8], null, s16, v16, 0
	v_mad_u64_u32 v[10:11], null, s16, v17, 0
	v_sub_co_ci_u32_e64 v21, null, v6, v15, vcc_lo
	v_sub_co_u32 v22, vcc_lo, v4, v14
	v_mov_b32_e32 v2, v8
	v_add_nc_u32_e32 v8, 0x190, v12
	v_mov_b32_e32 v3, v11
	v_sub_co_ci_u32_e64 v23, null, v9, v15, vcc_lo
	v_add_nc_u32_e32 v9, 0x198, v12
	v_sub_co_u32 v11, vcc_lo, v7, v14
	v_mad_u64_u32 v[4:5], null, s17, v16, v[2:3]
	v_mad_u64_u32 v[5:6], null, s16, v8, 0
	v_add_nc_u32_e32 v26, 0x180, v12
	v_add_nc_u32_e32 v33, 0x208, v12
	;; [unrolled: 1-line block ×4, first 2 shown]
	v_mad_u64_u32 v[2:3], null, s17, v17, v[3:4]
	v_mov_b32_e32 v3, v6
	v_mad_u64_u32 v[6:7], null, s16, v9, 0
	v_sub_co_ci_u32_e64 v16, null, v4, v15, vcc_lo
	v_sub_co_u32 v17, vcc_lo, v10, v14
	v_sub_co_ci_u32_e64 v24, null, v2, v15, vcc_lo
	v_mad_u64_u32 v[2:3], null, s17, v8, v[3:4]
	v_mov_b32_e32 v3, v7
	v_mad_u64_u32 v[7:8], null, s16, v25, 0
	v_sub_co_u32 v27, vcc_lo, v5, v14
	v_mad_u64_u32 v[3:4], null, s17, v9, v[3:4]
	v_mad_u64_u32 v[9:10], null, s16, v26, 0
	v_sub_co_ci_u32_e64 v28, null, v2, v15, vcc_lo
	v_sub_co_u32 v29, vcc_lo, v6, v14
	v_mov_b32_e32 v2, v8
	v_sub_co_ci_u32_e64 v30, null, v3, v15, vcc_lo
	v_mov_b32_e32 v3, v10
	v_add_nc_u32_e32 v8, 0x210, v12
	v_add_nc_u32_e32 v10, 0x218, v12
	;; [unrolled: 1-line block ×3, first 2 shown]
	v_lshlrev_b32_e32 v95, 2, v1
	v_mad_u64_u32 v[4:5], null, s17, v25, v[2:3]
	v_mad_u64_u32 v[5:6], null, s16, v8, 0
	v_sub_co_u32 v25, vcc_lo, v7, v14
	v_add_nc_u32_e32 v99, 0x2380, v94
	v_mad_u32_u24 v100, 0x860, v1, v94
	v_mad_u64_u32 v[2:3], null, s17, v26, v[3:4]
	v_mov_b32_e32 v3, v6
	v_mad_u64_u32 v[6:7], null, s16, v10, 0
	v_sub_co_ci_u32_e64 v26, null, v4, v15, vcc_lo
	v_sub_co_u32 v31, vcc_lo, v9, v14
	v_sub_co_ci_u32_e64 v32, null, v2, v15, vcc_lo
	v_mad_u64_u32 v[2:3], null, s17, v8, v[3:4]
	v_mov_b32_e32 v3, v7
	v_mad_u64_u32 v[7:8], null, s16, v33, 0
	v_sub_co_u32 v35, vcc_lo, v5, v14
	v_mad_u64_u32 v[3:4], null, s17, v10, v[3:4]
	v_mad_u64_u32 v[9:10], null, s16, v34, 0
	v_sub_co_ci_u32_e64 v36, null, v2, v15, vcc_lo
	v_sub_co_u32 v37, vcc_lo, v6, v14
	v_mov_b32_e32 v2, v8
	v_sub_co_ci_u32_e64 v38, null, v3, v15, vcc_lo
	v_mov_b32_e32 v3, v10
	v_add_nc_u32_e32 v8, 0x290, v12
	v_add_nc_u32_e32 v10, 0x298, v12
	;; [unrolled: 1-line block ×3, first 2 shown]
	v_or_b32_e32 v104, 1, v95
	v_mad_u64_u32 v[4:5], null, s17, v33, v[2:3]
	v_mad_u64_u32 v[5:6], null, s16, v8, 0
	v_sub_co_u32 v33, vcc_lo, v7, v14
	v_or_b32_e32 v105, 2, v95
	v_or_b32_e32 v106, 3, v95
	v_mad_u64_u32 v[2:3], null, s17, v34, v[3:4]
	v_mov_b32_e32 v3, v6
	v_mad_u64_u32 v[6:7], null, s16, v10, 0
	v_sub_co_ci_u32_e64 v34, null, v4, v15, vcc_lo
	v_sub_co_u32 v39, vcc_lo, v9, v14
	v_sub_co_ci_u32_e64 v40, null, v2, v15, vcc_lo
	v_mad_u64_u32 v[2:3], null, s17, v8, v[3:4]
	v_mov_b32_e32 v3, v7
	v_mad_u64_u32 v[7:8], null, s16, v41, 0
	v_sub_co_u32 v42, vcc_lo, v5, v14
	v_mad_u64_u32 v[3:4], null, s17, v10, v[3:4]
	v_mad_u64_u32 v[9:10], null, s16, v12, 0
	v_sub_co_ci_u32_e64 v43, null, v2, v15, vcc_lo
	v_sub_co_u32 v6, vcc_lo, v6, v14
	v_mov_b32_e32 v2, v8
	v_sub_co_ci_u32_e64 v8, null, v3, v15, vcc_lo
	v_mov_b32_e32 v3, v10
	v_add_nc_u32_e32 v107, 16, v95
	v_add_nc_u32_e32 v108, 17, v95
	v_add_nc_u32_e32 v109, 18, v95
	v_add_nc_u32_e32 v110, 19, v95
	v_mad_u64_u32 v[4:5], null, s17, v41, v[2:3]
	v_add_nc_u32_e32 v111, 32, v95
	v_add_nc_u32_e32 v112, 33, v95
	;; [unrolled: 1-line block ×6, first 2 shown]
	v_mad_u64_u32 v[2:3], null, s17, v12, v[3:4]
	v_sub_co_u32 v3, vcc_lo, v7, v14
	v_sub_co_ci_u32_e64 v4, null, v4, v15, vcc_lo
	v_sub_co_u32 v5, vcc_lo, v9, v14
	v_sub_co_ci_u32_e64 v2, null, v2, v15, vcc_lo
	v_add_co_u32 v116, vcc_lo, v18, v20
	v_add_co_ci_u32_e64 v117, null, v19, v21, vcc_lo
	v_add_co_u32 v118, vcc_lo, v18, v22
	v_add_co_ci_u32_e64 v119, null, v19, v23, vcc_lo
	;; [unrolled: 2-line block ×16, first 2 shown]
	v_add_nc_u32_e32 v149, 50, v95
	v_add_nc_u32_e32 v150, v101, v13
	;; [unrolled: 1-line block ×3, first 2 shown]
	s_add_i32 s11, s19, -2
	s_add_i32 s12, s12, 64
	s_lshl_b64 s[4:5], s[16:17], 9
	s_cmp_eq_u32 s11, s6
	s_cselect_b32 s13, s22, 0
	s_and_saveexec_b32 s2, s0
	s_cbranch_execz .LBB160_78
	s_branch .LBB160_75
.LBB160_74:                             ;   in Loop: Header=BB160_78 Depth=1
	s_mov_b32 s6, s2
	s_cmp_eq_u32 s11, s6
	s_cselect_b32 s13, s22, 0
	s_and_saveexec_b32 s2, s0
	s_cbranch_execz .LBB160_78
.LBB160_75:
	v_cmp_gt_i32_e32 vcc_lo, s13, v0
	s_cmp_eq_u32 s13, 0
	v_mov_b32_e32 v2, 0
	v_mov_b32_e32 v3, 0
	s_cselect_b32 s14, -1, 0
	s_or_b32 s15, s14, vcc_lo
	s_and_saveexec_b32 s14, s15
	s_cbranch_execz .LBB160_77
; %bb.76:
	s_ashr_i32 s15, s12, 31
	s_mul_hi_u32 s16, s8, s12
	s_mul_i32 s15, s8, s15
	s_mul_i32 s17, s9, s12
	s_add_i32 s15, s16, s15
	s_mul_i32 s16, s8, s12
	s_add_i32 s17, s15, s17
	s_lshl_b64 s[16:17], s[16:17], 3
	v_add_co_u32 v2, vcc_lo, v96, s16
	v_add_co_ci_u32_e64 v3, null, s17, v97, vcc_lo
	flat_load_dwordx2 v[2:3], v[2:3]
.LBB160_77:
	s_or_b32 exec_lo, exec_lo, s14
	v_add_nc_u32_e32 v4, 0x2180, v94
	s_waitcnt vmcnt(0) lgkmcnt(0)
	ds_write_b64 v4, v[2:3]
.LBB160_78:                             ; =>This Inner Loop Header: Depth=1
	s_or_b32 exec_lo, exec_lo, s2
	s_cmp_eq_u32 s13, 0
	v_add_co_u32 v2, vcc_lo, v122, v94
	s_cselect_b32 s14, -1, 0
	s_cmp_lg_u32 s13, 0
	v_add_co_ci_u32_e64 v3, null, 0, v123, vcc_lo
	s_cselect_b32 s2, -1, 0
	s_mov_b32 s15, -1
	s_and_b32 vcc_lo, exec_lo, s2
	s_waitcnt lgkmcnt(0)
	s_barrier
	buffer_gl0_inv
                                        ; implicit-def: $vgpr68_vgpr69
                                        ; implicit-def: $vgpr66_vgpr67
                                        ; implicit-def: $vgpr64_vgpr65
                                        ; implicit-def: $vgpr62_vgpr63
	s_cbranch_vccz .LBB160_88
; %bb.79:                               ;   in Loop: Header=BB160_78 Depth=1
	v_mov_b32_e32 v64, 0
	v_mov_b32_e32 v62, 0
	v_mov_b32_e32 v65, 0
	v_mov_b32_e32 v63, 0
	s_mov_b32 s15, exec_lo
	v_cmpx_gt_i32_e64 s13, v95
	s_cbranch_execz .LBB160_81
; %bb.80:                               ;   in Loop: Header=BB160_78 Depth=1
	flat_load_dwordx2 v[62:63], v[2:3]
.LBB160_81:                             ;   in Loop: Header=BB160_78 Depth=1
	s_or_b32 exec_lo, exec_lo, s15
	s_mov_b32 s15, exec_lo
	v_cmpx_gt_i32_e64 s13, v104
	s_cbranch_execz .LBB160_83
; %bb.82:                               ;   in Loop: Header=BB160_78 Depth=1
	v_add_co_u32 v4, vcc_lo, v120, v94
	v_add_co_ci_u32_e64 v5, null, 0, v121, vcc_lo
	flat_load_dwordx2 v[64:65], v[4:5]
.LBB160_83:                             ;   in Loop: Header=BB160_78 Depth=1
	s_or_b32 exec_lo, exec_lo, s15
	v_mov_b32_e32 v68, 0
	v_mov_b32_e32 v66, 0
	;; [unrolled: 1-line block ×4, first 2 shown]
	s_mov_b32 s15, exec_lo
	v_cmpx_gt_i32_e64 s13, v105
	s_cbranch_execz .LBB160_85
; %bb.84:                               ;   in Loop: Header=BB160_78 Depth=1
	v_add_co_u32 v4, vcc_lo, v116, v94
	v_add_co_ci_u32_e64 v5, null, 0, v117, vcc_lo
	flat_load_dwordx2 v[66:67], v[4:5]
.LBB160_85:                             ;   in Loop: Header=BB160_78 Depth=1
	s_or_b32 exec_lo, exec_lo, s15
	s_mov_b32 s15, exec_lo
	v_cmpx_gt_i32_e64 s13, v106
	s_cbranch_execz .LBB160_87
; %bb.86:                               ;   in Loop: Header=BB160_78 Depth=1
	v_add_co_u32 v4, vcc_lo, v118, v94
	v_add_co_ci_u32_e64 v5, null, 0, v119, vcc_lo
	flat_load_dwordx2 v[68:69], v[4:5]
.LBB160_87:                             ;   in Loop: Header=BB160_78 Depth=1
	s_or_b32 exec_lo, exec_lo, s15
	s_mov_b32 s15, 0
.LBB160_88:                             ;   in Loop: Header=BB160_78 Depth=1
	s_and_b32 vcc_lo, exec_lo, s15
	s_cbranch_vccz .LBB160_90
; %bb.89:                               ;   in Loop: Header=BB160_78 Depth=1
	v_add_co_u32 v4, vcc_lo, v120, v94
	v_add_co_ci_u32_e64 v5, null, 0, v121, vcc_lo
	v_add_co_u32 v6, vcc_lo, v116, v94
	v_add_co_ci_u32_e64 v7, null, 0, v117, vcc_lo
	;; [unrolled: 2-line block ×3, first 2 shown]
	s_waitcnt vmcnt(0) lgkmcnt(0)
	flat_load_dwordx2 v[62:63], v[2:3]
	flat_load_dwordx2 v[64:65], v[4:5]
	flat_load_dwordx2 v[66:67], v[6:7]
	flat_load_dwordx2 v[68:69], v[8:9]
.LBB160_90:                             ;   in Loop: Header=BB160_78 Depth=1
	ds_read_b64 v[2:3], v99
	v_add_co_u32 v18, vcc_lo, v130, v94
	v_cndmask_b32_e64 v42, 0, 1, s2
	v_add_co_ci_u32_e64 v19, null, 0, v131, vcc_lo
	s_andn2_b32 vcc_lo, exec_lo, s2
	s_mov_b32 s2, -1
                                        ; implicit-def: $vgpr76_vgpr77
                                        ; implicit-def: $vgpr74_vgpr75
                                        ; implicit-def: $vgpr72_vgpr73
                                        ; implicit-def: $vgpr70_vgpr71
	s_waitcnt vmcnt(0) lgkmcnt(0)
	v_mul_f64 v[10:11], v[62:63], v[2:3]
	v_mul_f64 v[12:13], v[64:65], v[2:3]
	;; [unrolled: 1-line block ×4, first 2 shown]
	ds_read_b128 v[6:9], v98
	ds_read_b128 v[2:5], v98 offset:16
	ds_write2_b64 v100, v[10:11], v[12:13] offset1:67
	ds_write2_b64 v100, v[14:15], v[16:17] offset0:134 offset1:201
	s_waitcnt lgkmcnt(0)
	s_barrier
	buffer_gl0_inv
	ds_read2_b64 v[14:17], v101 offset1:1
	ds_read2_b64 v[10:13], v101 offset0:2 offset1:3
	s_waitcnt lgkmcnt(0)
	s_barrier
	buffer_gl0_inv
	s_cbranch_vccnz .LBB160_100
; %bb.91:                               ;   in Loop: Header=BB160_78 Depth=1
	v_mov_b32_e32 v72, 0
	v_mov_b32_e32 v70, 0
	;; [unrolled: 1-line block ×4, first 2 shown]
	s_mov_b32 s2, exec_lo
	v_cmpx_gt_i32_e64 s13, v107
	s_cbranch_execz .LBB160_93
; %bb.92:                               ;   in Loop: Header=BB160_78 Depth=1
	flat_load_dwordx2 v[70:71], v[18:19]
.LBB160_93:                             ;   in Loop: Header=BB160_78 Depth=1
	s_or_b32 exec_lo, exec_lo, s2
	s_mov_b32 s2, exec_lo
	v_cmpx_gt_i32_e64 s13, v108
	s_cbranch_execz .LBB160_95
; %bb.94:                               ;   in Loop: Header=BB160_78 Depth=1
	v_add_co_u32 v20, vcc_lo, v128, v94
	v_add_co_ci_u32_e64 v21, null, 0, v129, vcc_lo
	flat_load_dwordx2 v[72:73], v[20:21]
.LBB160_95:                             ;   in Loop: Header=BB160_78 Depth=1
	s_or_b32 exec_lo, exec_lo, s2
	v_mov_b32_e32 v76, 0
	v_mov_b32_e32 v74, 0
	;; [unrolled: 1-line block ×4, first 2 shown]
	s_mov_b32 s2, exec_lo
	v_cmpx_gt_i32_e64 s13, v109
	s_cbranch_execz .LBB160_97
; %bb.96:                               ;   in Loop: Header=BB160_78 Depth=1
	v_add_co_u32 v20, vcc_lo, v124, v94
	v_add_co_ci_u32_e64 v21, null, 0, v125, vcc_lo
	flat_load_dwordx2 v[74:75], v[20:21]
.LBB160_97:                             ;   in Loop: Header=BB160_78 Depth=1
	s_or_b32 exec_lo, exec_lo, s2
	s_mov_b32 s2, exec_lo
	v_cmpx_gt_i32_e64 s13, v110
	s_cbranch_execz .LBB160_99
; %bb.98:                               ;   in Loop: Header=BB160_78 Depth=1
	v_add_co_u32 v20, vcc_lo, v126, v94
	v_add_co_ci_u32_e64 v21, null, 0, v127, vcc_lo
	flat_load_dwordx2 v[76:77], v[20:21]
.LBB160_99:                             ;   in Loop: Header=BB160_78 Depth=1
	s_or_b32 exec_lo, exec_lo, s2
	s_mov_b32 s2, 0
.LBB160_100:                            ;   in Loop: Header=BB160_78 Depth=1
	s_and_b32 vcc_lo, exec_lo, s2
	s_cbranch_vccz .LBB160_102
; %bb.101:                              ;   in Loop: Header=BB160_78 Depth=1
	v_add_co_u32 v20, vcc_lo, v128, v94
	v_add_co_ci_u32_e64 v21, null, 0, v129, vcc_lo
	v_add_co_u32 v22, vcc_lo, v124, v94
	v_add_co_ci_u32_e64 v23, null, 0, v125, vcc_lo
	;; [unrolled: 2-line block ×3, first 2 shown]
	s_waitcnt vmcnt(0) lgkmcnt(0)
	flat_load_dwordx2 v[70:71], v[18:19]
	flat_load_dwordx2 v[72:73], v[20:21]
	;; [unrolled: 1-line block ×4, first 2 shown]
.LBB160_102:                            ;   in Loop: Header=BB160_78 Depth=1
	ds_read_b64 v[18:19], v99
	v_cmp_ne_u32_e32 vcc_lo, 1, v42
                                        ; implicit-def: $vgpr84_vgpr85
                                        ; implicit-def: $vgpr82_vgpr83
                                        ; implicit-def: $vgpr80_vgpr81
                                        ; implicit-def: $vgpr78_vgpr79
	s_and_b32 vcc_lo, exec_lo, vcc_lo
	s_waitcnt vmcnt(0) lgkmcnt(0)
	v_mul_f64 v[26:27], v[70:71], v[18:19]
	v_mul_f64 v[28:29], v[72:73], v[18:19]
	;; [unrolled: 1-line block ×4, first 2 shown]
	ds_read_b128 v[22:25], v98 offset:128
	ds_read_b128 v[18:21], v98 offset:144
	ds_write2_b64 v100, v[26:27], v[28:29] offset1:67
	ds_write2_b64 v100, v[30:31], v[32:33] offset0:134 offset1:201
	s_waitcnt lgkmcnt(0)
	s_barrier
	buffer_gl0_inv
	ds_read2_b64 v[38:41], v101 offset1:1
	ds_read2_b64 v[26:29], v101 offset0:2 offset1:3
	v_add_co_u32 v30, s2, v138, v94
	v_add_co_ci_u32_e64 v31, null, 0, v139, s2
	s_mov_b32 s2, -1
	s_waitcnt lgkmcnt(0)
	s_barrier
	buffer_gl0_inv
	s_cbranch_vccnz .LBB160_112
; %bb.103:                              ;   in Loop: Header=BB160_78 Depth=1
	v_mov_b32_e32 v80, 0
	v_mov_b32_e32 v78, 0
	;; [unrolled: 1-line block ×4, first 2 shown]
	s_mov_b32 s2, exec_lo
	v_cmpx_gt_i32_e64 s13, v111
	s_cbranch_execz .LBB160_105
; %bb.104:                              ;   in Loop: Header=BB160_78 Depth=1
	flat_load_dwordx2 v[78:79], v[30:31]
.LBB160_105:                            ;   in Loop: Header=BB160_78 Depth=1
	s_or_b32 exec_lo, exec_lo, s2
	s_mov_b32 s2, exec_lo
	v_cmpx_gt_i32_e64 s13, v112
	s_cbranch_execz .LBB160_107
; %bb.106:                              ;   in Loop: Header=BB160_78 Depth=1
	v_add_co_u32 v32, vcc_lo, v136, v94
	v_add_co_ci_u32_e64 v33, null, 0, v137, vcc_lo
	flat_load_dwordx2 v[80:81], v[32:33]
.LBB160_107:                            ;   in Loop: Header=BB160_78 Depth=1
	s_or_b32 exec_lo, exec_lo, s2
	v_mov_b32_e32 v84, 0
	v_mov_b32_e32 v82, 0
	;; [unrolled: 1-line block ×4, first 2 shown]
	s_mov_b32 s2, exec_lo
	v_cmpx_gt_i32_e64 s13, v113
	s_cbranch_execz .LBB160_109
; %bb.108:                              ;   in Loop: Header=BB160_78 Depth=1
	v_add_co_u32 v32, vcc_lo, v132, v94
	v_add_co_ci_u32_e64 v33, null, 0, v133, vcc_lo
	flat_load_dwordx2 v[82:83], v[32:33]
.LBB160_109:                            ;   in Loop: Header=BB160_78 Depth=1
	s_or_b32 exec_lo, exec_lo, s2
	s_mov_b32 s2, exec_lo
	v_cmpx_gt_i32_e64 s13, v114
	s_cbranch_execz .LBB160_111
; %bb.110:                              ;   in Loop: Header=BB160_78 Depth=1
	v_add_co_u32 v32, vcc_lo, v134, v94
	v_add_co_ci_u32_e64 v33, null, 0, v135, vcc_lo
	flat_load_dwordx2 v[84:85], v[32:33]
.LBB160_111:                            ;   in Loop: Header=BB160_78 Depth=1
	s_or_b32 exec_lo, exec_lo, s2
	s_mov_b32 s2, 0
.LBB160_112:                            ;   in Loop: Header=BB160_78 Depth=1
	s_and_b32 vcc_lo, exec_lo, s2
	s_cbranch_vccz .LBB160_114
; %bb.113:                              ;   in Loop: Header=BB160_78 Depth=1
	v_add_co_u32 v32, vcc_lo, v136, v94
	v_add_co_ci_u32_e64 v33, null, 0, v137, vcc_lo
	v_add_co_u32 v34, vcc_lo, v132, v94
	v_add_co_ci_u32_e64 v35, null, 0, v133, vcc_lo
	;; [unrolled: 2-line block ×3, first 2 shown]
	s_waitcnt vmcnt(0) lgkmcnt(0)
	flat_load_dwordx2 v[78:79], v[30:31]
	flat_load_dwordx2 v[80:81], v[32:33]
	flat_load_dwordx2 v[82:83], v[34:35]
	flat_load_dwordx2 v[84:85], v[36:37]
.LBB160_114:                            ;   in Loop: Header=BB160_78 Depth=1
	ds_read_b64 v[30:31], v99
	v_cmp_ne_u32_e32 vcc_lo, 1, v42
	v_add_co_u32 v42, s2, v146, v94
                                        ; implicit-def: $vgpr86_vgpr87
                                        ; implicit-def: $vgpr92_vgpr93
                                        ; implicit-def: $vgpr88_vgpr89
                                        ; implicit-def: $vgpr90_vgpr91
	s_and_b32 vcc_lo, exec_lo, vcc_lo
	s_waitcnt vmcnt(0) lgkmcnt(0)
	v_mul_f64 v[43:44], v[78:79], v[30:31]
	v_mul_f64 v[45:46], v[80:81], v[30:31]
	;; [unrolled: 1-line block ×4, first 2 shown]
	ds_read_b128 v[34:37], v98 offset:256
	ds_read_b128 v[30:33], v98 offset:272
	ds_write2_b64 v100, v[43:44], v[45:46] offset1:67
	ds_write2_b64 v100, v[47:48], v[49:50] offset0:134 offset1:201
	s_waitcnt lgkmcnt(0)
	s_barrier
	buffer_gl0_inv
	ds_read2_b64 v[50:53], v101 offset1:1
	ds_read2_b64 v[46:49], v101 offset0:2 offset1:3
	v_add_co_ci_u32_e64 v43, null, 0, v147, s2
	s_mov_b32 s2, -1
	s_waitcnt lgkmcnt(0)
	s_barrier
	buffer_gl0_inv
	s_cbranch_vccnz .LBB160_124
; %bb.115:                              ;   in Loop: Header=BB160_78 Depth=1
	v_mov_b32_e32 v88, 0
	v_mov_b32_e32 v90, 0
	;; [unrolled: 1-line block ×4, first 2 shown]
	s_mov_b32 s2, exec_lo
	v_cmpx_gt_i32_e64 s13, v115
	s_cbranch_execz .LBB160_117
; %bb.116:                              ;   in Loop: Header=BB160_78 Depth=1
	flat_load_dwordx2 v[90:91], v[42:43]
.LBB160_117:                            ;   in Loop: Header=BB160_78 Depth=1
	s_or_b32 exec_lo, exec_lo, s2
	s_mov_b32 s2, exec_lo
	v_cmpx_gt_i32_e64 s13, v148
	s_cbranch_execz .LBB160_119
; %bb.118:                              ;   in Loop: Header=BB160_78 Depth=1
	v_add_co_u32 v44, vcc_lo, v144, v94
	v_add_co_ci_u32_e64 v45, null, 0, v145, vcc_lo
	flat_load_dwordx2 v[88:89], v[44:45]
.LBB160_119:                            ;   in Loop: Header=BB160_78 Depth=1
	s_or_b32 exec_lo, exec_lo, s2
	v_mov_b32_e32 v86, 0
	v_mov_b32_e32 v92, 0
	v_mov_b32_e32 v87, 0
	v_mov_b32_e32 v93, 0
	s_mov_b32 s2, exec_lo
	v_cmpx_gt_i32_e64 s13, v149
	s_cbranch_execz .LBB160_121
; %bb.120:                              ;   in Loop: Header=BB160_78 Depth=1
	v_add_co_u32 v44, vcc_lo, v140, v94
	v_add_co_ci_u32_e64 v45, null, 0, v141, vcc_lo
	flat_load_dwordx2 v[92:93], v[44:45]
.LBB160_121:                            ;   in Loop: Header=BB160_78 Depth=1
	s_or_b32 exec_lo, exec_lo, s2
	s_mov_b32 s2, exec_lo
	v_cmpx_gt_i32_e64 s13, v151
	s_cbranch_execz .LBB160_123
; %bb.122:                              ;   in Loop: Header=BB160_78 Depth=1
	v_add_co_u32 v44, vcc_lo, v142, v94
	v_add_co_ci_u32_e64 v45, null, 0, v143, vcc_lo
	flat_load_dwordx2 v[86:87], v[44:45]
.LBB160_123:                            ;   in Loop: Header=BB160_78 Depth=1
	s_or_b32 exec_lo, exec_lo, s2
	s_mov_b32 s2, 0
.LBB160_124:                            ;   in Loop: Header=BB160_78 Depth=1
	s_and_b32 vcc_lo, exec_lo, s2
	s_cbranch_vccz .LBB160_126
; %bb.125:                              ;   in Loop: Header=BB160_78 Depth=1
	v_add_co_u32 v44, vcc_lo, v144, v94
	v_add_co_ci_u32_e64 v45, null, 0, v145, vcc_lo
	v_add_co_u32 v54, vcc_lo, v140, v94
	v_add_co_ci_u32_e64 v55, null, 0, v141, vcc_lo
	v_add_co_u32 v56, vcc_lo, v142, v94
	v_add_co_ci_u32_e64 v57, null, 0, v143, vcc_lo
	s_waitcnt vmcnt(0) lgkmcnt(0)
	flat_load_dwordx2 v[90:91], v[42:43]
	flat_load_dwordx2 v[88:89], v[44:45]
	;; [unrolled: 1-line block ×4, first 2 shown]
.LBB160_126:                            ;   in Loop: Header=BB160_78 Depth=1
	ds_read_b64 v[42:43], v99
	v_add_f64 v[38:39], v[38:39], 0
	v_add_f64 v[14:15], v[14:15], 0
	;; [unrolled: 1-line block ×3, first 2 shown]
	v_cmp_gt_i32_e32 vcc_lo, s13, v0
	s_or_b32 s2, s14, vcc_lo
	s_and_b32 s13, s1, s2
	s_waitcnt vmcnt(0) lgkmcnt(0)
	v_mul_f64 v[152:153], v[90:91], v[42:43]
	v_mul_f64 v[154:155], v[88:89], v[42:43]
	v_mul_f64 v[156:157], v[92:93], v[42:43]
	v_mul_f64 v[158:159], v[86:87], v[42:43]
	ds_read_b128 v[54:57], v98 offset:384
	ds_read_b128 v[42:45], v98 offset:400
	v_add_f64 v[38:39], v[38:39], v[40:41]
	v_add_f64 v[40:41], v[14:15], v[16:17]
	;; [unrolled: 1-line block ×3, first 2 shown]
	ds_write2_b64 v100, v[152:153], v[154:155] offset1:67
	ds_write2_b64 v100, v[156:157], v[158:159] offset0:134 offset1:201
	s_waitcnt lgkmcnt(0)
	s_barrier
	buffer_gl0_inv
	ds_read2_b64 v[152:155], v101 offset1:1
	ds_read2_b64 v[14:17], v101 offset0:2 offset1:3
	v_add_f64 v[26:27], v[38:39], v[26:27]
	v_add_f64 v[10:11], v[40:41], v[10:11]
	;; [unrolled: 1-line block ×3, first 2 shown]
	s_waitcnt lgkmcnt(0)
	s_barrier
	buffer_gl0_inv
	v_add_f64 v[152:153], v[152:153], 0
	v_add_f64 v[26:27], v[26:27], v[28:29]
	v_add_f64 v[10:11], v[10:11], v[12:13]
	v_add_f64 v[38:39], v[46:47], v[48:49]
	v_add_f64 v[52:53], v[152:153], v[154:155]
	v_add_f64 v[14:15], v[52:53], v[14:15]
	v_add_f64 v[12:13], v[14:15], v[16:17]
	ds_write2_b64 v150, v[10:11], v[26:27] offset1:16
	ds_write2_b64 v150, v[38:39], v[12:13] offset0:32 offset1:48
	s_waitcnt lgkmcnt(0)
	s_barrier
	buffer_gl0_inv
	s_and_saveexec_b32 s2, s13
	s_cbranch_execz .LBB160_128
; %bb.127:                              ;   in Loop: Header=BB160_78 Depth=1
	ds_read2_b64 v[10:13], v102 offset1:1
	ds_read2_b64 v[14:17], v102 offset0:2 offset1:3
	s_waitcnt lgkmcnt(1)
	v_add_f64 v[10:11], v[10:11], v[12:13]
	s_waitcnt lgkmcnt(0)
	v_add_f64 v[10:11], v[10:11], v[14:15]
	v_add_f64 v[26:27], v[10:11], v[16:17]
	ds_read2_b64 v[10:13], v102 offset0:4 offset1:5
	ds_read2_b64 v[14:17], v102 offset0:6 offset1:7
	s_waitcnt lgkmcnt(1)
	v_add_f64 v[10:11], v[26:27], v[10:11]
	v_add_f64 v[10:11], v[10:11], v[12:13]
	s_waitcnt lgkmcnt(0)
	v_add_f64 v[10:11], v[10:11], v[14:15]
	v_add_f64 v[26:27], v[10:11], v[16:17]
	ds_read2_b64 v[10:13], v102 offset0:8 offset1:9
	ds_read2_b64 v[14:17], v102 offset0:10 offset1:11
	s_waitcnt lgkmcnt(1)
	v_add_f64 v[10:11], v[26:27], v[10:11]
	v_add_f64 v[10:11], v[10:11], v[12:13]
	s_waitcnt lgkmcnt(0)
	v_add_f64 v[10:11], v[10:11], v[14:15]
	v_add_f64 v[14:15], v[10:11], v[16:17]
	ds_read2_b64 v[10:13], v102 offset0:12 offset1:13
	ds_read_b64 v[16:17], v102 offset:112
	s_waitcnt lgkmcnt(1)
	v_add_f64 v[10:11], v[14:15], v[10:11]
	v_add_nc_u32_e32 v14, s12, v0
	v_ashrrev_i32_e32 v15, 31, v14
	v_add_f64 v[10:11], v[10:11], v[12:13]
	ds_read_b64 v[12:13], v103
	s_waitcnt lgkmcnt(1)
	v_add_f64 v[10:11], v[10:11], v[16:17]
	s_waitcnt lgkmcnt(0)
	v_add_f64 v[10:11], v[10:11], v[12:13]
	v_lshlrev_b64 v[12:13], 3, v[14:15]
	v_add_co_u32 v12, vcc_lo, s3, v12
	v_add_co_ci_u32_e64 v13, null, s7, v13, vcc_lo
	global_store_dwordx2 v[12:13], v[10:11], off
.LBB160_128:                            ;   in Loop: Header=BB160_78 Depth=1
	s_or_b32 exec_lo, exec_lo, s2
	v_fma_f64 v[6:7], v[62:63], v[6:7], v[60:61]
	v_add_co_u32 v116, vcc_lo, v116, s4
	v_add_co_ci_u32_e64 v117, null, s5, v117, vcc_lo
	v_add_co_u32 v118, vcc_lo, v118, s4
	v_add_co_ci_u32_e64 v119, null, s5, v119, vcc_lo
	v_add_co_u32 v120, vcc_lo, v120, s4
	v_add_co_ci_u32_e64 v121, null, s5, v121, vcc_lo
	v_add_co_u32 v122, vcc_lo, v122, s4
	v_add_co_ci_u32_e64 v123, null, s5, v123, vcc_lo
	v_add_co_u32 v124, vcc_lo, v124, s4
	v_add_co_ci_u32_e64 v125, null, s5, v125, vcc_lo
	v_add_co_u32 v126, vcc_lo, v126, s4
	v_fma_f64 v[6:7], v[64:65], v[8:9], v[6:7]
	v_add_co_ci_u32_e64 v127, null, s5, v127, vcc_lo
	v_add_co_u32 v128, vcc_lo, v128, s4
	v_add_co_ci_u32_e64 v129, null, s5, v129, vcc_lo
	v_add_co_u32 v130, vcc_lo, v130, s4
	;; [unrolled: 2-line block ×5, first 2 shown]
	v_add_co_ci_u32_e64 v137, null, s5, v137, vcc_lo
	v_fma_f64 v[2:3], v[66:67], v[2:3], v[6:7]
	v_add_co_u32 v138, vcc_lo, v138, s4
	v_add_co_ci_u32_e64 v139, null, s5, v139, vcc_lo
	v_add_co_u32 v140, vcc_lo, v140, s4
	v_add_co_ci_u32_e64 v141, null, s5, v141, vcc_lo
	;; [unrolled: 2-line block ×5, first 2 shown]
	s_add_i32 s2, s6, 1
	v_fma_f64 v[2:3], v[68:69], v[4:5], v[2:3]
	s_add_i32 s6, s6, 2
	s_add_i32 s12, s12, 64
	s_cmp_ge_u32 s6, s19
	s_waitcnt_vscnt null, 0x0
	s_barrier
	buffer_gl0_inv
	v_fma_f64 v[2:3], v[70:71], v[22:23], v[2:3]
	v_fma_f64 v[2:3], v[72:73], v[24:25], v[2:3]
	;; [unrolled: 1-line block ×12, first 2 shown]
	s_cbranch_scc0 .LBB160_74
.LBB160_129:
	v_cmp_gt_i32_e32 vcc_lo, s10, v0
	v_mad_u32_u24 v1, 0x218, v1, v94
	s_or_b32 s1, s23, vcc_lo
	ds_write_b64 v1, v[60:61]
	s_and_b32 s0, s0, s1
	s_waitcnt lgkmcnt(0)
	s_barrier
	buffer_gl0_inv
	s_and_saveexec_b32 s1, s0
	s_cbranch_execz .LBB160_4
; %bb.130:
	ds_read2_b64 v[0:3], v94 offset1:67
	s_waitcnt lgkmcnt(0)
	v_add_f64 v[4:5], v[0:1], v[2:3]
	ds_read2_b64 v[0:3], v94 offset0:134 offset1:201
	s_waitcnt lgkmcnt(0)
	v_add_f64 v[0:1], v[4:5], v[0:1]
	v_add_f64 v[0:1], v[0:1], v[2:3]
	v_lshlrev_b64 v[2:3], 3, v[58:59]
	v_add_co_u32 v2, vcc_lo, s3, v2
	v_add_co_ci_u32_e64 v3, null, s7, v3, vcc_lo
	global_store_dwordx2 v[2:3], v[0:1], off
	s_endpgm
	.section	.rodata,"a",@progbits
	.p2align	6, 0x0
	.amdhsa_kernel _ZL26rocblas_hemvn_kernel_upperILb0ELi64ELi4ELi33ELi32ELi16ElPKdPKS1_PdEviT6_lT7_lT5_lS6_lS7_lS5_lT8_i
		.amdhsa_group_segment_fixed_size 9600
		.amdhsa_private_segment_fixed_size 0
		.amdhsa_kernarg_size 376
		.amdhsa_user_sgpr_count 6
		.amdhsa_user_sgpr_private_segment_buffer 1
		.amdhsa_user_sgpr_dispatch_ptr 0
		.amdhsa_user_sgpr_queue_ptr 0
		.amdhsa_user_sgpr_kernarg_segment_ptr 1
		.amdhsa_user_sgpr_dispatch_id 0
		.amdhsa_user_sgpr_flat_scratch_init 0
		.amdhsa_user_sgpr_private_segment_size 0
		.amdhsa_wavefront_size32 1
		.amdhsa_uses_dynamic_stack 0
		.amdhsa_system_sgpr_private_segment_wavefront_offset 0
		.amdhsa_system_sgpr_workgroup_id_x 1
		.amdhsa_system_sgpr_workgroup_id_y 0
		.amdhsa_system_sgpr_workgroup_id_z 1
		.amdhsa_system_sgpr_workgroup_info 0
		.amdhsa_system_vgpr_workitem_id 1
		.amdhsa_next_free_vgpr 160
		.amdhsa_next_free_sgpr 30
		.amdhsa_reserve_vcc 1
		.amdhsa_reserve_flat_scratch 1
		.amdhsa_float_round_mode_32 0
		.amdhsa_float_round_mode_16_64 0
		.amdhsa_float_denorm_mode_32 3
		.amdhsa_float_denorm_mode_16_64 3
		.amdhsa_dx10_clamp 1
		.amdhsa_ieee_mode 1
		.amdhsa_fp16_overflow 0
		.amdhsa_workgroup_processor_mode 1
		.amdhsa_memory_ordered 1
		.amdhsa_forward_progress 1
		.amdhsa_shared_vgpr_count 0
		.amdhsa_exception_fp_ieee_invalid_op 0
		.amdhsa_exception_fp_denorm_src 0
		.amdhsa_exception_fp_ieee_div_zero 0
		.amdhsa_exception_fp_ieee_overflow 0
		.amdhsa_exception_fp_ieee_underflow 0
		.amdhsa_exception_fp_ieee_inexact 0
		.amdhsa_exception_int_div_zero 0
	.end_amdhsa_kernel
	.section	.text._ZL26rocblas_hemvn_kernel_upperILb0ELi64ELi4ELi33ELi32ELi16ElPKdPKS1_PdEviT6_lT7_lT5_lS6_lS7_lS5_lT8_i,"axG",@progbits,_ZL26rocblas_hemvn_kernel_upperILb0ELi64ELi4ELi33ELi32ELi16ElPKdPKS1_PdEviT6_lT7_lT5_lS6_lS7_lS5_lT8_i,comdat
.Lfunc_end160:
	.size	_ZL26rocblas_hemvn_kernel_upperILb0ELi64ELi4ELi33ELi32ELi16ElPKdPKS1_PdEviT6_lT7_lT5_lS6_lS7_lS5_lT8_i, .Lfunc_end160-_ZL26rocblas_hemvn_kernel_upperILb0ELi64ELi4ELi33ELi32ELi16ElPKdPKS1_PdEviT6_lT7_lT5_lS6_lS7_lS5_lT8_i
                                        ; -- End function
	.set _ZL26rocblas_hemvn_kernel_upperILb0ELi64ELi4ELi33ELi32ELi16ElPKdPKS1_PdEviT6_lT7_lT5_lS6_lS7_lS5_lT8_i.num_vgpr, 160
	.set _ZL26rocblas_hemvn_kernel_upperILb0ELi64ELi4ELi33ELi32ELi16ElPKdPKS1_PdEviT6_lT7_lT5_lS6_lS7_lS5_lT8_i.num_agpr, 0
	.set _ZL26rocblas_hemvn_kernel_upperILb0ELi64ELi4ELi33ELi32ELi16ElPKdPKS1_PdEviT6_lT7_lT5_lS6_lS7_lS5_lT8_i.numbered_sgpr, 30
	.set _ZL26rocblas_hemvn_kernel_upperILb0ELi64ELi4ELi33ELi32ELi16ElPKdPKS1_PdEviT6_lT7_lT5_lS6_lS7_lS5_lT8_i.num_named_barrier, 0
	.set _ZL26rocblas_hemvn_kernel_upperILb0ELi64ELi4ELi33ELi32ELi16ElPKdPKS1_PdEviT6_lT7_lT5_lS6_lS7_lS5_lT8_i.private_seg_size, 0
	.set _ZL26rocblas_hemvn_kernel_upperILb0ELi64ELi4ELi33ELi32ELi16ElPKdPKS1_PdEviT6_lT7_lT5_lS6_lS7_lS5_lT8_i.uses_vcc, 1
	.set _ZL26rocblas_hemvn_kernel_upperILb0ELi64ELi4ELi33ELi32ELi16ElPKdPKS1_PdEviT6_lT7_lT5_lS6_lS7_lS5_lT8_i.uses_flat_scratch, 1
	.set _ZL26rocblas_hemvn_kernel_upperILb0ELi64ELi4ELi33ELi32ELi16ElPKdPKS1_PdEviT6_lT7_lT5_lS6_lS7_lS5_lT8_i.has_dyn_sized_stack, 0
	.set _ZL26rocblas_hemvn_kernel_upperILb0ELi64ELi4ELi33ELi32ELi16ElPKdPKS1_PdEviT6_lT7_lT5_lS6_lS7_lS5_lT8_i.has_recursion, 0
	.set _ZL26rocblas_hemvn_kernel_upperILb0ELi64ELi4ELi33ELi32ELi16ElPKdPKS1_PdEviT6_lT7_lT5_lS6_lS7_lS5_lT8_i.has_indirect_call, 0
	.section	.AMDGPU.csdata,"",@progbits
; Kernel info:
; codeLenInByte = 8440
; TotalNumSgprs: 32
; NumVgprs: 160
; ScratchSize: 0
; MemoryBound: 0
; FloatMode: 240
; IeeeMode: 1
; LDSByteSize: 9600 bytes/workgroup (compile time only)
; SGPRBlocks: 0
; VGPRBlocks: 19
; NumSGPRsForWavesPerEU: 32
; NumVGPRsForWavesPerEU: 160
; Occupancy: 6
; WaveLimiterHint : 1
; COMPUTE_PGM_RSRC2:SCRATCH_EN: 0
; COMPUTE_PGM_RSRC2:USER_SGPR: 6
; COMPUTE_PGM_RSRC2:TRAP_HANDLER: 0
; COMPUTE_PGM_RSRC2:TGID_X_EN: 1
; COMPUTE_PGM_RSRC2:TGID_Y_EN: 0
; COMPUTE_PGM_RSRC2:TGID_Z_EN: 1
; COMPUTE_PGM_RSRC2:TIDIG_COMP_CNT: 1
	.section	.text._ZL36rocblas_hemvn_kernel_upper_block_sumILi64ElPKdPKPddEviT1_lS5_lT2_lT0_lPT3_i,"axG",@progbits,_ZL36rocblas_hemvn_kernel_upper_block_sumILi64ElPKdPKPddEviT1_lS5_lT2_lT0_lPT3_i,comdat
	.globl	_ZL36rocblas_hemvn_kernel_upper_block_sumILi64ElPKdPKPddEviT1_lS5_lT2_lT0_lPT3_i ; -- Begin function _ZL36rocblas_hemvn_kernel_upper_block_sumILi64ElPKdPKPddEviT1_lS5_lT2_lT0_lPT3_i
	.p2align	8
	.type	_ZL36rocblas_hemvn_kernel_upper_block_sumILi64ElPKdPKPddEviT1_lS5_lT2_lT0_lPT3_i,@function
_ZL36rocblas_hemvn_kernel_upper_block_sumILi64ElPKdPKPddEviT1_lS5_lT2_lT0_lPT3_i: ; @_ZL36rocblas_hemvn_kernel_upper_block_sumILi64ElPKdPKPddEviT1_lS5_lT2_lT0_lPT3_i
; %bb.0:
	s_load_dwordx8 s[12:19], s[4:5], 0x8
	s_waitcnt lgkmcnt(0)
	s_mul_i32 s1, s15, s7
	s_mul_hi_u32 s2, s14, s7
	s_mul_i32 s0, s14, s7
	s_add_i32 s1, s2, s1
	s_mul_i32 s2, s19, s7
	s_lshl_b64 s[0:1], s[0:1], 3
	s_mul_hi_u32 s3, s18, s7
	s_add_u32 s0, s12, s0
	s_addc_u32 s1, s13, s1
	s_add_i32 s3, s3, s2
	s_mul_i32 s2, s18, s7
	s_lshl_b64 s[2:3], s[2:3], 3
	s_add_u32 s2, s16, s2
	s_addc_u32 s3, s17, s3
	s_load_dwordx2 s[10:11], s[0:1], 0x0
	s_load_dwordx2 s[12:13], s[2:3], 0x0
	s_waitcnt lgkmcnt(0)
	v_cmp_eq_f64_e64 s0, s[10:11], 0
	v_cmp_eq_f64_e64 s1, s[12:13], 1.0
	s_and_b32 s0, s0, s1
	s_and_b32 vcc_lo, exec_lo, s0
	s_cbranch_vccnz .LBB161_19
; %bb.1:
	s_clause 0x1
	s_load_dwordx2 s[16:17], s[4:5], 0x28
	s_load_dword s14, s[4:5], 0x0
	s_mov_b32 s8, s7
	s_mov_b32 s9, 0
	s_load_dwordx4 s[0:3], s[4:5], 0x30
	s_lshl_b64 s[18:19], s[8:9], 3
	v_cmp_neq_f64_e64 s15, s[10:11], 0
	v_lshl_or_b32 v0, s6, 6, v0
	s_waitcnt lgkmcnt(0)
	s_add_u32 s16, s16, s18
	s_addc_u32 s17, s17, s19
	s_load_dwordx2 s[16:17], s[16:17], 0x0
	s_lshl_b64 s[0:1], s[0:1], 3
	s_waitcnt lgkmcnt(0)
	s_add_u32 s7, s16, s0
	v_cmp_gt_i32_e64 s0, s14, v0
	s_addc_u32 s16, s17, s1
	s_and_b32 vcc_lo, exec_lo, s15
	s_cbranch_vccnz .LBB161_6
; %bb.2:
	s_mov_b32 s1, 0
                                        ; implicit-def: $vgpr3_vgpr4
                                        ; implicit-def: $vgpr1_vgpr2
	s_and_saveexec_b32 s15, s0
	s_cbranch_execz .LBB161_7
; %bb.3:
	v_cmp_eq_f64_e64 s0, s[12:13], 0
	v_ashrrev_i32_e32 v1, 31, v0
	v_mul_lo_u32 v5, s3, v0
	v_mov_b32_e32 v3, 0
	v_mov_b32_e32 v4, 0
	v_mul_lo_u32 v6, s2, v1
	v_mad_u64_u32 v[1:2], null, s2, v0, 0
	v_add3_u32 v2, v2, v6, v5
	s_and_b32 vcc_lo, exec_lo, s0
	s_cbranch_vccnz .LBB161_5
; %bb.4:
	v_lshlrev_b64 v[3:4], 3, v[1:2]
	v_add_co_u32 v3, vcc_lo, s7, v3
	v_add_co_ci_u32_e64 v4, null, s16, v4, vcc_lo
	flat_load_dwordx2 v[3:4], v[3:4]
	s_waitcnt vmcnt(0) lgkmcnt(0)
	v_mul_f64 v[3:4], s[12:13], v[3:4]
.LBB161_5:
	s_mov_b32 s9, exec_lo
	s_or_b32 exec_lo, exec_lo, s15
	s_and_b32 vcc_lo, exec_lo, s1
	s_cbranch_vccnz .LBB161_8
	s_branch .LBB161_17
.LBB161_6:
                                        ; implicit-def: $vgpr3_vgpr4
                                        ; implicit-def: $vgpr1_vgpr2
	s_cbranch_execnz .LBB161_8
	s_branch .LBB161_17
.LBB161_7:
	s_or_b32 exec_lo, exec_lo, s15
	s_and_b32 vcc_lo, exec_lo, s1
	s_cbranch_vccz .LBB161_17
.LBB161_8:
	s_mov_b32 s17, exec_lo
                                        ; implicit-def: $vgpr3_vgpr4
                                        ; implicit-def: $vgpr1_vgpr2
	v_cmpx_gt_i32_e64 s14, v0
	s_cbranch_execz .LBB161_16
; %bb.9:
	v_mov_b32_e32 v5, 0
	v_mov_b32_e32 v6, 0
	v_ashrrev_i32_e32 v1, 31, v0
	s_cmp_lt_i32 s6, 0
	s_cbranch_scc1 .LBB161_12
; %bb.10:
	s_clause 0x1
	s_load_dword s18, s[4:5], 0x58
	s_load_dwordx2 s[0:1], s[4:5], 0x48
	s_ashr_i32 s15, s14, 31
	s_mul_hi_u32 s4, s14, s8
	s_mul_i32 s5, s15, s8
	v_lshlrev_b64 v[2:3], 3, v[0:1]
	s_add_i32 s4, s4, s5
	s_mul_i32 s5, s14, s8
	v_mov_b32_e32 v5, 0
	v_mov_b32_e32 v6, 0
	s_waitcnt lgkmcnt(0)
	s_mul_i32 s8, s4, s18
	s_mul_hi_u32 s19, s5, s18
	s_mul_i32 s4, s5, s18
	s_add_i32 s5, s19, s8
	s_lshl_b64 s[4:5], s[4:5], 3
	s_add_u32 s0, s0, s4
	s_addc_u32 s1, s1, s5
	v_add_co_u32 v2, vcc_lo, s0, v2
	v_add_co_ci_u32_e64 v3, null, s1, v3, vcc_lo
	s_add_i32 s4, s6, 1
	s_lshl_b64 s[0:1], s[14:15], 3
.LBB161_11:                             ; =>This Inner Loop Header: Depth=1
	global_load_dwordx2 v[7:8], v[2:3], off
	v_add_co_u32 v2, vcc_lo, v2, s0
	v_add_co_ci_u32_e64 v3, null, s1, v3, vcc_lo
	s_add_i32 s4, s4, -1
	s_cmp_eq_u32 s4, 0
	s_waitcnt vmcnt(0)
	v_add_f64 v[5:6], v[5:6], v[7:8]
	s_cbranch_scc0 .LBB161_11
.LBB161_12:
	v_cmp_eq_f64_e64 s0, s[12:13], 0
	v_mul_lo_u32 v7, s3, v0
	v_mul_lo_u32 v8, s2, v1
	s_and_b32 vcc_lo, exec_lo, s0
	s_cbranch_vccz .LBB161_20
; %bb.13:
	v_mad_u64_u32 v[1:2], null, s2, v0, 0
	v_mul_f64 v[3:4], s[10:11], v[5:6]
	v_add3_u32 v2, v2, v8, v7
	s_cbranch_execnz .LBB161_15
.LBB161_14:
	v_mad_u64_u32 v[1:2], null, s2, v0, 0
	v_add3_u32 v2, v2, v8, v7
	v_lshlrev_b64 v[3:4], 3, v[1:2]
	v_add_co_u32 v3, vcc_lo, s7, v3
	v_add_co_ci_u32_e64 v4, null, s16, v4, vcc_lo
	flat_load_dwordx2 v[3:4], v[3:4]
	s_waitcnt vmcnt(0) lgkmcnt(0)
	v_mul_f64 v[3:4], s[12:13], v[3:4]
	v_fma_f64 v[3:4], s[10:11], v[5:6], v[3:4]
.LBB161_15:
	s_or_b32 s9, s9, exec_lo
.LBB161_16:
	s_or_b32 exec_lo, exec_lo, s17
.LBB161_17:
	s_and_saveexec_b32 s0, s9
	s_cbranch_execz .LBB161_19
; %bb.18:
	v_lshlrev_b64 v[0:1], 3, v[1:2]
	v_add_co_u32 v0, vcc_lo, s7, v0
	v_add_co_ci_u32_e64 v1, null, s16, v1, vcc_lo
	flat_store_dwordx2 v[0:1], v[3:4]
.LBB161_19:
	s_endpgm
.LBB161_20:
                                        ; implicit-def: $vgpr3_vgpr4
                                        ; implicit-def: $vgpr1_vgpr2
	s_branch .LBB161_14
	.section	.rodata,"a",@progbits
	.p2align	6, 0x0
	.amdhsa_kernel _ZL36rocblas_hemvn_kernel_upper_block_sumILi64ElPKdPKPddEviT1_lS5_lT2_lT0_lPT3_i
		.amdhsa_group_segment_fixed_size 0
		.amdhsa_private_segment_fixed_size 0
		.amdhsa_kernarg_size 344
		.amdhsa_user_sgpr_count 6
		.amdhsa_user_sgpr_private_segment_buffer 1
		.amdhsa_user_sgpr_dispatch_ptr 0
		.amdhsa_user_sgpr_queue_ptr 0
		.amdhsa_user_sgpr_kernarg_segment_ptr 1
		.amdhsa_user_sgpr_dispatch_id 0
		.amdhsa_user_sgpr_flat_scratch_init 0
		.amdhsa_user_sgpr_private_segment_size 0
		.amdhsa_wavefront_size32 1
		.amdhsa_uses_dynamic_stack 0
		.amdhsa_system_sgpr_private_segment_wavefront_offset 0
		.amdhsa_system_sgpr_workgroup_id_x 1
		.amdhsa_system_sgpr_workgroup_id_y 0
		.amdhsa_system_sgpr_workgroup_id_z 1
		.amdhsa_system_sgpr_workgroup_info 0
		.amdhsa_system_vgpr_workitem_id 0
		.amdhsa_next_free_vgpr 9
		.amdhsa_next_free_sgpr 20
		.amdhsa_reserve_vcc 1
		.amdhsa_reserve_flat_scratch 0
		.amdhsa_float_round_mode_32 0
		.amdhsa_float_round_mode_16_64 0
		.amdhsa_float_denorm_mode_32 3
		.amdhsa_float_denorm_mode_16_64 3
		.amdhsa_dx10_clamp 1
		.amdhsa_ieee_mode 1
		.amdhsa_fp16_overflow 0
		.amdhsa_workgroup_processor_mode 1
		.amdhsa_memory_ordered 1
		.amdhsa_forward_progress 1
		.amdhsa_shared_vgpr_count 0
		.amdhsa_exception_fp_ieee_invalid_op 0
		.amdhsa_exception_fp_denorm_src 0
		.amdhsa_exception_fp_ieee_div_zero 0
		.amdhsa_exception_fp_ieee_overflow 0
		.amdhsa_exception_fp_ieee_underflow 0
		.amdhsa_exception_fp_ieee_inexact 0
		.amdhsa_exception_int_div_zero 0
	.end_amdhsa_kernel
	.section	.text._ZL36rocblas_hemvn_kernel_upper_block_sumILi64ElPKdPKPddEviT1_lS5_lT2_lT0_lPT3_i,"axG",@progbits,_ZL36rocblas_hemvn_kernel_upper_block_sumILi64ElPKdPKPddEviT1_lS5_lT2_lT0_lPT3_i,comdat
.Lfunc_end161:
	.size	_ZL36rocblas_hemvn_kernel_upper_block_sumILi64ElPKdPKPddEviT1_lS5_lT2_lT0_lPT3_i, .Lfunc_end161-_ZL36rocblas_hemvn_kernel_upper_block_sumILi64ElPKdPKPddEviT1_lS5_lT2_lT0_lPT3_i
                                        ; -- End function
	.set _ZL36rocblas_hemvn_kernel_upper_block_sumILi64ElPKdPKPddEviT1_lS5_lT2_lT0_lPT3_i.num_vgpr, 9
	.set _ZL36rocblas_hemvn_kernel_upper_block_sumILi64ElPKdPKPddEviT1_lS5_lT2_lT0_lPT3_i.num_agpr, 0
	.set _ZL36rocblas_hemvn_kernel_upper_block_sumILi64ElPKdPKPddEviT1_lS5_lT2_lT0_lPT3_i.numbered_sgpr, 20
	.set _ZL36rocblas_hemvn_kernel_upper_block_sumILi64ElPKdPKPddEviT1_lS5_lT2_lT0_lPT3_i.num_named_barrier, 0
	.set _ZL36rocblas_hemvn_kernel_upper_block_sumILi64ElPKdPKPddEviT1_lS5_lT2_lT0_lPT3_i.private_seg_size, 0
	.set _ZL36rocblas_hemvn_kernel_upper_block_sumILi64ElPKdPKPddEviT1_lS5_lT2_lT0_lPT3_i.uses_vcc, 1
	.set _ZL36rocblas_hemvn_kernel_upper_block_sumILi64ElPKdPKPddEviT1_lS5_lT2_lT0_lPT3_i.uses_flat_scratch, 0
	.set _ZL36rocblas_hemvn_kernel_upper_block_sumILi64ElPKdPKPddEviT1_lS5_lT2_lT0_lPT3_i.has_dyn_sized_stack, 0
	.set _ZL36rocblas_hemvn_kernel_upper_block_sumILi64ElPKdPKPddEviT1_lS5_lT2_lT0_lPT3_i.has_recursion, 0
	.set _ZL36rocblas_hemvn_kernel_upper_block_sumILi64ElPKdPKPddEviT1_lS5_lT2_lT0_lPT3_i.has_indirect_call, 0
	.section	.AMDGPU.csdata,"",@progbits
; Kernel info:
; codeLenInByte = 760
; TotalNumSgprs: 22
; NumVgprs: 9
; ScratchSize: 0
; MemoryBound: 0
; FloatMode: 240
; IeeeMode: 1
; LDSByteSize: 0 bytes/workgroup (compile time only)
; SGPRBlocks: 0
; VGPRBlocks: 1
; NumSGPRsForWavesPerEU: 22
; NumVGPRsForWavesPerEU: 9
; Occupancy: 16
; WaveLimiterHint : 1
; COMPUTE_PGM_RSRC2:SCRATCH_EN: 0
; COMPUTE_PGM_RSRC2:USER_SGPR: 6
; COMPUTE_PGM_RSRC2:TRAP_HANDLER: 0
; COMPUTE_PGM_RSRC2:TGID_X_EN: 1
; COMPUTE_PGM_RSRC2:TGID_Y_EN: 0
; COMPUTE_PGM_RSRC2:TGID_Z_EN: 1
; COMPUTE_PGM_RSRC2:TIDIG_COMP_CNT: 0
	.section	.text._ZL26rocblas_hemvn_kernel_upperILb0ELi64ELi4ELi33ELi32ELi16EiPKdPKS1_PdEviT6_lT7_lT5_lS6_lS7_lS5_lT8_i,"axG",@progbits,_ZL26rocblas_hemvn_kernel_upperILb0ELi64ELi4ELi33ELi32ELi16EiPKdPKS1_PdEviT6_lT7_lT5_lS6_lS7_lS5_lT8_i,comdat
	.globl	_ZL26rocblas_hemvn_kernel_upperILb0ELi64ELi4ELi33ELi32ELi16EiPKdPKS1_PdEviT6_lT7_lT5_lS6_lS7_lS5_lT8_i ; -- Begin function _ZL26rocblas_hemvn_kernel_upperILb0ELi64ELi4ELi33ELi32ELi16EiPKdPKS1_PdEviT6_lT7_lT5_lS6_lS7_lS5_lT8_i
	.p2align	8
	.type	_ZL26rocblas_hemvn_kernel_upperILb0ELi64ELi4ELi33ELi32ELi16EiPKdPKS1_PdEviT6_lT7_lT5_lS6_lS7_lS5_lT8_i,@function
_ZL26rocblas_hemvn_kernel_upperILb0ELi64ELi4ELi33ELi32ELi16EiPKdPKS1_PdEviT6_lT7_lT5_lS6_lS7_lS5_lT8_i: ; @_ZL26rocblas_hemvn_kernel_upperILb0ELi64ELi4ELi33ELi32ELi16EiPKdPKS1_PdEviT6_lT7_lT5_lS6_lS7_lS5_lT8_i
; %bb.0:
	s_load_dwordx2 s[2:3], s[4:5], 0x84
	s_add_u32 s0, s4, 0x78
	s_mov_b32 s16, s7
	s_addc_u32 s1, s5, 0
	s_waitcnt lgkmcnt(0)
	s_lshr_b32 s7, s2, 16
	s_and_b32 s2, s2, 0xffff
	s_and_b32 s3, s3, 0xffff
	s_mul_i32 s2, s7, s2
	s_mul_i32 s2, s2, s3
	s_cmpk_lg_i32 s2, 0x100
	s_cbranch_scc1 .LBB162_4
; %bb.1:
	s_clause 0x1
	s_load_dwordx8 s[8:15], s[4:5], 0x8
	s_load_dwordx4 s[20:23], s[4:5], 0x58
	s_waitcnt lgkmcnt(0)
	s_mul_i32 s3, s11, s16
	s_mul_hi_u32 s7, s10, s16
	s_mul_i32 s2, s10, s16
	s_add_i32 s3, s7, s3
	s_mul_i32 s7, s23, s16
	s_lshl_b64 s[2:3], s[2:3], 3
	s_mul_hi_u32 s10, s22, s16
	s_add_u32 s2, s8, s2
	s_addc_u32 s3, s9, s3
	s_add_i32 s9, s10, s7
	s_mul_i32 s8, s22, s16
	s_lshl_b64 s[8:9], s[8:9], 3
	s_add_u32 s8, s20, s8
	s_addc_u32 s9, s21, s9
	s_load_dwordx2 s[2:3], s[2:3], 0x0
	s_load_dwordx2 s[8:9], s[8:9], 0x0
	s_waitcnt lgkmcnt(0)
	v_cmp_eq_f64_e64 s2, s[2:3], 0
	v_cmp_eq_f64_e64 s3, s[8:9], 1.0
	s_and_b32 s3, s2, s3
	s_and_b32 vcc_lo, exec_lo, s3
	s_cbranch_vccnz .LBB162_4
; %bb.2:
	s_and_b32 vcc_lo, exec_lo, s2
	s_cbranch_vccz .LBB162_5
; %bb.3:
	s_cbranch_execz .LBB162_6
.LBB162_4:
	s_endpgm
.LBB162_5:
.LBB162_6:
	s_load_dwordx4 s[8:11], s[4:5], 0x38
	s_mov_b32 s17, 0
	s_lshl_b64 s[2:3], s[16:17], 3
	s_load_dword s17, s[4:5], 0x48
	s_add_u32 s20, s12, s2
	s_addc_u32 s21, s13, s3
	s_waitcnt lgkmcnt(0)
	s_add_u32 s2, s8, s2
	s_addc_u32 s3, s9, s3
	s_lshl_b64 s[8:9], s[10:11], 3
	s_load_dwordx2 s[2:3], s[2:3], 0x0
	s_load_dword s24, s[4:5], 0x0
	s_load_dword s26, s[0:1], 0x0
	s_waitcnt lgkmcnt(0)
	s_add_u32 s7, s2, s8
	s_addc_u32 s8, s3, s9
	s_lshl_b32 s12, s6, 6
	s_load_dwordx2 s[18:19], s[4:5], 0x68
	s_load_dwordx2 s[2:3], s[20:21], 0x0
	v_add_nc_u32_e32 v58, s12, v0
	s_ashr_i32 s25, s24, 31
	s_add_i32 s1, s26, -1
	s_lshr_b32 s0, s25, 26
	v_mul_lo_u32 v2, s17, v58
	s_add_i32 s0, s24, s0
	s_andn2_b32 s0, s0, 63
	s_sub_i32 s27, s24, s0
	v_cmp_eq_u32_e64 s0, 0, v1
	s_cmp_eq_u32 s6, s1
	v_ashrrev_i32_e32 v3, 31, v2
	v_lshlrev_b64 v[2:3], 3, v[2:3]
	v_add_co_u32 v16, vcc_lo, s7, v2
	v_add_co_ci_u32_e64 v17, null, s8, v3, vcc_lo
	s_cselect_b32 s8, s27, 0
	s_and_saveexec_b32 s1, s0
	s_cbranch_execz .LBB162_10
; %bb.7:
	v_cmp_gt_i32_e32 vcc_lo, s8, v0
	s_cmp_eq_u32 s8, 0
	v_mov_b32_e32 v2, 0
	v_mov_b32_e32 v3, 0
	s_cselect_b32 s7, -1, 0
	s_or_b32 s9, s7, vcc_lo
	s_and_saveexec_b32 s7, s9
	s_cbranch_execz .LBB162_9
; %bb.8:
	flat_load_dwordx2 v[2:3], v[16:17]
.LBB162_9:
	s_or_b32 exec_lo, exec_lo, s7
	v_lshlrev_b32_e32 v4, 3, v0
	s_waitcnt vmcnt(0) lgkmcnt(0)
	ds_write_b64 v4, v[2:3] offset:9088
.LBB162_10:
	s_or_b32 exec_lo, exec_lo, s1
	s_load_dword s10, s[4:5], 0x28
	v_lshl_add_u32 v24, v1, 6, v0
	v_and_b32_e32 v2, 31, v0
	s_lshl_b64 s[4:5], s[14:15], 3
	s_waitcnt lgkmcnt(0)
	s_add_u32 s1, s2, s4
	v_lshrrev_b32_e32 v13, 5, v24
	s_addc_u32 s4, s3, s5
	s_ashr_i32 s13, s12, 31
	v_lshlrev_b32_e32 v20, 3, v2
	s_lshl_b64 s[2:3], s[12:13], 3
	s_add_u32 s5, s1, s2
	s_addc_u32 s4, s4, s3
	v_cmp_gt_i32_e64 s1, s8, v2
	v_mad_u64_u32 v[3:4], null, s10, v13, v[2:3]
	s_mul_i32 s2, s10, s12
	s_ashr_i32 s3, s2, 31
	s_lshl_b64 s[2:3], s[2:3], 3
	s_cmp_eq_u32 s8, 0
	v_ashrrev_i32_e32 v4, 31, v3
	s_cselect_b32 s28, -1, 0
	s_cmp_lg_u32 s8, 0
	s_cselect_b32 s13, -1, 0
	v_lshlrev_b64 v[14:15], 3, v[3:4]
	v_add_co_u32 v3, vcc_lo, s5, v14
	v_add_co_ci_u32_e64 v4, null, s4, v15, vcc_lo
	s_and_b32 vcc_lo, exec_lo, s13
	v_add_co_u32 v5, s2, v3, s2
	v_add_co_ci_u32_e64 v6, null, s3, v4, s2
	s_cbranch_vccz .LBB162_20
; %bb.11:
	v_sub_co_u32 v3, vcc_lo, v5, v20
	s_ashr_i32 s9, s8, 31
	v_subrev_co_ci_u32_e64 v4, null, 0, v6, vcc_lo
	s_lshl_b64 s[2:3], s[8:9], 3
	v_mov_b32_e32 v9, 0
	v_add_co_u32 v3, vcc_lo, v3, s2
	v_add_co_ci_u32_e64 v4, null, s3, v4, vcc_lo
	v_mov_b32_e32 v7, 0
	v_add_co_u32 v3, vcc_lo, v3, -8
	v_add_co_ci_u32_e64 v4, null, -1, v4, vcc_lo
	v_mov_b32_e32 v10, 0
	v_cndmask_b32_e64 v3, v3, v5, s1
	v_mov_b32_e32 v8, 0
	v_cndmask_b32_e64 v4, v4, v6, s1
	s_mov_b32 s4, exec_lo
	v_cmpx_gt_i32_e64 s8, v13
	s_cbranch_execz .LBB162_13
; %bb.12:
	flat_load_dwordx2 v[7:8], v[3:4]
.LBB162_13:
	s_or_b32 exec_lo, exec_lo, s4
	v_add_nc_u32_e32 v12, 8, v13
	v_mul_u32_u24_e32 v11, 0x108, v13
	v_mad_u32_u24 v18, 0x108, v13, v20
	s_mov_b32 s4, exec_lo
	s_waitcnt vmcnt(0) lgkmcnt(0)
	ds_write_b64 v18, v[7:8]
	v_cmpx_gt_i32_e64 s8, v12
	s_cbranch_execz .LBB162_15
; %bb.14:
	s_lshl_b32 s14, s10, 3
	s_ashr_i32 s15, s14, 31
	s_lshl_b64 s[14:15], s[14:15], 3
	v_add_co_u32 v7, vcc_lo, v3, s14
	v_add_co_ci_u32_e64 v8, null, s15, v4, vcc_lo
	flat_load_dwordx2 v[9:10], v[7:8]
.LBB162_15:
	s_or_b32 exec_lo, exec_lo, s4
	v_add_nc_u32_e32 v18, v11, v20
	v_mov_b32_e32 v7, 0
	v_mov_b32_e32 v11, 0
	v_add_nc_u32_e32 v19, 16, v13
	v_mov_b32_e32 v8, 0
	v_mov_b32_e32 v12, 0
	s_mov_b32 s4, exec_lo
	s_waitcnt vmcnt(0) lgkmcnt(0)
	ds_write_b64 v18, v[9:10] offset:2112
	v_cmpx_gt_i32_e64 s8, v19
	s_cbranch_execz .LBB162_17
; %bb.16:
	s_lshl_b32 s14, s10, 4
	s_ashr_i32 s15, s14, 31
	s_lshl_b64 s[14:15], s[14:15], 3
	v_add_co_u32 v9, vcc_lo, v3, s14
	v_add_co_ci_u32_e64 v10, null, s15, v4, vcc_lo
	flat_load_dwordx2 v[11:12], v[9:10]
.LBB162_17:
	s_or_b32 exec_lo, exec_lo, s4
	v_add_nc_u32_e32 v9, 24, v13
	s_mov_b32 s4, exec_lo
	s_waitcnt vmcnt(0) lgkmcnt(0)
	ds_write_b64 v18, v[11:12] offset:4224
	v_cmpx_gt_i32_e64 s8, v9
	s_cbranch_execz .LBB162_19
; %bb.18:
	s_mul_i32 s14, s10, 24
	s_ashr_i32 s15, s14, 31
	s_lshl_b64 s[14:15], s[14:15], 3
	v_add_co_u32 v7, vcc_lo, v3, s14
	v_add_co_ci_u32_e64 v8, null, s15, v4, vcc_lo
	flat_load_dwordx2 v[7:8], v[7:8]
.LBB162_19:
	s_or_b32 exec_lo, exec_lo, s4
	v_add_co_u32 v3, vcc_lo, v3, v20
	v_add_co_ci_u32_e64 v4, null, 0, v4, vcc_lo
	s_waitcnt vmcnt(0) lgkmcnt(0)
	ds_write_b64 v18, v[7:8] offset:6336
	v_sub_co_u32 v3, vcc_lo, v3, s2
	v_subrev_co_ci_u32_e64 v4, null, s3, v4, vcc_lo
	v_add_co_u32 v3, vcc_lo, v3, 8
	v_add_co_ci_u32_e64 v4, null, 0, v4, vcc_lo
	v_cndmask_b32_e64 v3, v3, v5, s1
	v_cndmask_b32_e64 v4, v4, v6, s1
	v_mul_u32_u24_e32 v22, 0x108, v13
	s_branch .LBB162_22
.LBB162_20:
                                        ; implicit-def: $vgpr3_vgpr4
	v_mul_u32_u24_e32 v22, 0x108, v13
	s_cbranch_execz .LBB162_22
; %bb.21:
	s_lshl_b32 s2, s10, 3
	s_ashr_i32 s11, s10, 31
	s_ashr_i32 s3, s2, 31
	v_lshl_add_u32 v21, v2, 3, v22
	s_lshl_b64 s[2:3], s[2:3], 3
	v_add_co_u32 v3, vcc_lo, v5, s2
	v_add_co_ci_u32_e64 v4, null, s3, v6, vcc_lo
	s_lshl_b64 s[2:3], s[10:11], 6
	v_add_co_u32 v7, vcc_lo, v3, s2
	v_add_co_ci_u32_e64 v8, null, s3, v4, vcc_lo
	v_add_co_u32 v9, vcc_lo, v7, s2
	v_add_co_ci_u32_e64 v10, null, s3, v8, vcc_lo
	s_clause 0x3
	flat_load_dwordx2 v[11:12], v[5:6]
	flat_load_dwordx2 v[18:19], v[3:4]
	;; [unrolled: 1-line block ×4, first 2 shown]
	v_mov_b32_e32 v3, v5
	v_mov_b32_e32 v4, v6
	s_waitcnt vmcnt(3) lgkmcnt(3)
	ds_write_b64 v21, v[11:12]
	s_waitcnt vmcnt(2) lgkmcnt(3)
	ds_write_b64 v21, v[18:19] offset:2112
	s_waitcnt vmcnt(1) lgkmcnt(3)
	ds_write_b64 v21, v[7:8] offset:4224
	;; [unrolled: 2-line block ×3, first 2 shown]
.LBB162_22:
	v_lshlrev_b32_e32 v23, 2, v13
	v_lshl_or_b32 v5, v2, 8, v20
	v_mad_u32_u24 v6, 0x420, v13, v20
	s_waitcnt lgkmcnt(0)
	s_barrier
	v_cmp_gt_u32_e64 s2, v23, v2
	v_lshl_add_u32 v7, v23, 3, v5
	buffer_gl0_inv
	s_and_saveexec_b32 s1, s2
	s_cbranch_execz .LBB162_24
; %bb.23:
	ds_read_b64 v[8:9], v6
	s_waitcnt lgkmcnt(0)
	ds_write_b64 v7, v[8:9]
.LBB162_24:
	s_or_b32 exec_lo, exec_lo, s1
	v_or_b32_e32 v28, 1, v23
	v_cmp_ge_u32_e64 s3, v23, v2
	v_mad_u32_u24 v5, 0x108, v28, v20
	s_and_saveexec_b32 s1, s3
	s_cbranch_execz .LBB162_26
; %bb.25:
	ds_read_b64 v[8:9], v5
	s_waitcnt lgkmcnt(0)
	ds_write_b64 v7, v[8:9] offset:8
.LBB162_26:
	s_or_b32 exec_lo, exec_lo, s1
	v_or_b32_e32 v8, 2, v23
	v_cmp_gt_u32_e64 s4, v8, v2
	s_and_saveexec_b32 s1, s4
	s_cbranch_execz .LBB162_28
; %bb.27:
	v_mad_u32_u24 v8, 0x108, v8, v20
	ds_read_b64 v[8:9], v8
	s_waitcnt lgkmcnt(0)
	ds_write_b64 v7, v[8:9] offset:16
.LBB162_28:
	s_or_b32 exec_lo, exec_lo, s1
	v_or_b32_e32 v9, 3, v23
	s_mov_b32 s1, exec_lo
	v_cmp_gt_u32_e64 s5, v9, v2
	v_mul_u32_u24_e32 v8, 0x108, v9
	v_cmpx_le_u32_e64 v9, v2
	s_xor_b32 s1, exec_lo, s1
; %bb.29:
	v_mul_u32_u24_e32 v8, 0x108, v9
                                        ; implicit-def: $vgpr9
                                        ; implicit-def: $vgpr7
; %bb.30:
	s_andn2_saveexec_b32 s1, s1
	s_cbranch_execz .LBB162_32
; %bb.31:
	v_mad_u32_u24 v9, 0x108, v9, v20
	ds_read_b64 v[9:10], v9
	s_waitcnt lgkmcnt(0)
	ds_write_b64 v7, v[9:10] offset:24
.LBB162_32:
	s_or_b32 exec_lo, exec_lo, s1
	v_lshlrev_b32_e32 v30, 3, v23
	s_waitcnt lgkmcnt(0)
	s_barrier
	buffer_gl0_inv
	ds_read_b64 v[6:7], v6
	ds_read_b128 v[9:12], v30 offset:9088
	v_add_nc_u32_e32 v21, v20, v8
	ds_read_b128 v[31:34], v30 offset:9104
	ds_read_b64 v[18:19], v21
	v_mov_b32_e32 v59, 0
	v_mov_b32_e32 v60, 0
	v_cmp_gt_u32_e64 s1, 32, v24
	s_waitcnt lgkmcnt(2)
	v_fma_f64 v[9:10], v[6:7], v[9:10], 0
	ds_read2_b64 v[5:8], v5 offset1:33
	s_waitcnt lgkmcnt(0)
	s_barrier
	buffer_gl0_inv
	v_fma_f64 v[5:6], v[5:6], v[11:12], v[9:10]
	v_fma_f64 v[5:6], v[7:8], v[31:32], v[5:6]
	v_mul_u32_u24_e32 v7, 33, v2
	v_lshlrev_b32_e32 v25, 3, v7
	v_lshl_add_u32 v26, v13, 3, v25
	v_fma_f64 v[5:6], v[18:19], v[33:34], v[5:6]
	ds_write_b64 v26, v[5:6]
	s_waitcnt lgkmcnt(0)
	s_barrier
	buffer_gl0_inv
	s_and_saveexec_b32 s7, s1
	s_cbranch_execz .LBB162_34
; %bb.33:
	ds_read2_b64 v[5:8], v25 offset1:1
	ds_read2_b64 v[9:12], v25 offset0:2 offset1:3
	s_waitcnt lgkmcnt(1)
	v_add_f64 v[5:6], v[5:6], v[7:8]
	s_waitcnt lgkmcnt(0)
	v_add_f64 v[5:6], v[5:6], v[9:10]
	v_add_f64 v[18:19], v[5:6], v[11:12]
	ds_read2_b64 v[5:8], v25 offset0:4 offset1:5
	ds_read2_b64 v[9:12], v25 offset0:6 offset1:7
	s_waitcnt lgkmcnt(1)
	v_add_f64 v[5:6], v[18:19], v[5:6]
	v_add_f64 v[5:6], v[5:6], v[7:8]
	s_waitcnt lgkmcnt(0)
	v_add_f64 v[5:6], v[5:6], v[9:10]
	v_add_f64 v[59:60], v[5:6], v[11:12]
.LBB162_34:
	s_or_b32 exec_lo, exec_lo, s7
	s_lshl_b32 s20, s10, 5
	s_ashr_i32 s21, s20, 31
	s_barrier
	s_lshl_b64 s[14:15], s[20:21], 3
	buffer_gl0_inv
	v_add_co_u32 v5, vcc_lo, v3, s14
	v_add_co_ci_u32_e64 v6, null, s15, v4, vcc_lo
	v_add_co_u32 v3, vcc_lo, 0x100, v5
	v_add_co_ci_u32_e64 v4, null, 0, v6, vcc_lo
	s_and_b32 vcc_lo, exec_lo, s13
	s_cbranch_vccz .LBB162_44
; %bb.35:
	v_sub_co_u32 v7, vcc_lo, v5, v20
	s_ashr_i32 s9, s8, 31
	v_subrev_co_ci_u32_e64 v8, null, 0, v6, vcc_lo
	s_lshl_b64 s[22:23], s[8:9], 3
	v_or_b32_e32 v9, 32, v2
	v_add_co_u32 v7, vcc_lo, v7, s22
	v_add_co_ci_u32_e64 v8, null, s23, v8, vcc_lo
	v_mov_b32_e32 v11, 0
	v_add_co_u32 v7, vcc_lo, v7, -8
	v_add_co_ci_u32_e64 v8, null, -1, v8, vcc_lo
	v_cmp_gt_i32_e32 vcc_lo, s8, v9
	v_mov_b32_e32 v9, 0
	v_mov_b32_e32 v12, 0
	;; [unrolled: 1-line block ×3, first 2 shown]
	s_sub_i32 s9, s8, 32
	v_cndmask_b32_e32 v8, v8, v4, vcc_lo
	v_cndmask_b32_e32 v7, v7, v3, vcc_lo
	s_mov_b32 s11, exec_lo
	v_cmpx_gt_i32_e64 s9, v13
	s_cbranch_execz .LBB162_37
; %bb.36:
	flat_load_dwordx2 v[9:10], v[7:8]
.LBB162_37:
	s_or_b32 exec_lo, exec_lo, s11
	v_add_nc_u32_e32 v18, 8, v13
	v_mad_u32_u24 v19, 0x108, v13, v20
	s_mov_b32 s11, exec_lo
	s_waitcnt vmcnt(0) lgkmcnt(0)
	ds_write_b64 v19, v[9:10]
	v_cmpx_gt_i32_e64 s9, v18
	s_cbranch_execz .LBB162_39
; %bb.38:
	s_lshl_b32 s30, s10, 3
	s_ashr_i32 s31, s30, 31
	s_lshl_b64 s[30:31], s[30:31], 3
	v_add_co_u32 v9, s7, v7, s30
	v_add_co_ci_u32_e64 v10, null, s31, v8, s7
	flat_load_dwordx2 v[11:12], v[9:10]
.LBB162_39:
	s_or_b32 exec_lo, exec_lo, s11
	v_mov_b32_e32 v9, 0
	v_mov_b32_e32 v18, 0
	v_add_nc_u32_e32 v29, 16, v13
	v_add_nc_u32_e32 v27, v22, v20
	v_mov_b32_e32 v10, 0
	v_mov_b32_e32 v19, 0
	s_mov_b32 s11, exec_lo
	s_waitcnt vmcnt(0) lgkmcnt(0)
	ds_write_b64 v27, v[11:12] offset:2112
	v_cmpx_gt_i32_e64 s9, v29
	s_cbranch_execz .LBB162_41
; %bb.40:
	s_lshl_b32 s30, s10, 4
	s_ashr_i32 s31, s30, 31
	s_lshl_b64 s[30:31], s[30:31], 3
	v_add_co_u32 v11, s7, v7, s30
	v_add_co_ci_u32_e64 v12, null, s31, v8, s7
	flat_load_dwordx2 v[18:19], v[11:12]
.LBB162_41:
	s_or_b32 exec_lo, exec_lo, s11
	v_add_nc_u32_e32 v11, 24, v13
	s_waitcnt vmcnt(0) lgkmcnt(0)
	ds_write_b64 v27, v[18:19] offset:4224
	v_cmp_gt_i32_e64 s7, s9, v11
	s_and_saveexec_b32 s9, s7
	s_cbranch_execz .LBB162_43
; %bb.42:
	s_mul_i32 s30, s10, 24
	s_ashr_i32 s31, s30, 31
	s_lshl_b64 s[30:31], s[30:31], 3
	v_add_co_u32 v9, s7, v7, s30
	v_add_co_ci_u32_e64 v10, null, s31, v8, s7
	flat_load_dwordx2 v[9:10], v[9:10]
.LBB162_43:
	s_or_b32 exec_lo, exec_lo, s9
	v_add_co_u32 v7, s7, v7, v20
	v_add_co_ci_u32_e64 v8, null, 0, v8, s7
	s_waitcnt vmcnt(0) lgkmcnt(0)
	ds_write_b64 v27, v[9:10] offset:6336
	v_sub_co_u32 v7, s7, v7, s22
	v_subrev_co_ci_u32_e64 v8, null, s23, v8, s7
	v_add_co_u32 v7, s7, 0x108, v7
	v_add_co_ci_u32_e64 v8, null, 0, v8, s7
	v_cndmask_b32_e32 v7, v7, v3, vcc_lo
	v_cndmask_b32_e32 v8, v8, v4, vcc_lo
	v_mul_u32_u24_e32 v9, 0x420, v13
	v_mad_u32_u24 v27, 0x108, v13, v20
	s_branch .LBB162_46
.LBB162_44:
                                        ; implicit-def: $vgpr7_vgpr8
	v_mul_u32_u24_e32 v9, 0x420, v13
	v_mad_u32_u24 v27, 0x108, v13, v20
	s_cbranch_execz .LBB162_46
; %bb.45:
	s_lshl_b32 s22, s10, 3
	s_ashr_i32 s11, s10, 31
	s_ashr_i32 s23, s22, 31
	s_lshl_b64 s[22:23], s[22:23], 3
	v_add_co_u32 v7, vcc_lo, v5, s22
	v_add_co_ci_u32_e64 v8, null, s23, v6, vcc_lo
	s_lshl_b64 s[22:23], s[10:11], 6
	v_add_co_u32 v10, vcc_lo, v7, s22
	v_add_co_ci_u32_e64 v11, null, s23, v8, vcc_lo
	v_add_co_u32 v18, vcc_lo, v10, s22
	v_add_co_ci_u32_e64 v19, null, s23, v11, vcc_lo
	s_clause 0x3
	flat_load_dwordx2 v[5:6], v[5:6] offset:256
	flat_load_dwordx2 v[31:32], v[7:8] offset:256
	;; [unrolled: 1-line block ×4, first 2 shown]
	v_mov_b32_e32 v8, v4
	v_mov_b32_e32 v7, v3
	s_waitcnt vmcnt(3) lgkmcnt(3)
	ds_write_b64 v27, v[5:6]
	s_waitcnt vmcnt(2) lgkmcnt(3)
	ds_write_b64 v27, v[31:32] offset:2112
	s_waitcnt vmcnt(1) lgkmcnt(3)
	ds_write_b64 v27, v[10:11] offset:4224
	;; [unrolled: 2-line block ×3, first 2 shown]
.LBB162_46:
	v_mul_u32_u24_e32 v4, 0x108, v28
	v_add_nc_u32_e32 v28, v20, v9
	v_lshl_add_u32 v3, v23, 3, v25
	s_waitcnt lgkmcnt(0)
	s_barrier
	buffer_gl0_inv
	s_and_saveexec_b32 s7, s2
	s_cbranch_execz .LBB162_50
; %bb.47:
	ds_read_b64 v[5:6], v28
	s_waitcnt lgkmcnt(0)
	ds_write_b64 v3, v[5:6]
	s_or_b32 exec_lo, exec_lo, s7
	v_add_nc_u32_e32 v29, v20, v4
	s_and_saveexec_b32 s2, s3
	s_cbranch_execnz .LBB162_51
.LBB162_48:
	s_or_b32 exec_lo, exec_lo, s2
	s_and_saveexec_b32 s2, s4
	s_cbranch_execz .LBB162_52
.LBB162_49:
	ds_read_b64 v[4:5], v29 offset:264
	s_waitcnt lgkmcnt(0)
	ds_write_b64 v3, v[4:5] offset:16
	s_or_b32 exec_lo, exec_lo, s2
	v_add_nc_u32_e32 v30, 0x2380, v30
	s_and_saveexec_b32 s2, s5
	s_cbranch_execnz .LBB162_53
	s_branch .LBB162_54
.LBB162_50:
	s_or_b32 exec_lo, exec_lo, s7
	v_add_nc_u32_e32 v29, v20, v4
	s_and_saveexec_b32 s2, s3
	s_cbranch_execz .LBB162_48
.LBB162_51:
	ds_read_b64 v[4:5], v29
	s_waitcnt lgkmcnt(0)
	ds_write_b64 v3, v[4:5] offset:8
	s_or_b32 exec_lo, exec_lo, s2
	s_and_saveexec_b32 s2, s4
	s_cbranch_execnz .LBB162_49
.LBB162_52:
	s_or_b32 exec_lo, exec_lo, s2
	v_add_nc_u32_e32 v30, 0x2380, v30
	s_and_saveexec_b32 s2, s5
	s_cbranch_execz .LBB162_54
.LBB162_53:
	ds_read_b64 v[4:5], v21
	s_waitcnt lgkmcnt(0)
	ds_write_b64 v3, v[4:5] offset:24
.LBB162_54:
	s_or_b32 exec_lo, exec_lo, s2
	s_waitcnt lgkmcnt(0)
	s_barrier
	buffer_gl0_inv
	ds_read_b64 v[18:19], v28
	ds_read_b128 v[3:6], v30 offset:256
	ds_read_b128 v[9:12], v30 offset:272
	ds_read_b64 v[35:36], v21
	ds_read2_b64 v[31:34], v29 offset1:33
	v_cmp_eq_u32_e64 s2, 1, v13
	s_waitcnt lgkmcnt(0)
	s_barrier
	buffer_gl0_inv
	v_fma_f64 v[3:4], v[18:19], v[3:4], 0
	v_fma_f64 v[3:4], v[31:32], v[5:6], v[3:4]
	;; [unrolled: 1-line block ×4, first 2 shown]
	ds_write_b64 v26, v[3:4]
	s_waitcnt lgkmcnt(0)
	s_barrier
	buffer_gl0_inv
	s_and_saveexec_b32 s3, s2
	s_cbranch_execz .LBB162_56
; %bb.55:
	ds_read2_b64 v[3:6], v25 offset1:1
	ds_read2_b64 v[9:12], v25 offset0:2 offset1:3
	s_waitcnt lgkmcnt(1)
	v_add_f64 v[3:4], v[3:4], v[5:6]
	s_waitcnt lgkmcnt(0)
	v_add_f64 v[3:4], v[3:4], v[9:10]
	v_add_f64 v[18:19], v[3:4], v[11:12]
	ds_read2_b64 v[3:6], v25 offset0:4 offset1:5
	ds_read2_b64 v[9:12], v25 offset0:6 offset1:7
	s_waitcnt lgkmcnt(1)
	v_add_f64 v[3:4], v[18:19], v[3:4]
	v_add_f64 v[3:4], v[3:4], v[5:6]
	s_waitcnt lgkmcnt(0)
	v_add_f64 v[3:4], v[3:4], v[9:10]
	v_add_f64 v[59:60], v[3:4], v[11:12]
.LBB162_56:
	s_or_b32 exec_lo, exec_lo, s3
	v_add_co_u32 v3, vcc_lo, 0xffffff00, v7
	v_add_co_ci_u32_e64 v4, null, -1, v8, vcc_lo
	s_and_b32 vcc_lo, exec_lo, s13
	s_barrier
	buffer_gl0_inv
	s_cbranch_vccz .LBB162_66
; %bb.57:
	v_sub_co_u32 v5, vcc_lo, v3, v20
	s_ashr_i32 s9, s8, 31
	v_subrev_co_ci_u32_e64 v6, null, 0, v4, vcc_lo
	s_lshl_b64 s[4:5], s[8:9], 3
	v_mov_b32_e32 v9, 0
	v_add_co_u32 v5, vcc_lo, v5, s4
	v_add_co_ci_u32_e64 v6, null, s5, v6, vcc_lo
	v_mov_b32_e32 v7, 0
	v_add_co_u32 v5, vcc_lo, v5, -8
	v_add_co_ci_u32_e64 v6, null, -1, v6, vcc_lo
	v_cmp_gt_i32_e32 vcc_lo, s8, v2
	v_mov_b32_e32 v10, 0
	v_mov_b32_e32 v8, 0
	s_sub_i32 s7, s8, 32
	s_mov_b32 s9, exec_lo
	v_cndmask_b32_e32 v6, v6, v4, vcc_lo
	v_cndmask_b32_e32 v5, v5, v3, vcc_lo
	v_cmpx_gt_i32_e64 s7, v13
	s_cbranch_execz .LBB162_59
; %bb.58:
	flat_load_dwordx2 v[7:8], v[5:6]
.LBB162_59:
	s_or_b32 exec_lo, exec_lo, s9
	v_add_nc_u32_e32 v2, 8, v13
	s_mov_b32 s9, exec_lo
	s_waitcnt vmcnt(0) lgkmcnt(0)
	ds_write_b64 v27, v[7:8]
	v_cmpx_gt_i32_e64 s7, v2
	s_cbranch_execz .LBB162_61
; %bb.60:
	s_lshl_b32 s22, s10, 3
	s_ashr_i32 s23, s22, 31
	s_lshl_b64 s[22:23], s[22:23], 3
	v_add_co_u32 v7, s3, v5, s22
	v_add_co_ci_u32_e64 v8, null, s23, v6, s3
	flat_load_dwordx2 v[9:10], v[7:8]
.LBB162_61:
	s_or_b32 exec_lo, exec_lo, s9
	v_mov_b32_e32 v7, 0
	v_mov_b32_e32 v11, 0
	v_add_nc_u32_e32 v23, 16, v13
	v_add_nc_u32_e32 v22, v22, v20
	v_mov_b32_e32 v8, 0
	v_mov_b32_e32 v12, 0
	s_mov_b32 s9, exec_lo
	s_waitcnt vmcnt(0) lgkmcnt(0)
	ds_write_b64 v22, v[9:10] offset:2112
	v_cmpx_gt_i32_e64 s7, v23
	s_cbranch_execz .LBB162_63
; %bb.62:
	s_lshl_b32 s22, s10, 4
	s_ashr_i32 s23, s22, 31
	s_lshl_b64 s[22:23], s[22:23], 3
	v_add_co_u32 v9, s3, v5, s22
	v_add_co_ci_u32_e64 v10, null, s23, v6, s3
	flat_load_dwordx2 v[11:12], v[9:10]
.LBB162_63:
	s_or_b32 exec_lo, exec_lo, s9
	v_add_nc_u32_e32 v9, 24, v13
	s_waitcnt vmcnt(0) lgkmcnt(0)
	ds_write_b64 v22, v[11:12] offset:4224
	v_cmp_gt_i32_e64 s3, s7, v9
	s_and_saveexec_b32 s7, s3
	s_cbranch_execz .LBB162_65
; %bb.64:
	s_mul_i32 s22, s10, 24
	s_ashr_i32 s23, s22, 31
	s_lshl_b64 s[22:23], s[22:23], 3
	v_add_co_u32 v7, s3, v5, s22
	v_add_co_ci_u32_e64 v8, null, s23, v6, s3
	flat_load_dwordx2 v[7:8], v[7:8]
.LBB162_65:
	s_or_b32 exec_lo, exec_lo, s7
	v_add_co_u32 v5, s3, v5, v20
	v_add_co_ci_u32_e64 v6, null, 0, v6, s3
	s_waitcnt vmcnt(0) lgkmcnt(0)
	ds_write_b64 v22, v[7:8] offset:6336
	v_sub_co_u32 v5, s3, v5, s4
	v_subrev_co_ci_u32_e64 v6, null, s5, v6, s3
	v_add_co_u32 v5, s3, v5, 8
	v_add_co_ci_u32_e64 v6, null, 0, v6, s3
	v_cndmask_b32_e32 v18, v5, v3, vcc_lo
	v_cndmask_b32_e32 v19, v6, v4, vcc_lo
	s_branch .LBB162_68
.LBB162_66:
                                        ; implicit-def: $vgpr18_vgpr19
                                        ; implicit-def: $vgpr2
                                        ; implicit-def: $vgpr23
                                        ; implicit-def: $vgpr9
	s_cbranch_execz .LBB162_68
; %bb.67:
	s_lshl_b32 s4, s10, 3
	s_ashr_i32 s11, s10, 31
	s_ashr_i32 s5, s4, 31
	v_mov_b32_e32 v19, v4
	s_lshl_b64 s[4:5], s[4:5], 3
	v_add_nc_u32_e32 v2, 8, v13
	v_add_co_u32 v5, vcc_lo, v3, s4
	v_add_co_ci_u32_e64 v6, null, s5, v4, vcc_lo
	s_lshl_b64 s[4:5], s[10:11], 6
	v_add_nc_u32_e32 v23, 16, v13
	v_add_co_u32 v7, vcc_lo, v5, s4
	v_add_co_ci_u32_e64 v8, null, s5, v6, vcc_lo
	v_mov_b32_e32 v18, v3
	v_add_co_u32 v9, vcc_lo, v7, s4
	v_add_co_ci_u32_e64 v10, null, s5, v8, vcc_lo
	s_clause 0x3
	flat_load_dwordx2 v[11:12], v[3:4]
	flat_load_dwordx2 v[5:6], v[5:6]
	;; [unrolled: 1-line block ×4, first 2 shown]
	v_add_nc_u32_e32 v9, 24, v13
	s_waitcnt vmcnt(3) lgkmcnt(3)
	ds_write_b64 v27, v[11:12]
	s_waitcnt vmcnt(2) lgkmcnt(3)
	ds_write_b64 v27, v[5:6] offset:2112
	s_waitcnt vmcnt(1) lgkmcnt(3)
	ds_write_b64 v27, v[7:8] offset:4224
	;; [unrolled: 2-line block ×3, first 2 shown]
.LBB162_68:
	v_lshlrev_b32_e32 v6, 3, v13
	v_lshlrev_b32_e32 v8, 3, v2
	s_waitcnt lgkmcnt(0)
	s_barrier
	buffer_gl0_inv
	v_add_nc_u32_e32 v3, v25, v6
	v_lshlrev_b32_e32 v10, 3, v23
	v_lshlrev_b32_e32 v12, 3, v9
	ds_read_b64 v[2:3], v3
	ds_read_b64 v[4:5], v8 offset:9088
	ds_read_b64 v[6:7], v6 offset:9088
	v_add_nc_u32_e32 v8, v25, v8
	ds_read_b64 v[20:21], v21
	v_add_nc_u32_e32 v13, v25, v10
	s_waitcnt lgkmcnt(1)
	v_fma_f64 v[2:3], v[2:3], v[6:7], 0
	ds_read_b64 v[6:7], v8
	ds_read_b64 v[8:9], v12 offset:9088
	ds_read_b64 v[10:11], v10 offset:9088
	s_waitcnt lgkmcnt(2)
	v_fma_f64 v[2:3], v[6:7], v[4:5], v[2:3]
	ds_read_b64 v[4:5], v13
	v_add_nc_u32_e32 v6, v25, v12
	s_waitcnt lgkmcnt(0)
	v_fma_f64 v[2:3], v[4:5], v[10:11], v[2:3]
	ds_read_b64 v[4:5], v6
	ds_read_b64 v[22:23], v28
	s_waitcnt lgkmcnt(1)
	v_fma_f64 v[27:28], v[4:5], v[8:9], v[2:3]
	ds_read_b128 v[10:13], v30 offset:256
	ds_read_b128 v[2:5], v30 offset:272
	ds_read2_b64 v[6:9], v29 offset1:33
	s_waitcnt lgkmcnt(0)
	s_barrier
	buffer_gl0_inv
	ds_write_b64 v26, v[27:28]
	s_waitcnt lgkmcnt(0)
	s_barrier
	buffer_gl0_inv
	s_and_saveexec_b32 s3, s2
	s_cbranch_execz .LBB162_70
; %bb.69:
	ds_read2_b64 v[27:30], v25 offset1:1
	ds_read2_b64 v[31:34], v25 offset0:2 offset1:3
	s_waitcnt lgkmcnt(1)
	v_add_f64 v[27:28], v[59:60], v[27:28]
	v_add_f64 v[27:28], v[27:28], v[29:30]
	s_waitcnt lgkmcnt(0)
	v_add_f64 v[27:28], v[27:28], v[31:32]
	v_add_f64 v[35:36], v[27:28], v[33:34]
	ds_read2_b64 v[27:30], v25 offset0:4 offset1:5
	ds_read2_b64 v[31:34], v25 offset0:6 offset1:7
	s_waitcnt lgkmcnt(1)
	v_add_f64 v[27:28], v[35:36], v[27:28]
	v_add_f64 v[27:28], v[27:28], v[29:30]
	s_waitcnt lgkmcnt(0)
	v_add_f64 v[27:28], v[27:28], v[31:32]
	v_add_f64 v[59:60], v[27:28], v[33:34]
.LBB162_70:
	s_or_b32 exec_lo, exec_lo, s3
	v_fma_f64 v[10:11], v[22:23], v[10:11], 0
	s_barrier
	buffer_gl0_inv
	v_fma_f64 v[6:7], v[6:7], v[12:13], v[10:11]
	v_fma_f64 v[2:3], v[8:9], v[2:3], v[6:7]
	;; [unrolled: 1-line block ×3, first 2 shown]
	ds_write_b64 v26, v[2:3]
	s_waitcnt lgkmcnt(0)
	s_barrier
	buffer_gl0_inv
	s_and_saveexec_b32 s2, s1
	s_cbranch_execz .LBB162_72
; %bb.71:
	ds_read2_b64 v[2:5], v25 offset1:1
	ds_read2_b64 v[6:9], v25 offset0:2 offset1:3
	s_waitcnt lgkmcnt(1)
	v_add_f64 v[2:3], v[59:60], v[2:3]
	v_add_f64 v[2:3], v[2:3], v[4:5]
	s_waitcnt lgkmcnt(0)
	v_add_f64 v[2:3], v[2:3], v[6:7]
	v_add_f64 v[10:11], v[2:3], v[8:9]
	ds_read2_b64 v[2:5], v25 offset0:4 offset1:5
	ds_read2_b64 v[6:9], v25 offset0:6 offset1:7
	s_waitcnt lgkmcnt(1)
	v_add_f64 v[2:3], v[10:11], v[2:3]
	v_add_f64 v[2:3], v[2:3], v[4:5]
	s_waitcnt lgkmcnt(0)
	v_add_f64 v[2:3], v[2:3], v[6:7]
	v_add_f64 v[59:60], v[2:3], v[8:9]
.LBB162_72:
	s_or_b32 exec_lo, exec_lo, s2
	s_mul_hi_u32 s1, s24, s16
	s_mul_i32 s25, s25, s16
	s_mul_i32 s2, s24, s16
	s_add_i32 s1, s1, s25
	s_mul_hi_u32 s3, s2, s26
	s_mul_i32 s1, s1, s26
	s_mul_i32 s2, s2, s26
	s_add_i32 s3, s3, s1
	s_mul_hi_i32 s5, s24, s6
	s_lshl_b64 s[2:3], s[2:3], 3
	s_mul_i32 s4, s24, s6
	s_add_u32 s1, s18, s2
	s_addc_u32 s9, s19, s3
	s_lshl_b64 s[2:3], s[4:5], 3
	v_lshlrev_b32_e32 v95, 3, v0
	s_add_u32 s7, s1, s2
	s_addc_u32 s9, s9, s3
	s_add_i32 s4, s6, 1
	s_cmp_ge_u32 s4, s26
	s_barrier
	buffer_gl0_inv
	s_cbranch_scc1 .LBB162_129
; %bb.73:
	v_lshlrev_b32_e32 v96, 2, v1
	s_mul_i32 s2, s17, s12
	v_lshrrev_b32_e32 v8, 4, v24
	s_ashr_i32 s3, s2, 31
	v_and_b32_e32 v5, 48, v0
	v_mad_u64_u32 v[2:3], null, s10, v96, v[0:1]
	s_lshl_b64 s[2:3], s[2:3], 3
	s_ashr_i32 s11, s10, 31
	v_sub_co_u32 v97, vcc_lo, v16, s2
	s_lshl_b32 s2, s10, 4
	s_lshl_b32 s18, s10, 1
	s_mul_i32 s24, s10, 3
	s_mul_i32 s4, s17, s4
	v_subrev_co_ci_u32_e64 v98, null, s3, v17, vcc_lo
	v_and_b32_e32 v4, 15, v0
	v_add_co_u32 v99, vcc_lo, v18, s14
	v_ashrrev_i32_e32 v3, 31, v2
	v_lshlrev_b32_e32 v6, 5, v8
	v_lshlrev_b32_e32 v5, 3, v5
	v_or_b32_e32 v7, 0x78, v95
	s_lshl_b64 s[22:23], s[10:11], 4
	s_add_i32 s29, s26, -2
	s_lshl_b32 s30, s17, 6
	s_ashr_i32 s3, s2, 31
	s_ashr_i32 s19, s18, 31
	;; [unrolled: 1-line block ×3, first 2 shown]
	s_lshl_b64 s[16:17], s[10:11], 3
	s_lshl_b32 s4, s4, 6
	v_add_co_ci_u32_e64 v100, null, s15, v19, vcc_lo
	v_sub_co_u32 v104, vcc_lo, 0, v14
	s_add_u32 s5, s22, s14
	v_sub_co_ci_u32_e64 v105, null, 0, v15, vcc_lo
	s_addc_u32 s31, s23, s15
	v_add_co_u32 v106, vcc_lo, v18, s5
	v_mad_u32_u24 v101, 0x218, v4, v6
	v_mad_u32_u24 v102, 0x218, v4, v5
	;; [unrolled: 1-line block ×3, first 2 shown]
	v_lshlrev_b64 v[4:5], 3, v[2:3]
	v_add_co_ci_u32_e64 v107, null, s31, v19, vcc_lo
	v_add_co_u32 v6, vcc_lo, s20, v2
	v_add_co_ci_u32_e64 v7, null, s21, v3, vcc_lo
	v_sub_co_u32 v108, vcc_lo, v4, v14
	v_sub_co_ci_u32_e64 v109, null, v5, v15, vcc_lo
	v_lshlrev_b64 v[4:5], 3, v[6:7]
	s_lshl_b64 s[12:13], s[2:3], 5
	s_add_u32 s37, s16, s14
	s_addc_u32 s38, s17, s15
	s_lshl_b64 s[18:19], s[18:19], 3
	s_mul_i32 s36, s10, 24
	s_add_u32 s39, s14, s18
	s_mul_hi_i32 s33, s10, 24
	v_add_co_u32 v6, vcc_lo, s36, v4
	s_addc_u32 s40, s15, s19
	s_lshl_b64 s[24:25], s[24:25], 3
	v_add_co_ci_u32_e64 v7, null, s33, v5, vcc_lo
	s_add_u32 s41, s14, s24
	s_addc_u32 s42, s15, s25
	s_lshl_b64 s[34:35], s[2:3], 3
	v_add_co_u32 v110, vcc_lo, v18, v6
	s_add_u32 s43, s5, s34
	s_addc_u32 s44, s31, s35
	v_add_co_ci_u32_e64 v111, null, v19, v7, vcc_lo
	v_add_co_u32 v112, vcc_lo, v18, s37
	s_add_u32 s20, s20, s2
	v_add_co_ci_u32_e64 v113, null, s38, v19, vcc_lo
	s_addc_u32 s21, s21, s3
	v_add_co_u32 v2, vcc_lo, s20, v2
	v_add_co_ci_u32_e64 v3, null, s21, v3, vcc_lo
	v_add_co_u32 v114, vcc_lo, v18, s39
	v_add_co_ci_u32_e64 v115, null, s40, v19, vcc_lo
	v_lshlrev_b64 v[2:3], 3, v[2:3]
	v_add_co_u32 v116, vcc_lo, v18, s41
	v_add_co_ci_u32_e64 v117, null, s42, v19, vcc_lo
	s_add_u32 s20, s37, s34
	v_add_co_u32 v2, vcc_lo, s36, v2
	v_add_co_ci_u32_e64 v3, null, s33, v3, vcc_lo
	v_add_co_u32 v118, vcc_lo, v18, s43
	v_add_co_ci_u32_e64 v119, null, s44, v19, vcc_lo
	v_add_co_u32 v120, vcc_lo, v18, v2
	v_add_co_ci_u32_e64 v121, null, v19, v3, vcc_lo
	s_addc_u32 s21, s38, s35
	v_add_co_u32 v122, vcc_lo, v18, s20
	s_add_u32 s20, s14, s34
	v_add_co_ci_u32_e64 v123, null, s21, v19, vcc_lo
	s_addc_u32 s21, s15, s35
	v_add_co_u32 v124, vcc_lo, v18, s20
	s_add_u32 s34, s20, s18
	v_add_co_ci_u32_e64 v125, null, s21, v19, vcc_lo
	;; [unrolled: 4-line block ×3, first 2 shown]
	s_addc_u32 s35, s21, s25
	s_lshl_b64 s[20:21], s[2:3], 4
	v_add_co_u32 v128, vcc_lo, v18, s34
	s_add_u32 s5, s5, s20
	v_add_co_ci_u32_e64 v129, null, s35, v19, vcc_lo
	s_addc_u32 s31, s31, s21
	v_add_co_u32 v130, vcc_lo, v18, s5
	s_add_u32 s5, s36, s20
	v_add_co_ci_u32_e64 v131, null, s31, v19, vcc_lo
	s_addc_u32 s31, s33, s21
	v_add_co_u32 v6, vcc_lo, s5, v4
	s_add_u32 s5, s20, s14
	s_addc_u32 s14, s21, s15
	s_add_u32 s15, s5, s16
	s_addc_u32 s20, s14, s17
	s_add_u32 s21, s5, s18
	v_add_co_ci_u32_e64 v7, null, s31, v5, vcc_lo
	s_addc_u32 s31, s14, s19
	s_add_u32 s33, s5, s24
	s_mul_i32 s35, s10, 0x180
	s_addc_u32 s34, s14, s25
	s_mul_hi_i32 s36, s2, 24
	s_add_u32 s22, s35, s22
	v_add_co_u32 v132, vcc_lo, v18, v6
	s_addc_u32 s23, s36, s23
	s_add_u32 s10, s10, s2
	v_add_co_ci_u32_e64 v133, null, v19, v7, vcc_lo
	v_add_co_u32 v6, vcc_lo, s22, v4
	v_mad_u64_u32 v[2:3], null, s10, 24, v[4:5]
	v_add_co_ci_u32_e64 v7, null, s23, v5, vcc_lo
	v_mad_i64_i32 v[4:5], null, s2, 24, v[4:5]
	v_add_co_u32 v134, vcc_lo, v18, v6
	s_addc_u32 s2, s11, s3
	v_add_co_ci_u32_e64 v135, null, v19, v7, vcc_lo
	v_cmp_gt_u32_e64 s1, 64, v24
	v_mad_u64_u32 v[6:7], null, s2, 24, v[3:4]
	v_add_co_u32 v3, vcc_lo, v4, s16
	v_add_co_ci_u32_e64 v7, null, s17, v5, vcc_lo
	v_add_co_u32 v136, vcc_lo, v18, v2
	v_add_co_ci_u32_e64 v137, null, v19, v6, vcc_lo
	;; [unrolled: 2-line block ×9, first 2 shown]
	v_add_co_u32 v148, vcc_lo, v18, s5
	v_mul_i32_i24_e32 v2, 0xffffffe8, v8
	v_add_co_ci_u32_e64 v149, null, s14, v19, vcc_lo
	v_add_co_u32 v150, vcc_lo, v18, s21
	v_add_co_ci_u32_e64 v151, null, s31, v19, vcc_lo
	v_add_co_u32 v152, vcc_lo, v18, s33
	v_add_co_ci_u32_e64 v153, null, s34, v19, vcc_lo
	v_add_nc_u32_e32 v154, v101, v2
	v_add_nc_u32_e32 v155, 0x2180, v95
	v_lshl_add_u32 v156, v1, 5, 0x2180
	v_add_nc_u32_e32 v157, 0x2380, v95
	v_mad_u32_u24 v158, 0x860, v1, v95
	v_or_b32_e32 v159, 1, v96
	v_or_b32_e32 v160, 2, v96
	;; [unrolled: 1-line block ×3, first 2 shown]
	v_add_nc_u32_e32 v162, 16, v96
	v_add_nc_u32_e32 v163, 17, v96
	;; [unrolled: 1-line block ×13, first 2 shown]
	s_cmp_eq_u32 s29, s6
	s_cselect_b32 s3, s27, 0
	s_and_saveexec_b32 s2, s0
	s_cbranch_execz .LBB162_78
	s_branch .LBB162_75
.LBB162_74:                             ;   in Loop: Header=BB162_78 Depth=1
	s_mov_b32 s6, s2
	s_cmp_eq_u32 s29, s6
	s_cselect_b32 s3, s27, 0
	s_and_saveexec_b32 s2, s0
	s_cbranch_execz .LBB162_78
.LBB162_75:
	v_cmp_gt_i32_e32 vcc_lo, s3, v0
	s_cmp_eq_u32 s3, 0
	v_mov_b32_e32 v2, 0
	v_mov_b32_e32 v3, 0
	s_cselect_b32 s5, -1, 0
	s_or_b32 s5, s5, vcc_lo
	s_and_saveexec_b32 s10, s5
	s_cbranch_execz .LBB162_77
; %bb.76:
	s_ashr_i32 s5, s4, 31
	s_lshl_b64 s[14:15], s[4:5], 3
	v_add_co_u32 v2, vcc_lo, v97, s14
	v_add_co_ci_u32_e64 v3, null, s15, v98, vcc_lo
	flat_load_dwordx2 v[2:3], v[2:3]
.LBB162_77:
	s_or_b32 exec_lo, exec_lo, s10
	s_waitcnt vmcnt(0) lgkmcnt(0)
	ds_write_b64 v155, v[2:3]
.LBB162_78:                             ; =>This Inner Loop Header: Depth=1
	s_or_b32 exec_lo, exec_lo, s2
	s_cmp_eq_u32 s3, 0
	v_add_co_u32 v2, vcc_lo, v99, v108
	s_cselect_b32 s5, -1, 0
	s_cmp_lg_u32 s3, 0
	v_add_co_ci_u32_e64 v3, null, v100, v109, vcc_lo
	s_cselect_b32 s2, -1, 0
	s_mov_b32 s10, -1
	s_and_b32 vcc_lo, exec_lo, s2
	s_waitcnt lgkmcnt(0)
	s_barrier
	buffer_gl0_inv
                                        ; implicit-def: $vgpr69_vgpr70
                                        ; implicit-def: $vgpr67_vgpr68
                                        ; implicit-def: $vgpr65_vgpr66
                                        ; implicit-def: $vgpr63_vgpr64
	s_cbranch_vccz .LBB162_88
; %bb.79:                               ;   in Loop: Header=BB162_78 Depth=1
	v_mov_b32_e32 v65, 0
	v_mov_b32_e32 v63, 0
	;; [unrolled: 1-line block ×4, first 2 shown]
	s_mov_b32 s10, exec_lo
	v_cmpx_gt_i32_e64 s3, v96
	s_cbranch_execz .LBB162_81
; %bb.80:                               ;   in Loop: Header=BB162_78 Depth=1
	flat_load_dwordx2 v[63:64], v[2:3]
.LBB162_81:                             ;   in Loop: Header=BB162_78 Depth=1
	s_or_b32 exec_lo, exec_lo, s10
	s_mov_b32 s10, exec_lo
	v_cmpx_gt_i32_e64 s3, v159
	s_cbranch_execz .LBB162_83
; %bb.82:                               ;   in Loop: Header=BB162_78 Depth=1
	v_add_co_u32 v4, vcc_lo, v112, v108
	v_add_co_ci_u32_e64 v5, null, v113, v109, vcc_lo
	flat_load_dwordx2 v[65:66], v[4:5]
.LBB162_83:                             ;   in Loop: Header=BB162_78 Depth=1
	s_or_b32 exec_lo, exec_lo, s10
	v_mov_b32_e32 v69, 0
	v_mov_b32_e32 v67, 0
	;; [unrolled: 1-line block ×4, first 2 shown]
	s_mov_b32 s10, exec_lo
	v_cmpx_gt_i32_e64 s3, v160
	s_cbranch_execz .LBB162_85
; %bb.84:                               ;   in Loop: Header=BB162_78 Depth=1
	v_add_co_u32 v4, vcc_lo, v114, v108
	v_add_co_ci_u32_e64 v5, null, v115, v109, vcc_lo
	flat_load_dwordx2 v[67:68], v[4:5]
.LBB162_85:                             ;   in Loop: Header=BB162_78 Depth=1
	s_or_b32 exec_lo, exec_lo, s10
	s_mov_b32 s10, exec_lo
	v_cmpx_gt_i32_e64 s3, v161
	s_cbranch_execz .LBB162_87
; %bb.86:                               ;   in Loop: Header=BB162_78 Depth=1
	v_add_co_u32 v4, vcc_lo, v116, v108
	v_add_co_ci_u32_e64 v5, null, v117, v109, vcc_lo
	flat_load_dwordx2 v[69:70], v[4:5]
.LBB162_87:                             ;   in Loop: Header=BB162_78 Depth=1
	s_or_b32 exec_lo, exec_lo, s10
	s_mov_b32 s10, 0
.LBB162_88:                             ;   in Loop: Header=BB162_78 Depth=1
	s_and_b32 vcc_lo, exec_lo, s10
	s_cbranch_vccz .LBB162_90
; %bb.89:                               ;   in Loop: Header=BB162_78 Depth=1
	v_add_co_u32 v4, vcc_lo, v112, v108
	v_add_co_ci_u32_e64 v5, null, v113, v109, vcc_lo
	v_add_co_u32 v6, vcc_lo, v106, v108
	v_add_co_ci_u32_e64 v7, null, v107, v109, vcc_lo
	;; [unrolled: 2-line block ×3, first 2 shown]
	s_waitcnt vmcnt(0) lgkmcnt(0)
	flat_load_dwordx2 v[63:64], v[2:3]
	flat_load_dwordx2 v[65:66], v[4:5]
	;; [unrolled: 1-line block ×4, first 2 shown]
.LBB162_90:                             ;   in Loop: Header=BB162_78 Depth=1
	ds_read_b64 v[2:3], v157
	v_add_co_u32 v18, vcc_lo, v124, v108
	v_cndmask_b32_e64 v42, 0, 1, s2
	v_add_co_ci_u32_e64 v19, null, v125, v109, vcc_lo
	s_andn2_b32 vcc_lo, exec_lo, s2
	s_mov_b32 s2, -1
                                        ; implicit-def: $vgpr77_vgpr78
                                        ; implicit-def: $vgpr75_vgpr76
                                        ; implicit-def: $vgpr73_vgpr74
                                        ; implicit-def: $vgpr71_vgpr72
	s_waitcnt vmcnt(0) lgkmcnt(0)
	v_mul_f64 v[10:11], v[63:64], v[2:3]
	v_mul_f64 v[12:13], v[65:66], v[2:3]
	;; [unrolled: 1-line block ×4, first 2 shown]
	ds_read_b128 v[6:9], v156
	ds_read_b128 v[2:5], v156 offset:16
	ds_write2_b64 v158, v[10:11], v[12:13] offset1:67
	ds_write2_b64 v158, v[14:15], v[16:17] offset0:134 offset1:201
	s_waitcnt lgkmcnt(0)
	s_barrier
	buffer_gl0_inv
	ds_read2_b64 v[14:17], v101 offset1:1
	ds_read2_b64 v[10:13], v101 offset0:2 offset1:3
	s_waitcnt lgkmcnt(0)
	s_barrier
	buffer_gl0_inv
	s_cbranch_vccnz .LBB162_100
; %bb.91:                               ;   in Loop: Header=BB162_78 Depth=1
	v_mov_b32_e32 v73, 0
	v_mov_b32_e32 v71, 0
	;; [unrolled: 1-line block ×4, first 2 shown]
	s_mov_b32 s2, exec_lo
	v_cmpx_gt_i32_e64 s3, v162
	s_cbranch_execz .LBB162_93
; %bb.92:                               ;   in Loop: Header=BB162_78 Depth=1
	flat_load_dwordx2 v[71:72], v[18:19]
.LBB162_93:                             ;   in Loop: Header=BB162_78 Depth=1
	s_or_b32 exec_lo, exec_lo, s2
	s_mov_b32 s2, exec_lo
	v_cmpx_gt_i32_e64 s3, v163
	s_cbranch_execz .LBB162_95
; %bb.94:                               ;   in Loop: Header=BB162_78 Depth=1
	v_add_co_u32 v20, vcc_lo, v122, v108
	v_add_co_ci_u32_e64 v21, null, v123, v109, vcc_lo
	flat_load_dwordx2 v[73:74], v[20:21]
.LBB162_95:                             ;   in Loop: Header=BB162_78 Depth=1
	s_or_b32 exec_lo, exec_lo, s2
	v_mov_b32_e32 v77, 0
	v_mov_b32_e32 v75, 0
	;; [unrolled: 1-line block ×4, first 2 shown]
	s_mov_b32 s2, exec_lo
	v_cmpx_gt_i32_e64 s3, v164
	s_cbranch_execz .LBB162_97
; %bb.96:                               ;   in Loop: Header=BB162_78 Depth=1
	v_add_co_u32 v20, vcc_lo, v126, v108
	v_add_co_ci_u32_e64 v21, null, v127, v109, vcc_lo
	flat_load_dwordx2 v[75:76], v[20:21]
.LBB162_97:                             ;   in Loop: Header=BB162_78 Depth=1
	s_or_b32 exec_lo, exec_lo, s2
	s_mov_b32 s2, exec_lo
	v_cmpx_gt_i32_e64 s3, v165
	s_cbranch_execz .LBB162_99
; %bb.98:                               ;   in Loop: Header=BB162_78 Depth=1
	v_add_co_u32 v20, vcc_lo, v128, v108
	v_add_co_ci_u32_e64 v21, null, v129, v109, vcc_lo
	flat_load_dwordx2 v[77:78], v[20:21]
.LBB162_99:                             ;   in Loop: Header=BB162_78 Depth=1
	s_or_b32 exec_lo, exec_lo, s2
	s_mov_b32 s2, 0
.LBB162_100:                            ;   in Loop: Header=BB162_78 Depth=1
	s_and_b32 vcc_lo, exec_lo, s2
	s_cbranch_vccz .LBB162_102
; %bb.101:                              ;   in Loop: Header=BB162_78 Depth=1
	v_add_co_u32 v20, vcc_lo, v122, v108
	v_add_co_ci_u32_e64 v21, null, v123, v109, vcc_lo
	v_add_co_u32 v22, vcc_lo, v118, v108
	v_add_co_ci_u32_e64 v23, null, v119, v109, vcc_lo
	;; [unrolled: 2-line block ×3, first 2 shown]
	s_waitcnt vmcnt(0) lgkmcnt(0)
	flat_load_dwordx2 v[71:72], v[18:19]
	flat_load_dwordx2 v[73:74], v[20:21]
	;; [unrolled: 1-line block ×4, first 2 shown]
.LBB162_102:                            ;   in Loop: Header=BB162_78 Depth=1
	ds_read_b64 v[18:19], v157
	v_cmp_ne_u32_e32 vcc_lo, 1, v42
	v_add_co_u32 v34, s2, v148, v108
	v_add_co_ci_u32_e64 v35, null, v149, v109, s2
	s_and_b32 vcc_lo, exec_lo, vcc_lo
	s_mov_b32 s2, -1
                                        ; implicit-def: $vgpr85_vgpr86
                                        ; implicit-def: $vgpr83_vgpr84
                                        ; implicit-def: $vgpr81_vgpr82
                                        ; implicit-def: $vgpr79_vgpr80
	s_waitcnt vmcnt(0) lgkmcnt(0)
	v_mul_f64 v[26:27], v[71:72], v[18:19]
	v_mul_f64 v[28:29], v[73:74], v[18:19]
	v_mul_f64 v[30:31], v[75:76], v[18:19]
	v_mul_f64 v[32:33], v[77:78], v[18:19]
	ds_read_b128 v[22:25], v156 offset:128
	ds_read_b128 v[18:21], v156 offset:144
	ds_write2_b64 v158, v[26:27], v[28:29] offset1:67
	ds_write2_b64 v158, v[30:31], v[32:33] offset0:134 offset1:201
	s_waitcnt lgkmcnt(0)
	s_barrier
	buffer_gl0_inv
	ds_read2_b64 v[30:33], v101 offset1:1
	ds_read2_b64 v[26:29], v101 offset0:2 offset1:3
	s_waitcnt lgkmcnt(0)
	s_barrier
	buffer_gl0_inv
	s_cbranch_vccnz .LBB162_112
; %bb.103:                              ;   in Loop: Header=BB162_78 Depth=1
	v_mov_b32_e32 v81, 0
	v_mov_b32_e32 v79, 0
	;; [unrolled: 1-line block ×4, first 2 shown]
	s_mov_b32 s2, exec_lo
	v_cmpx_gt_i32_e64 s3, v166
	s_cbranch_execz .LBB162_105
; %bb.104:                              ;   in Loop: Header=BB162_78 Depth=1
	flat_load_dwordx2 v[79:80], v[34:35]
.LBB162_105:                            ;   in Loop: Header=BB162_78 Depth=1
	s_or_b32 exec_lo, exec_lo, s2
	s_mov_b32 s2, exec_lo
	v_cmpx_gt_i32_e64 s3, v167
	s_cbranch_execz .LBB162_107
; %bb.106:                              ;   in Loop: Header=BB162_78 Depth=1
	v_add_co_u32 v36, vcc_lo, v146, v108
	v_add_co_ci_u32_e64 v37, null, v147, v109, vcc_lo
	flat_load_dwordx2 v[81:82], v[36:37]
.LBB162_107:                            ;   in Loop: Header=BB162_78 Depth=1
	s_or_b32 exec_lo, exec_lo, s2
	v_mov_b32_e32 v85, 0
	v_mov_b32_e32 v83, 0
	;; [unrolled: 1-line block ×4, first 2 shown]
	s_mov_b32 s2, exec_lo
	v_cmpx_gt_i32_e64 s3, v168
	s_cbranch_execz .LBB162_109
; %bb.108:                              ;   in Loop: Header=BB162_78 Depth=1
	v_add_co_u32 v36, vcc_lo, v150, v108
	v_add_co_ci_u32_e64 v37, null, v151, v109, vcc_lo
	flat_load_dwordx2 v[83:84], v[36:37]
.LBB162_109:                            ;   in Loop: Header=BB162_78 Depth=1
	s_or_b32 exec_lo, exec_lo, s2
	s_mov_b32 s2, exec_lo
	v_cmpx_gt_i32_e64 s3, v169
	s_cbranch_execz .LBB162_111
; %bb.110:                              ;   in Loop: Header=BB162_78 Depth=1
	v_add_co_u32 v36, vcc_lo, v152, v108
	v_add_co_ci_u32_e64 v37, null, v153, v109, vcc_lo
	flat_load_dwordx2 v[85:86], v[36:37]
.LBB162_111:                            ;   in Loop: Header=BB162_78 Depth=1
	s_or_b32 exec_lo, exec_lo, s2
	s_mov_b32 s2, 0
.LBB162_112:                            ;   in Loop: Header=BB162_78 Depth=1
	s_and_b32 vcc_lo, exec_lo, s2
	s_cbranch_vccz .LBB162_114
; %bb.113:                              ;   in Loop: Header=BB162_78 Depth=1
	v_add_co_u32 v36, vcc_lo, v146, v108
	v_add_co_ci_u32_e64 v37, null, v147, v109, vcc_lo
	v_add_co_u32 v38, vcc_lo, v130, v108
	v_add_co_ci_u32_e64 v39, null, v131, v109, vcc_lo
	;; [unrolled: 2-line block ×3, first 2 shown]
	s_waitcnt vmcnt(0) lgkmcnt(0)
	flat_load_dwordx2 v[79:80], v[34:35]
	flat_load_dwordx2 v[81:82], v[36:37]
	;; [unrolled: 1-line block ×4, first 2 shown]
.LBB162_114:                            ;   in Loop: Header=BB162_78 Depth=1
	ds_read_b64 v[34:35], v157
	v_cmp_ne_u32_e32 vcc_lo, 1, v42
	v_add_co_u32 v42, s2, v140, v104
                                        ; implicit-def: $vgpr87_vgpr88
                                        ; implicit-def: $vgpr91_vgpr92
                                        ; implicit-def: $vgpr89_vgpr90
                                        ; implicit-def: $vgpr93_vgpr94
	s_and_b32 vcc_lo, exec_lo, vcc_lo
	s_waitcnt vmcnt(0) lgkmcnt(0)
	v_mul_f64 v[43:44], v[79:80], v[34:35]
	v_mul_f64 v[45:46], v[81:82], v[34:35]
	;; [unrolled: 1-line block ×4, first 2 shown]
	ds_read_b128 v[38:41], v156 offset:256
	ds_read_b128 v[34:37], v156 offset:272
	ds_write2_b64 v158, v[43:44], v[45:46] offset1:67
	ds_write2_b64 v158, v[47:48], v[49:50] offset0:134 offset1:201
	s_waitcnt lgkmcnt(0)
	s_barrier
	buffer_gl0_inv
	ds_read2_b64 v[54:57], v101 offset1:1
	ds_read2_b64 v[46:49], v101 offset0:2 offset1:3
	v_add_co_ci_u32_e64 v43, null, v141, v105, s2
	s_mov_b32 s2, -1
	s_waitcnt lgkmcnt(0)
	s_barrier
	buffer_gl0_inv
	s_cbranch_vccnz .LBB162_124
; %bb.115:                              ;   in Loop: Header=BB162_78 Depth=1
	v_mov_b32_e32 v89, 0
	v_mov_b32_e32 v93, 0
	;; [unrolled: 1-line block ×4, first 2 shown]
	s_mov_b32 s2, exec_lo
	v_cmpx_gt_i32_e64 s3, v170
	s_cbranch_execz .LBB162_117
; %bb.116:                              ;   in Loop: Header=BB162_78 Depth=1
	flat_load_dwordx2 v[93:94], v[42:43]
.LBB162_117:                            ;   in Loop: Header=BB162_78 Depth=1
	s_or_b32 exec_lo, exec_lo, s2
	s_mov_b32 s2, exec_lo
	v_cmpx_gt_i32_e64 s3, v171
	s_cbranch_execz .LBB162_119
; %bb.118:                              ;   in Loop: Header=BB162_78 Depth=1
	v_add_co_u32 v44, vcc_lo, v138, v104
	v_add_co_ci_u32_e64 v45, null, v139, v105, vcc_lo
	flat_load_dwordx2 v[89:90], v[44:45]
.LBB162_119:                            ;   in Loop: Header=BB162_78 Depth=1
	s_or_b32 exec_lo, exec_lo, s2
	v_mov_b32_e32 v87, 0
	v_mov_b32_e32 v91, 0
	;; [unrolled: 1-line block ×4, first 2 shown]
	s_mov_b32 s2, exec_lo
	v_cmpx_gt_i32_e64 s3, v172
	s_cbranch_execz .LBB162_121
; %bb.120:                              ;   in Loop: Header=BB162_78 Depth=1
	v_add_co_u32 v44, vcc_lo, v142, v104
	v_add_co_ci_u32_e64 v45, null, v143, v105, vcc_lo
	flat_load_dwordx2 v[91:92], v[44:45]
.LBB162_121:                            ;   in Loop: Header=BB162_78 Depth=1
	s_or_b32 exec_lo, exec_lo, s2
	s_mov_b32 s2, exec_lo
	v_cmpx_gt_i32_e64 s3, v173
	s_cbranch_execz .LBB162_123
; %bb.122:                              ;   in Loop: Header=BB162_78 Depth=1
	v_add_co_u32 v44, vcc_lo, v144, v104
	v_add_co_ci_u32_e64 v45, null, v145, v105, vcc_lo
	flat_load_dwordx2 v[87:88], v[44:45]
.LBB162_123:                            ;   in Loop: Header=BB162_78 Depth=1
	s_or_b32 exec_lo, exec_lo, s2
	s_mov_b32 s2, 0
.LBB162_124:                            ;   in Loop: Header=BB162_78 Depth=1
	s_and_b32 vcc_lo, exec_lo, s2
	s_cbranch_vccz .LBB162_126
; %bb.125:                              ;   in Loop: Header=BB162_78 Depth=1
	v_add_co_u32 v44, vcc_lo, v138, v104
	v_add_co_ci_u32_e64 v45, null, v139, v105, vcc_lo
	v_add_co_u32 v50, vcc_lo, v134, v104
	v_add_co_ci_u32_e64 v51, null, v135, v105, vcc_lo
	;; [unrolled: 2-line block ×3, first 2 shown]
	s_waitcnt vmcnt(0) lgkmcnt(0)
	flat_load_dwordx2 v[93:94], v[42:43]
	flat_load_dwordx2 v[89:90], v[44:45]
	;; [unrolled: 1-line block ×4, first 2 shown]
.LBB162_126:                            ;   in Loop: Header=BB162_78 Depth=1
	ds_read_b64 v[42:43], v157
	v_add_f64 v[30:31], v[30:31], 0
	v_add_f64 v[14:15], v[14:15], 0
	v_add_f64 v[54:55], v[54:55], 0
	v_cmp_gt_i32_e32 vcc_lo, s3, v0
	s_or_b32 s2, s5, vcc_lo
	s_and_b32 s3, s1, s2
	s_waitcnt vmcnt(0) lgkmcnt(0)
	v_mul_f64 v[174:175], v[93:94], v[42:43]
	v_mul_f64 v[176:177], v[89:90], v[42:43]
	;; [unrolled: 1-line block ×4, first 2 shown]
	ds_read_b128 v[50:53], v156 offset:384
	ds_read_b128 v[42:45], v156 offset:400
	v_add_f64 v[30:31], v[30:31], v[32:33]
	v_add_f64 v[14:15], v[14:15], v[16:17]
	;; [unrolled: 1-line block ×3, first 2 shown]
	ds_write2_b64 v158, v[174:175], v[176:177] offset1:67
	ds_write2_b64 v158, v[178:179], v[180:181] offset0:134 offset1:201
	s_waitcnt lgkmcnt(0)
	s_barrier
	buffer_gl0_inv
	ds_read2_b64 v[174:177], v101 offset1:1
	ds_read2_b64 v[178:181], v101 offset0:2 offset1:3
	v_add_f64 v[26:27], v[30:31], v[26:27]
	v_add_f64 v[10:11], v[14:15], v[10:11]
	;; [unrolled: 1-line block ×3, first 2 shown]
	s_waitcnt lgkmcnt(0)
	s_barrier
	buffer_gl0_inv
	v_add_f64 v[174:175], v[174:175], 0
	v_add_f64 v[26:27], v[26:27], v[28:29]
	;; [unrolled: 1-line block ×7, first 2 shown]
	ds_write2_b64 v154, v[10:11], v[26:27] offset1:16
	ds_write2_b64 v154, v[16:17], v[12:13] offset0:32 offset1:48
	s_waitcnt lgkmcnt(0)
	s_barrier
	buffer_gl0_inv
	s_and_saveexec_b32 s2, s3
	s_cbranch_execz .LBB162_128
; %bb.127:                              ;   in Loop: Header=BB162_78 Depth=1
	ds_read2_b64 v[10:13], v102 offset1:1
	ds_read2_b64 v[14:17], v102 offset0:2 offset1:3
	v_ashrrev_i32_e32 v62, 31, v61
	s_waitcnt lgkmcnt(1)
	v_add_f64 v[10:11], v[10:11], v[12:13]
	s_waitcnt lgkmcnt(0)
	v_add_f64 v[10:11], v[10:11], v[14:15]
	v_add_f64 v[26:27], v[10:11], v[16:17]
	ds_read2_b64 v[10:13], v102 offset0:4 offset1:5
	ds_read2_b64 v[14:17], v102 offset0:6 offset1:7
	s_waitcnt lgkmcnt(1)
	v_add_f64 v[10:11], v[26:27], v[10:11]
	v_add_f64 v[10:11], v[10:11], v[12:13]
	s_waitcnt lgkmcnt(0)
	v_add_f64 v[10:11], v[10:11], v[14:15]
	v_add_f64 v[26:27], v[10:11], v[16:17]
	ds_read2_b64 v[10:13], v102 offset0:8 offset1:9
	ds_read2_b64 v[14:17], v102 offset0:10 offset1:11
	s_waitcnt lgkmcnt(1)
	v_add_f64 v[10:11], v[26:27], v[10:11]
	v_add_f64 v[10:11], v[10:11], v[12:13]
	s_waitcnt lgkmcnt(0)
	v_add_f64 v[10:11], v[10:11], v[14:15]
	v_add_f64 v[14:15], v[10:11], v[16:17]
	ds_read2_b64 v[10:13], v102 offset0:12 offset1:13
	ds_read_b64 v[16:17], v102 offset:112
	s_waitcnt lgkmcnt(1)
	v_add_f64 v[10:11], v[14:15], v[10:11]
	v_add_f64 v[10:11], v[10:11], v[12:13]
	ds_read_b64 v[12:13], v103
	s_waitcnt lgkmcnt(1)
	v_add_f64 v[10:11], v[10:11], v[16:17]
	s_waitcnt lgkmcnt(0)
	v_add_f64 v[10:11], v[10:11], v[12:13]
	v_lshlrev_b64 v[12:13], 3, v[61:62]
	v_add_co_u32 v12, vcc_lo, s7, v12
	v_add_co_ci_u32_e64 v13, null, s9, v13, vcc_lo
	global_store_dwordx2 v[12:13], v[10:11], off
.LBB162_128:                            ;   in Loop: Header=BB162_78 Depth=1
	s_or_b32 exec_lo, exec_lo, s2
	v_fma_f64 v[6:7], v[63:64], v[6:7], v[59:60]
	v_add_co_u32 v106, vcc_lo, v106, s12
	v_add_co_ci_u32_e64 v107, null, s13, v107, vcc_lo
	v_add_co_u32 v110, vcc_lo, v110, s12
	v_add_co_ci_u32_e64 v111, null, s13, v111, vcc_lo
	v_add_co_u32 v112, vcc_lo, v112, s12
	v_add_co_ci_u32_e64 v113, null, s13, v113, vcc_lo
	v_add_co_u32 v99, vcc_lo, v99, s12
	v_add_co_ci_u32_e64 v100, null, s13, v100, vcc_lo
	v_add_co_u32 v114, vcc_lo, v114, s12
	v_add_co_ci_u32_e64 v115, null, s13, v115, vcc_lo
	v_add_co_u32 v116, vcc_lo, v116, s12
	v_fma_f64 v[6:7], v[65:66], v[8:9], v[6:7]
	v_add_co_ci_u32_e64 v117, null, s13, v117, vcc_lo
	v_add_co_u32 v118, vcc_lo, v118, s12
	v_add_co_ci_u32_e64 v119, null, s13, v119, vcc_lo
	v_add_co_u32 v120, vcc_lo, v120, s12
	;; [unrolled: 2-line block ×5, first 2 shown]
	v_add_co_ci_u32_e64 v127, null, s13, v127, vcc_lo
	v_fma_f64 v[2:3], v[67:68], v[2:3], v[6:7]
	v_add_co_u32 v128, vcc_lo, v128, s12
	v_add_co_ci_u32_e64 v129, null, s13, v129, vcc_lo
	v_add_co_u32 v130, vcc_lo, v130, s12
	v_add_co_ci_u32_e64 v131, null, s13, v131, vcc_lo
	v_add_co_u32 v132, vcc_lo, v132, s12
	v_add_co_ci_u32_e64 v133, null, s13, v133, vcc_lo
	v_add_co_u32 v146, vcc_lo, v146, s12
	v_add_co_ci_u32_e64 v147, null, s13, v147, vcc_lo
	v_add_co_u32 v148, vcc_lo, v148, s12
	v_add_co_ci_u32_e64 v149, null, s13, v149, vcc_lo
	v_add_co_u32 v150, vcc_lo, v150, s12
	v_fma_f64 v[2:3], v[69:70], v[4:5], v[2:3]
	v_add_co_ci_u32_e64 v151, null, s13, v151, vcc_lo
	v_add_co_u32 v152, vcc_lo, v152, s12
	v_add_co_ci_u32_e64 v153, null, s13, v153, vcc_lo
	v_add_co_u32 v134, vcc_lo, v134, s12
	;; [unrolled: 2-line block ×5, first 2 shown]
	v_add_co_ci_u32_e64 v141, null, s13, v141, vcc_lo
	v_fma_f64 v[2:3], v[71:72], v[22:23], v[2:3]
	v_add_co_u32 v142, vcc_lo, v142, s12
	v_add_co_ci_u32_e64 v143, null, s13, v143, vcc_lo
	v_add_co_u32 v144, vcc_lo, v144, s12
	v_add_nc_u32_e32 v61, 64, v61
	v_add_co_ci_u32_e64 v145, null, s13, v145, vcc_lo
	s_add_i32 s3, s6, 2
	s_add_i32 s2, s6, 1
	s_add_i32 s4, s4, s30
	s_cmp_ge_u32 s3, s26
	s_waitcnt_vscnt null, 0x0
	s_barrier
	buffer_gl0_inv
	v_fma_f64 v[2:3], v[73:74], v[24:25], v[2:3]
	v_fma_f64 v[2:3], v[75:76], v[18:19], v[2:3]
	;; [unrolled: 1-line block ×11, first 2 shown]
	s_cbranch_scc0 .LBB162_74
.LBB162_129:
	v_cmp_gt_i32_e32 vcc_lo, s8, v0
	v_mad_u32_u24 v1, 0x218, v1, v95
	s_or_b32 s1, s28, vcc_lo
	ds_write_b64 v1, v[59:60]
	s_and_b32 s0, s0, s1
	s_waitcnt lgkmcnt(0)
	s_barrier
	buffer_gl0_inv
	s_and_saveexec_b32 s1, s0
	s_cbranch_execz .LBB162_4
; %bb.130:
	ds_read2_b64 v[0:3], v95 offset1:67
	v_ashrrev_i32_e32 v59, 31, v58
	s_waitcnt lgkmcnt(0)
	v_add_f64 v[4:5], v[0:1], v[2:3]
	ds_read2_b64 v[0:3], v95 offset0:134 offset1:201
	s_waitcnt lgkmcnt(0)
	v_add_f64 v[0:1], v[4:5], v[0:1]
	v_add_f64 v[0:1], v[0:1], v[2:3]
	v_lshlrev_b64 v[2:3], 3, v[58:59]
	v_add_co_u32 v2, vcc_lo, s7, v2
	v_add_co_ci_u32_e64 v3, null, s9, v3, vcc_lo
	global_store_dwordx2 v[2:3], v[0:1], off
	s_endpgm
	.section	.rodata,"a",@progbits
	.p2align	6, 0x0
	.amdhsa_kernel _ZL26rocblas_hemvn_kernel_upperILb0ELi64ELi4ELi33ELi32ELi16EiPKdPKS1_PdEviT6_lT7_lT5_lS6_lS7_lS5_lT8_i
		.amdhsa_group_segment_fixed_size 9600
		.amdhsa_private_segment_fixed_size 0
		.amdhsa_kernarg_size 376
		.amdhsa_user_sgpr_count 6
		.amdhsa_user_sgpr_private_segment_buffer 1
		.amdhsa_user_sgpr_dispatch_ptr 0
		.amdhsa_user_sgpr_queue_ptr 0
		.amdhsa_user_sgpr_kernarg_segment_ptr 1
		.amdhsa_user_sgpr_dispatch_id 0
		.amdhsa_user_sgpr_flat_scratch_init 0
		.amdhsa_user_sgpr_private_segment_size 0
		.amdhsa_wavefront_size32 1
		.amdhsa_uses_dynamic_stack 0
		.amdhsa_system_sgpr_private_segment_wavefront_offset 0
		.amdhsa_system_sgpr_workgroup_id_x 1
		.amdhsa_system_sgpr_workgroup_id_y 0
		.amdhsa_system_sgpr_workgroup_id_z 1
		.amdhsa_system_sgpr_workgroup_info 0
		.amdhsa_system_vgpr_workitem_id 1
		.amdhsa_next_free_vgpr 182
		.amdhsa_next_free_sgpr 45
		.amdhsa_reserve_vcc 1
		.amdhsa_reserve_flat_scratch 1
		.amdhsa_float_round_mode_32 0
		.amdhsa_float_round_mode_16_64 0
		.amdhsa_float_denorm_mode_32 3
		.amdhsa_float_denorm_mode_16_64 3
		.amdhsa_dx10_clamp 1
		.amdhsa_ieee_mode 1
		.amdhsa_fp16_overflow 0
		.amdhsa_workgroup_processor_mode 1
		.amdhsa_memory_ordered 1
		.amdhsa_forward_progress 1
		.amdhsa_shared_vgpr_count 0
		.amdhsa_exception_fp_ieee_invalid_op 0
		.amdhsa_exception_fp_denorm_src 0
		.amdhsa_exception_fp_ieee_div_zero 0
		.amdhsa_exception_fp_ieee_overflow 0
		.amdhsa_exception_fp_ieee_underflow 0
		.amdhsa_exception_fp_ieee_inexact 0
		.amdhsa_exception_int_div_zero 0
	.end_amdhsa_kernel
	.section	.text._ZL26rocblas_hemvn_kernel_upperILb0ELi64ELi4ELi33ELi32ELi16EiPKdPKS1_PdEviT6_lT7_lT5_lS6_lS7_lS5_lT8_i,"axG",@progbits,_ZL26rocblas_hemvn_kernel_upperILb0ELi64ELi4ELi33ELi32ELi16EiPKdPKS1_PdEviT6_lT7_lT5_lS6_lS7_lS5_lT8_i,comdat
.Lfunc_end162:
	.size	_ZL26rocblas_hemvn_kernel_upperILb0ELi64ELi4ELi33ELi32ELi16EiPKdPKS1_PdEviT6_lT7_lT5_lS6_lS7_lS5_lT8_i, .Lfunc_end162-_ZL26rocblas_hemvn_kernel_upperILb0ELi64ELi4ELi33ELi32ELi16EiPKdPKS1_PdEviT6_lT7_lT5_lS6_lS7_lS5_lT8_i
                                        ; -- End function
	.set _ZL26rocblas_hemvn_kernel_upperILb0ELi64ELi4ELi33ELi32ELi16EiPKdPKS1_PdEviT6_lT7_lT5_lS6_lS7_lS5_lT8_i.num_vgpr, 182
	.set _ZL26rocblas_hemvn_kernel_upperILb0ELi64ELi4ELi33ELi32ELi16EiPKdPKS1_PdEviT6_lT7_lT5_lS6_lS7_lS5_lT8_i.num_agpr, 0
	.set _ZL26rocblas_hemvn_kernel_upperILb0ELi64ELi4ELi33ELi32ELi16EiPKdPKS1_PdEviT6_lT7_lT5_lS6_lS7_lS5_lT8_i.numbered_sgpr, 45
	.set _ZL26rocblas_hemvn_kernel_upperILb0ELi64ELi4ELi33ELi32ELi16EiPKdPKS1_PdEviT6_lT7_lT5_lS6_lS7_lS5_lT8_i.num_named_barrier, 0
	.set _ZL26rocblas_hemvn_kernel_upperILb0ELi64ELi4ELi33ELi32ELi16EiPKdPKS1_PdEviT6_lT7_lT5_lS6_lS7_lS5_lT8_i.private_seg_size, 0
	.set _ZL26rocblas_hemvn_kernel_upperILb0ELi64ELi4ELi33ELi32ELi16EiPKdPKS1_PdEviT6_lT7_lT5_lS6_lS7_lS5_lT8_i.uses_vcc, 1
	.set _ZL26rocblas_hemvn_kernel_upperILb0ELi64ELi4ELi33ELi32ELi16EiPKdPKS1_PdEviT6_lT7_lT5_lS6_lS7_lS5_lT8_i.uses_flat_scratch, 1
	.set _ZL26rocblas_hemvn_kernel_upperILb0ELi64ELi4ELi33ELi32ELi16EiPKdPKS1_PdEviT6_lT7_lT5_lS6_lS7_lS5_lT8_i.has_dyn_sized_stack, 0
	.set _ZL26rocblas_hemvn_kernel_upperILb0ELi64ELi4ELi33ELi32ELi16EiPKdPKS1_PdEviT6_lT7_lT5_lS6_lS7_lS5_lT8_i.has_recursion, 0
	.set _ZL26rocblas_hemvn_kernel_upperILb0ELi64ELi4ELi33ELi32ELi16EiPKdPKS1_PdEviT6_lT7_lT5_lS6_lS7_lS5_lT8_i.has_indirect_call, 0
	.section	.AMDGPU.csdata,"",@progbits
; Kernel info:
; codeLenInByte = 8472
; TotalNumSgprs: 47
; NumVgprs: 182
; ScratchSize: 0
; MemoryBound: 0
; FloatMode: 240
; IeeeMode: 1
; LDSByteSize: 9600 bytes/workgroup (compile time only)
; SGPRBlocks: 0
; VGPRBlocks: 22
; NumSGPRsForWavesPerEU: 47
; NumVGPRsForWavesPerEU: 182
; Occupancy: 5
; WaveLimiterHint : 1
; COMPUTE_PGM_RSRC2:SCRATCH_EN: 0
; COMPUTE_PGM_RSRC2:USER_SGPR: 6
; COMPUTE_PGM_RSRC2:TRAP_HANDLER: 0
; COMPUTE_PGM_RSRC2:TGID_X_EN: 1
; COMPUTE_PGM_RSRC2:TGID_Y_EN: 0
; COMPUTE_PGM_RSRC2:TGID_Z_EN: 1
; COMPUTE_PGM_RSRC2:TIDIG_COMP_CNT: 1
	.section	.text._ZL36rocblas_hemvn_kernel_upper_block_sumILi64EiPKdPKPddEviT1_lS5_lT2_lT0_lPT3_i,"axG",@progbits,_ZL36rocblas_hemvn_kernel_upper_block_sumILi64EiPKdPKPddEviT1_lS5_lT2_lT0_lPT3_i,comdat
	.globl	_ZL36rocblas_hemvn_kernel_upper_block_sumILi64EiPKdPKPddEviT1_lS5_lT2_lT0_lPT3_i ; -- Begin function _ZL36rocblas_hemvn_kernel_upper_block_sumILi64EiPKdPKPddEviT1_lS5_lT2_lT0_lPT3_i
	.p2align	8
	.type	_ZL36rocblas_hemvn_kernel_upper_block_sumILi64EiPKdPKPddEviT1_lS5_lT2_lT0_lPT3_i,@function
_ZL36rocblas_hemvn_kernel_upper_block_sumILi64EiPKdPKPddEviT1_lS5_lT2_lT0_lPT3_i: ; @_ZL36rocblas_hemvn_kernel_upper_block_sumILi64EiPKdPKPddEviT1_lS5_lT2_lT0_lPT3_i
; %bb.0:
	s_load_dwordx8 s[8:15], s[4:5], 0x8
	s_mov_b32 s2, s7
	s_waitcnt lgkmcnt(0)
	s_mul_i32 s1, s11, s7
	s_mul_hi_u32 s3, s10, s7
	s_mul_i32 s0, s10, s7
	s_add_i32 s1, s3, s1
	s_mul_i32 s3, s15, s7
	s_lshl_b64 s[0:1], s[0:1], 3
	s_mul_hi_u32 s7, s14, s7
	s_add_u32 s0, s8, s0
	s_addc_u32 s1, s9, s1
	s_add_i32 s9, s7, s3
	s_mul_i32 s8, s14, s2
	s_lshl_b64 s[8:9], s[8:9], 3
	s_add_u32 s10, s12, s8
	s_addc_u32 s11, s13, s9
	s_load_dwordx2 s[8:9], s[0:1], 0x0
	s_load_dwordx2 s[10:11], s[10:11], 0x0
	s_waitcnt lgkmcnt(0)
	v_cmp_eq_f64_e64 s0, s[8:9], 0
	v_cmp_eq_f64_e64 s1, s[10:11], 1.0
	s_and_b32 s0, s0, s1
	s_and_b32 vcc_lo, exec_lo, s0
	s_cbranch_vccnz .LBB163_19
; %bb.1:
	s_load_dwordx4 s[16:19], s[4:5], 0x28
	s_mov_b32 s3, 0
	s_clause 0x1
	s_load_dword s15, s[4:5], 0x38
	s_load_dword s12, s[4:5], 0x0
	s_lshl_b64 s[0:1], s[2:3], 3
	v_cmp_neq_f64_e64 s13, s[8:9], 0
	v_lshl_or_b32 v0, s6, 6, v0
	s_waitcnt lgkmcnt(0)
	s_add_u32 s0, s16, s0
	s_addc_u32 s1, s17, s1
	s_lshl_b64 s[16:17], s[18:19], 3
	s_load_dwordx2 s[0:1], s[0:1], 0x0
	s_waitcnt lgkmcnt(0)
	s_add_u32 s7, s0, s16
	v_cmp_gt_i32_e64 s0, s12, v0
	s_addc_u32 s14, s1, s17
	s_and_b32 vcc_lo, exec_lo, s13
	s_cbranch_vccnz .LBB163_6
; %bb.2:
	s_mov_b32 s1, 0
                                        ; implicit-def: $vgpr3_vgpr4
                                        ; implicit-def: $vgpr1_vgpr2
	s_and_saveexec_b32 s13, s0
	s_cbranch_execz .LBB163_7
; %bb.3:
	v_cmp_eq_f64_e64 s0, s[10:11], 0
	v_mul_lo_u32 v1, s15, v0
	v_mov_b32_e32 v3, 0
	v_mov_b32_e32 v4, 0
	v_ashrrev_i32_e32 v2, 31, v1
	s_and_b32 vcc_lo, exec_lo, s0
	s_cbranch_vccnz .LBB163_5
; %bb.4:
	v_lshlrev_b64 v[3:4], 3, v[1:2]
	v_add_co_u32 v3, vcc_lo, s7, v3
	v_add_co_ci_u32_e64 v4, null, s14, v4, vcc_lo
	flat_load_dwordx2 v[3:4], v[3:4]
	s_waitcnt vmcnt(0) lgkmcnt(0)
	v_mul_f64 v[3:4], s[10:11], v[3:4]
.LBB163_5:
	s_mov_b32 s3, exec_lo
	s_or_b32 exec_lo, exec_lo, s13
	s_and_b32 vcc_lo, exec_lo, s1
	s_cbranch_vccnz .LBB163_8
	s_branch .LBB163_17
.LBB163_6:
                                        ; implicit-def: $vgpr3_vgpr4
                                        ; implicit-def: $vgpr1_vgpr2
	s_cbranch_execnz .LBB163_8
	s_branch .LBB163_17
.LBB163_7:
	s_or_b32 exec_lo, exec_lo, s13
	s_and_b32 vcc_lo, exec_lo, s1
	s_cbranch_vccz .LBB163_17
.LBB163_8:
	s_mov_b32 s16, exec_lo
                                        ; implicit-def: $vgpr3_vgpr4
                                        ; implicit-def: $vgpr1_vgpr2
	v_cmpx_gt_i32_e64 s12, v0
	s_cbranch_execz .LBB163_16
; %bb.9:
	v_mov_b32_e32 v5, 0
	v_mov_b32_e32 v6, 0
	s_cmp_lt_i32 s6, 0
	s_cbranch_scc1 .LBB163_12
; %bb.10:
	s_clause 0x1
	s_load_dword s17, s[4:5], 0x58
	s_load_dwordx2 s[0:1], s[4:5], 0x48
	s_ashr_i32 s13, s12, 31
	s_mul_hi_u32 s4, s12, s2
	s_mul_i32 s5, s13, s2
	v_mov_b32_e32 v1, 0
	s_mul_i32 s2, s12, s2
	s_add_i32 s4, s4, s5
	v_mov_b32_e32 v5, 0
	v_mov_b32_e32 v6, 0
	v_lshlrev_b64 v[1:2], 3, v[0:1]
	s_waitcnt lgkmcnt(0)
	s_mul_i32 s5, s4, s17
	s_mul_hi_u32 s18, s2, s17
	s_mul_i32 s4, s2, s17
	s_add_i32 s5, s18, s5
	s_lshl_b64 s[4:5], s[4:5], 3
	s_add_u32 s0, s0, s4
	s_addc_u32 s1, s1, s5
	v_add_co_u32 v1, vcc_lo, s0, v1
	v_add_co_ci_u32_e64 v2, null, s1, v2, vcc_lo
	s_add_i32 s2, s6, 1
	s_lshl_b64 s[0:1], s[12:13], 3
.LBB163_11:                             ; =>This Inner Loop Header: Depth=1
	global_load_dwordx2 v[3:4], v[1:2], off
	v_add_co_u32 v1, vcc_lo, v1, s0
	v_add_co_ci_u32_e64 v2, null, s1, v2, vcc_lo
	s_add_i32 s2, s2, -1
	s_cmp_eq_u32 s2, 0
	s_waitcnt vmcnt(0)
	v_add_f64 v[5:6], v[5:6], v[3:4]
	s_cbranch_scc0 .LBB163_11
.LBB163_12:
	v_cmp_eq_f64_e64 s0, s[10:11], 0
	v_mul_lo_u32 v1, s15, v0
	v_ashrrev_i32_e32 v2, 31, v1
	s_and_b32 vcc_lo, exec_lo, s0
	s_cbranch_vccz .LBB163_20
; %bb.13:
	v_mul_f64 v[3:4], s[8:9], v[5:6]
	s_cbranch_execnz .LBB163_15
.LBB163_14:
	v_lshlrev_b64 v[3:4], 3, v[1:2]
	v_add_co_u32 v3, vcc_lo, s7, v3
	v_add_co_ci_u32_e64 v4, null, s14, v4, vcc_lo
	flat_load_dwordx2 v[3:4], v[3:4]
	s_waitcnt vmcnt(0) lgkmcnt(0)
	v_mul_f64 v[3:4], s[10:11], v[3:4]
	v_fma_f64 v[3:4], s[8:9], v[5:6], v[3:4]
.LBB163_15:
	s_or_b32 s3, s3, exec_lo
.LBB163_16:
	s_or_b32 exec_lo, exec_lo, s16
.LBB163_17:
	s_and_saveexec_b32 s0, s3
	s_cbranch_execz .LBB163_19
; %bb.18:
	v_lshlrev_b64 v[0:1], 3, v[1:2]
	v_add_co_u32 v0, vcc_lo, s7, v0
	v_add_co_ci_u32_e64 v1, null, s14, v1, vcc_lo
	flat_store_dwordx2 v[0:1], v[3:4]
.LBB163_19:
	s_endpgm
.LBB163_20:
                                        ; implicit-def: $vgpr3_vgpr4
	s_branch .LBB163_14
	.section	.rodata,"a",@progbits
	.p2align	6, 0x0
	.amdhsa_kernel _ZL36rocblas_hemvn_kernel_upper_block_sumILi64EiPKdPKPddEviT1_lS5_lT2_lT0_lPT3_i
		.amdhsa_group_segment_fixed_size 0
		.amdhsa_private_segment_fixed_size 0
		.amdhsa_kernarg_size 344
		.amdhsa_user_sgpr_count 6
		.amdhsa_user_sgpr_private_segment_buffer 1
		.amdhsa_user_sgpr_dispatch_ptr 0
		.amdhsa_user_sgpr_queue_ptr 0
		.amdhsa_user_sgpr_kernarg_segment_ptr 1
		.amdhsa_user_sgpr_dispatch_id 0
		.amdhsa_user_sgpr_flat_scratch_init 0
		.amdhsa_user_sgpr_private_segment_size 0
		.amdhsa_wavefront_size32 1
		.amdhsa_uses_dynamic_stack 0
		.amdhsa_system_sgpr_private_segment_wavefront_offset 0
		.amdhsa_system_sgpr_workgroup_id_x 1
		.amdhsa_system_sgpr_workgroup_id_y 0
		.amdhsa_system_sgpr_workgroup_id_z 1
		.amdhsa_system_sgpr_workgroup_info 0
		.amdhsa_system_vgpr_workitem_id 0
		.amdhsa_next_free_vgpr 7
		.amdhsa_next_free_sgpr 20
		.amdhsa_reserve_vcc 1
		.amdhsa_reserve_flat_scratch 0
		.amdhsa_float_round_mode_32 0
		.amdhsa_float_round_mode_16_64 0
		.amdhsa_float_denorm_mode_32 3
		.amdhsa_float_denorm_mode_16_64 3
		.amdhsa_dx10_clamp 1
		.amdhsa_ieee_mode 1
		.amdhsa_fp16_overflow 0
		.amdhsa_workgroup_processor_mode 1
		.amdhsa_memory_ordered 1
		.amdhsa_forward_progress 1
		.amdhsa_shared_vgpr_count 0
		.amdhsa_exception_fp_ieee_invalid_op 0
		.amdhsa_exception_fp_denorm_src 0
		.amdhsa_exception_fp_ieee_div_zero 0
		.amdhsa_exception_fp_ieee_overflow 0
		.amdhsa_exception_fp_ieee_underflow 0
		.amdhsa_exception_fp_ieee_inexact 0
		.amdhsa_exception_int_div_zero 0
	.end_amdhsa_kernel
	.section	.text._ZL36rocblas_hemvn_kernel_upper_block_sumILi64EiPKdPKPddEviT1_lS5_lT2_lT0_lPT3_i,"axG",@progbits,_ZL36rocblas_hemvn_kernel_upper_block_sumILi64EiPKdPKPddEviT1_lS5_lT2_lT0_lPT3_i,comdat
.Lfunc_end163:
	.size	_ZL36rocblas_hemvn_kernel_upper_block_sumILi64EiPKdPKPddEviT1_lS5_lT2_lT0_lPT3_i, .Lfunc_end163-_ZL36rocblas_hemvn_kernel_upper_block_sumILi64EiPKdPKPddEviT1_lS5_lT2_lT0_lPT3_i
                                        ; -- End function
	.set _ZL36rocblas_hemvn_kernel_upper_block_sumILi64EiPKdPKPddEviT1_lS5_lT2_lT0_lPT3_i.num_vgpr, 7
	.set _ZL36rocblas_hemvn_kernel_upper_block_sumILi64EiPKdPKPddEviT1_lS5_lT2_lT0_lPT3_i.num_agpr, 0
	.set _ZL36rocblas_hemvn_kernel_upper_block_sumILi64EiPKdPKPddEviT1_lS5_lT2_lT0_lPT3_i.numbered_sgpr, 20
	.set _ZL36rocblas_hemvn_kernel_upper_block_sumILi64EiPKdPKPddEviT1_lS5_lT2_lT0_lPT3_i.num_named_barrier, 0
	.set _ZL36rocblas_hemvn_kernel_upper_block_sumILi64EiPKdPKPddEviT1_lS5_lT2_lT0_lPT3_i.private_seg_size, 0
	.set _ZL36rocblas_hemvn_kernel_upper_block_sumILi64EiPKdPKPddEviT1_lS5_lT2_lT0_lPT3_i.uses_vcc, 1
	.set _ZL36rocblas_hemvn_kernel_upper_block_sumILi64EiPKdPKPddEviT1_lS5_lT2_lT0_lPT3_i.uses_flat_scratch, 0
	.set _ZL36rocblas_hemvn_kernel_upper_block_sumILi64EiPKdPKPddEviT1_lS5_lT2_lT0_lPT3_i.has_dyn_sized_stack, 0
	.set _ZL36rocblas_hemvn_kernel_upper_block_sumILi64EiPKdPKPddEviT1_lS5_lT2_lT0_lPT3_i.has_recursion, 0
	.set _ZL36rocblas_hemvn_kernel_upper_block_sumILi64EiPKdPKPddEviT1_lS5_lT2_lT0_lPT3_i.has_indirect_call, 0
	.section	.AMDGPU.csdata,"",@progbits
; Kernel info:
; codeLenInByte = 700
; TotalNumSgprs: 22
; NumVgprs: 7
; ScratchSize: 0
; MemoryBound: 0
; FloatMode: 240
; IeeeMode: 1
; LDSByteSize: 0 bytes/workgroup (compile time only)
; SGPRBlocks: 0
; VGPRBlocks: 0
; NumSGPRsForWavesPerEU: 22
; NumVGPRsForWavesPerEU: 7
; Occupancy: 16
; WaveLimiterHint : 1
; COMPUTE_PGM_RSRC2:SCRATCH_EN: 0
; COMPUTE_PGM_RSRC2:USER_SGPR: 6
; COMPUTE_PGM_RSRC2:TRAP_HANDLER: 0
; COMPUTE_PGM_RSRC2:TGID_X_EN: 1
; COMPUTE_PGM_RSRC2:TGID_Y_EN: 0
; COMPUTE_PGM_RSRC2:TGID_Z_EN: 1
; COMPUTE_PGM_RSRC2:TIDIG_COMP_CNT: 0
	.section	.text._ZL26rocblas_hemvn_kernel_upperILb0ELi64ELi4ELi33ELi32ELi16EldPKPKdPdEviT6_lT7_lT5_lS6_lS7_lS5_lT8_i,"axG",@progbits,_ZL26rocblas_hemvn_kernel_upperILb0ELi64ELi4ELi33ELi32ELi16EldPKPKdPdEviT6_lT7_lT5_lS6_lS7_lS5_lT8_i,comdat
	.globl	_ZL26rocblas_hemvn_kernel_upperILb0ELi64ELi4ELi33ELi32ELi16EldPKPKdPdEviT6_lT7_lT5_lS6_lS7_lS5_lT8_i ; -- Begin function _ZL26rocblas_hemvn_kernel_upperILb0ELi64ELi4ELi33ELi32ELi16EldPKPKdPdEviT6_lT7_lT5_lS6_lS7_lS5_lT8_i
	.p2align	8
	.type	_ZL26rocblas_hemvn_kernel_upperILb0ELi64ELi4ELi33ELi32ELi16EldPKPKdPdEviT6_lT7_lT5_lS6_lS7_lS5_lT8_i,@function
_ZL26rocblas_hemvn_kernel_upperILb0ELi64ELi4ELi33ELi32ELi16EldPKPKdPdEviT6_lT7_lT5_lS6_lS7_lS5_lT8_i: ; @_ZL26rocblas_hemvn_kernel_upperILb0ELi64ELi4ELi33ELi32ELi16EldPKPKdPdEviT6_lT7_lT5_lS6_lS7_lS5_lT8_i
; %bb.0:
	s_load_dwordx2 s[0:1], s[4:5], 0x84
	s_add_u32 s8, s4, 0x78
	s_addc_u32 s9, s5, 0
	s_waitcnt lgkmcnt(0)
	s_lshr_b32 s2, s0, 16
	s_and_b32 s0, s0, 0xffff
	s_and_b32 s1, s1, 0xffff
	s_mul_i32 s0, s2, s0
	s_mul_i32 s0, s0, s1
	s_cmpk_lg_i32 s0, 0x100
	s_cbranch_scc1 .LBB164_4
; %bb.1:
	s_clause 0x1
	s_load_dwordx2 s[0:1], s[4:5], 0x8
	s_load_dwordx2 s[2:3], s[4:5], 0x58
	s_waitcnt lgkmcnt(0)
	v_cmp_eq_f64_e64 s0, s[0:1], 0
	v_cmp_eq_f64_e64 s1, s[2:3], 1.0
	s_and_b32 s1, s0, s1
	s_and_b32 vcc_lo, exec_lo, s1
	s_cbranch_vccnz .LBB164_4
; %bb.2:
	s_mov_b32 s18, s7
	s_and_b32 vcc_lo, exec_lo, s0
	s_cbranch_vccz .LBB164_5
; %bb.3:
	s_cbranch_execz .LBB164_6
.LBB164_4:
	s_endpgm
.LBB164_5:
.LBB164_6:
	s_clause 0x1
	s_load_dwordx4 s[0:3], s[4:5], 0x18
	s_load_dwordx4 s[12:15], s[4:5], 0x38
	s_mov_b32 s19, 0
	s_lshl_b64 s[10:11], s[18:19], 3
	s_waitcnt lgkmcnt(0)
	s_add_u32 s0, s0, s10
	s_addc_u32 s1, s1, s11
	s_add_u32 s10, s12, s10
	s_addc_u32 s11, s13, s11
	s_lshl_b64 s[14:15], s[14:15], 3
	s_load_dwordx2 s[12:13], s[10:11], 0x0
	s_clause 0x1
	s_load_dwordx2 s[10:11], s[4:5], 0x48
	s_load_dword s24, s[4:5], 0x0
	s_load_dword s19, s[8:9], 0x0
	s_load_dwordx2 s[16:17], s[4:5], 0x28
	s_load_dwordx2 s[8:9], s[0:1], 0x0
	s_waitcnt lgkmcnt(0)
	s_add_u32 s7, s12, s14
	s_addc_u32 s12, s13, s15
	s_lshl_b32 s14, s6, 6
	s_ashr_i32 s25, s24, 31
	v_add_nc_u32_e32 v58, s14, v0
	s_lshr_b32 s0, s25, 26
	s_add_i32 s1, s19, -1
	s_add_i32 s0, s24, s0
	v_ashrrev_i32_e32 v59, 31, v58
	v_mul_lo_u32 v4, s11, v58
	v_mad_u64_u32 v[2:3], null, s10, v58, 0
	s_andn2_b32 s0, s0, 63
	v_mul_lo_u32 v5, s10, v59
	s_sub_i32 s22, s24, s0
	v_cmp_eq_u32_e64 s0, 0, v1
	s_cmp_eq_u32 s6, s1
	v_add3_u32 v3, v3, v5, v4
	v_lshlrev_b64 v[2:3], 3, v[2:3]
	v_add_co_u32 v16, vcc_lo, s7, v2
	v_add_co_ci_u32_e64 v17, null, s12, v3, vcc_lo
	s_cselect_b32 s12, s22, 0
	s_and_saveexec_b32 s1, s0
	s_cbranch_execz .LBB164_10
; %bb.7:
	v_cmp_gt_i32_e32 vcc_lo, s12, v0
	s_cmp_eq_u32 s12, 0
	v_mov_b32_e32 v2, 0
	v_mov_b32_e32 v3, 0
	s_cselect_b32 s7, -1, 0
	s_or_b32 s13, s7, vcc_lo
	s_and_saveexec_b32 s7, s13
	s_cbranch_execz .LBB164_9
; %bb.8:
	flat_load_dwordx2 v[2:3], v[16:17]
.LBB164_9:
	s_or_b32 exec_lo, exec_lo, s7
	v_lshlrev_b32_e32 v4, 3, v0
	s_waitcnt vmcnt(0) lgkmcnt(0)
	ds_write_b64 v4, v[2:3] offset:9088
.LBB164_10:
	s_or_b32 exec_lo, exec_lo, s1
	v_lshl_add_u32 v24, v1, 6, v0
	v_and_b32_e32 v2, 31, v0
	v_mov_b32_e32 v3, 0
	s_lshl_b64 s[2:3], s[2:3], 3
	s_mul_hi_u32 s1, s16, s14
	v_lshrrev_b32_e32 v13, 5, v24
	s_add_u32 s13, s8, s2
	s_addc_u32 s3, s9, s3
	s_ashr_i32 s15, s14, 31
	s_mul_i32 s7, s17, s14
	v_mad_u64_u32 v[3:4], null, s16, v13, v[2:3]
	s_lshl_b64 s[8:9], s[14:15], 3
	s_mul_i32 s20, s16, s15
	s_add_u32 s8, s13, s8
	s_addc_u32 s9, s3, s9
	s_add_i32 s1, s1, s20
	s_mul_i32 s2, s16, s14
	v_mad_u64_u32 v[4:5], null, s17, v13, v[4:5]
	s_add_i32 s3, s1, s7
	v_cmp_gt_i32_e64 s1, s12, v2
	s_lshl_b64 s[2:3], s[2:3], 3
	s_cmp_eq_u32 s12, 0
	v_lshlrev_b32_e32 v20, 3, v2
	s_cselect_b32 s23, -1, 0
	v_lshlrev_b64 v[14:15], 3, v[3:4]
	s_cmp_lg_u32 s12, 0
	s_cselect_b32 s26, -1, 0
	v_add_co_u32 v3, vcc_lo, s8, v14
	v_add_co_ci_u32_e64 v4, null, s9, v15, vcc_lo
	s_and_b32 vcc_lo, exec_lo, s26
	v_add_co_u32 v5, s2, v3, s2
	v_add_co_ci_u32_e64 v6, null, s3, v4, s2
	s_cbranch_vccz .LBB164_20
; %bb.11:
	v_sub_co_u32 v3, vcc_lo, v5, v20
	s_ashr_i32 s13, s12, 31
	v_subrev_co_ci_u32_e64 v4, null, 0, v6, vcc_lo
	s_lshl_b64 s[2:3], s[12:13], 3
	v_mov_b32_e32 v9, 0
	v_add_co_u32 v3, vcc_lo, v3, s2
	v_add_co_ci_u32_e64 v4, null, s3, v4, vcc_lo
	v_mov_b32_e32 v7, 0
	v_add_co_u32 v3, vcc_lo, v3, -8
	v_add_co_ci_u32_e64 v4, null, -1, v4, vcc_lo
	v_mov_b32_e32 v10, 0
	v_cndmask_b32_e64 v3, v3, v5, s1
	v_mov_b32_e32 v8, 0
	v_cndmask_b32_e64 v4, v4, v6, s1
	s_mov_b32 s7, exec_lo
	v_cmpx_gt_i32_e64 s12, v13
	s_cbranch_execz .LBB164_13
; %bb.12:
	flat_load_dwordx2 v[7:8], v[3:4]
.LBB164_13:
	s_or_b32 exec_lo, exec_lo, s7
	v_lshlrev_b32_e32 v11, 3, v2
	v_add_nc_u32_e32 v18, 8, v13
	v_mul_u32_u24_e32 v12, 0x108, v13
	s_mov_b32 s7, exec_lo
	v_mad_u32_u24 v19, 0x108, v13, v11
	s_waitcnt vmcnt(0) lgkmcnt(0)
	ds_write_b64 v19, v[7:8]
	v_cmpx_gt_i32_e64 s12, v18
	s_cbranch_execz .LBB164_15
; %bb.14:
	s_lshl_b64 s[8:9], s[16:17], 6
	v_add_co_u32 v7, vcc_lo, v3, s8
	v_add_co_ci_u32_e64 v8, null, s9, v4, vcc_lo
	flat_load_dwordx2 v[9:10], v[7:8]
.LBB164_15:
	s_or_b32 exec_lo, exec_lo, s7
	v_add_nc_u32_e32 v18, v12, v11
	v_mov_b32_e32 v7, 0
	v_mov_b32_e32 v11, 0
	v_add_nc_u32_e32 v19, 16, v13
	v_mov_b32_e32 v8, 0
	v_mov_b32_e32 v12, 0
	s_mov_b32 s7, exec_lo
	s_waitcnt vmcnt(0) lgkmcnt(0)
	ds_write_b64 v18, v[9:10] offset:2112
	v_cmpx_gt_i32_e64 s12, v19
	s_cbranch_execz .LBB164_17
; %bb.16:
	s_lshl_b64 s[8:9], s[16:17], 7
	v_add_co_u32 v9, vcc_lo, v3, s8
	v_add_co_ci_u32_e64 v10, null, s9, v4, vcc_lo
	flat_load_dwordx2 v[11:12], v[9:10]
.LBB164_17:
	s_or_b32 exec_lo, exec_lo, s7
	v_add_nc_u32_e32 v9, 24, v13
	s_mov_b32 s7, exec_lo
	s_waitcnt vmcnt(0) lgkmcnt(0)
	ds_write_b64 v18, v[11:12] offset:4224
	v_cmpx_gt_i32_e64 s12, v9
	s_cbranch_execz .LBB164_19
; %bb.18:
	v_mad_u64_u32 v[7:8], null, 0xc0, s16, v[3:4]
	v_mad_u64_u32 v[8:9], null, 0xc0, s17, v[8:9]
	flat_load_dwordx2 v[7:8], v[7:8]
.LBB164_19:
	s_or_b32 exec_lo, exec_lo, s7
	v_add_co_u32 v3, vcc_lo, v3, v20
	v_add_co_ci_u32_e64 v4, null, 0, v4, vcc_lo
	s_waitcnt vmcnt(0) lgkmcnt(0)
	ds_write_b64 v18, v[7:8] offset:6336
	v_sub_co_u32 v3, vcc_lo, v3, s2
	v_subrev_co_ci_u32_e64 v4, null, s3, v4, vcc_lo
	v_add_co_u32 v3, vcc_lo, v3, 8
	v_add_co_ci_u32_e64 v4, null, 0, v4, vcc_lo
	v_cndmask_b32_e64 v3, v3, v5, s1
	v_cndmask_b32_e64 v4, v4, v6, s1
	v_mul_u32_u24_e32 v22, 0x108, v13
	s_branch .LBB164_22
.LBB164_20:
                                        ; implicit-def: $vgpr3_vgpr4
	v_mul_u32_u24_e32 v22, 0x108, v13
	s_cbranch_execz .LBB164_22
; %bb.21:
	s_lshl_b64 s[2:3], s[16:17], 6
	v_lshl_add_u32 v21, v2, 3, v22
	v_add_co_u32 v3, vcc_lo, v5, s2
	v_add_co_ci_u32_e64 v4, null, s3, v6, vcc_lo
	v_add_co_u32 v7, vcc_lo, v3, s2
	v_add_co_ci_u32_e64 v8, null, s3, v4, vcc_lo
	;; [unrolled: 2-line block ×3, first 2 shown]
	s_clause 0x3
	flat_load_dwordx2 v[11:12], v[5:6]
	flat_load_dwordx2 v[18:19], v[3:4]
	;; [unrolled: 1-line block ×4, first 2 shown]
	v_mov_b32_e32 v3, v5
	v_mov_b32_e32 v4, v6
	s_waitcnt vmcnt(3) lgkmcnt(3)
	ds_write_b64 v21, v[11:12]
	s_waitcnt vmcnt(2) lgkmcnt(3)
	ds_write_b64 v21, v[18:19] offset:2112
	s_waitcnt vmcnt(1) lgkmcnt(3)
	ds_write_b64 v21, v[7:8] offset:4224
	;; [unrolled: 2-line block ×3, first 2 shown]
.LBB164_22:
	v_lshlrev_b32_e32 v23, 3, v2
	v_lshlrev_b32_e32 v27, 2, v13
	s_waitcnt lgkmcnt(0)
	s_barrier
	buffer_gl0_inv
	v_lshl_or_b32 v5, v2, 8, v23
	v_cmp_gt_u32_e64 s2, v27, v2
	v_mad_u32_u24 v6, 0x420, v13, v23
	v_lshl_add_u32 v7, v27, 3, v5
	s_and_saveexec_b32 s1, s2
	s_cbranch_execz .LBB164_24
; %bb.23:
	ds_read_b64 v[8:9], v6
	s_waitcnt lgkmcnt(0)
	ds_write_b64 v7, v[8:9]
.LBB164_24:
	s_or_b32 exec_lo, exec_lo, s1
	v_or_b32_e32 v28, 1, v27
	v_cmp_ge_u32_e64 s3, v27, v2
	v_mad_u32_u24 v5, 0x108, v28, v23
	s_and_saveexec_b32 s1, s3
	s_cbranch_execz .LBB164_26
; %bb.25:
	ds_read_b64 v[8:9], v5
	s_waitcnt lgkmcnt(0)
	ds_write_b64 v7, v[8:9] offset:8
.LBB164_26:
	s_or_b32 exec_lo, exec_lo, s1
	v_or_b32_e32 v8, 2, v27
	v_cmp_gt_u32_e64 s7, v8, v2
	s_and_saveexec_b32 s1, s7
	s_cbranch_execz .LBB164_28
; %bb.27:
	v_mad_u32_u24 v8, 0x108, v8, v23
	ds_read_b64 v[8:9], v8
	s_waitcnt lgkmcnt(0)
	ds_write_b64 v7, v[8:9] offset:16
.LBB164_28:
	s_or_b32 exec_lo, exec_lo, s1
	v_or_b32_e32 v9, 3, v27
	s_mov_b32 s1, exec_lo
	v_cmp_gt_u32_e64 s8, v9, v2
	v_mul_u32_u24_e32 v8, 0x108, v9
	v_cmpx_le_u32_e64 v9, v2
	s_xor_b32 s1, exec_lo, s1
; %bb.29:
	v_mul_u32_u24_e32 v8, 0x108, v9
                                        ; implicit-def: $vgpr9
                                        ; implicit-def: $vgpr7
; %bb.30:
	s_andn2_saveexec_b32 s1, s1
	s_cbranch_execz .LBB164_32
; %bb.31:
	v_mad_u32_u24 v9, 0x108, v9, v23
	ds_read_b64 v[9:10], v9
	s_waitcnt lgkmcnt(0)
	ds_write_b64 v7, v[9:10] offset:24
.LBB164_32:
	s_or_b32 exec_lo, exec_lo, s1
	v_lshlrev_b32_e32 v30, 3, v27
	s_waitcnt lgkmcnt(0)
	s_barrier
	buffer_gl0_inv
	ds_read_b64 v[6:7], v6
	ds_read_b128 v[9:12], v30 offset:9088
	v_add_nc_u32_e32 v21, v23, v8
	ds_read_b128 v[31:34], v30 offset:9104
	ds_read_b64 v[18:19], v21
	v_mov_b32_e32 v60, 0
	v_mov_b32_e32 v61, 0
	v_cmp_gt_u32_e64 s1, 32, v24
	s_waitcnt lgkmcnt(2)
	v_fma_f64 v[9:10], v[6:7], v[9:10], 0
	ds_read2_b64 v[5:8], v5 offset1:33
	s_waitcnt lgkmcnt(0)
	s_barrier
	buffer_gl0_inv
	v_fma_f64 v[5:6], v[5:6], v[11:12], v[9:10]
	v_fma_f64 v[5:6], v[7:8], v[31:32], v[5:6]
	v_mul_u32_u24_e32 v7, 33, v2
	v_lshlrev_b32_e32 v25, 3, v7
	v_lshl_add_u32 v26, v13, 3, v25
	v_fma_f64 v[5:6], v[18:19], v[33:34], v[5:6]
	ds_write_b64 v26, v[5:6]
	s_waitcnt lgkmcnt(0)
	s_barrier
	buffer_gl0_inv
	s_and_saveexec_b32 s9, s1
	s_cbranch_execz .LBB164_34
; %bb.33:
	ds_read2_b64 v[5:8], v25 offset1:1
	ds_read2_b64 v[9:12], v25 offset0:2 offset1:3
	s_waitcnt lgkmcnt(1)
	v_add_f64 v[5:6], v[5:6], v[7:8]
	s_waitcnt lgkmcnt(0)
	v_add_f64 v[5:6], v[5:6], v[9:10]
	v_add_f64 v[18:19], v[5:6], v[11:12]
	ds_read2_b64 v[5:8], v25 offset0:4 offset1:5
	ds_read2_b64 v[9:12], v25 offset0:6 offset1:7
	s_waitcnt lgkmcnt(1)
	v_add_f64 v[5:6], v[18:19], v[5:6]
	v_add_f64 v[5:6], v[5:6], v[7:8]
	s_waitcnt lgkmcnt(0)
	v_add_f64 v[5:6], v[5:6], v[9:10]
	v_add_f64 v[60:61], v[5:6], v[11:12]
.LBB164_34:
	s_or_b32 exec_lo, exec_lo, s9
	s_lshl_b64 s[20:21], s[16:17], 8
	v_add_co_u32 v5, vcc_lo, v3, s20
	v_add_co_ci_u32_e64 v6, null, s21, v4, vcc_lo
	s_barrier
	v_add_co_u32 v3, vcc_lo, 0x100, v5
	v_add_co_ci_u32_e64 v4, null, 0, v6, vcc_lo
	s_and_b32 vcc_lo, exec_lo, s26
	buffer_gl0_inv
	s_cbranch_vccz .LBB164_44
; %bb.35:
	v_sub_co_u32 v7, vcc_lo, v5, v20
	s_ashr_i32 s13, s12, 31
	v_subrev_co_ci_u32_e64 v8, null, 0, v6, vcc_lo
	s_lshl_b64 s[20:21], s[12:13], 3
	v_or_b32_e32 v9, 32, v2
	v_add_co_u32 v7, vcc_lo, v7, s20
	v_add_co_ci_u32_e64 v8, null, s21, v8, vcc_lo
	v_mov_b32_e32 v11, 0
	v_add_co_u32 v7, vcc_lo, v7, -8
	v_add_co_ci_u32_e64 v8, null, -1, v8, vcc_lo
	v_cmp_gt_i32_e32 vcc_lo, s12, v9
	v_mov_b32_e32 v9, 0
	v_mov_b32_e32 v12, 0
	;; [unrolled: 1-line block ×3, first 2 shown]
	s_sub_i32 s13, s12, 32
	v_cndmask_b32_e32 v8, v8, v4, vcc_lo
	v_cndmask_b32_e32 v7, v7, v3, vcc_lo
	s_mov_b32 s27, exec_lo
	v_cmpx_gt_i32_e64 s13, v13
	s_cbranch_execz .LBB164_37
; %bb.36:
	flat_load_dwordx2 v[9:10], v[7:8]
.LBB164_37:
	s_or_b32 exec_lo, exec_lo, s27
	v_add_nc_u32_e32 v18, 8, v13
	v_mad_u32_u24 v19, 0x108, v13, v23
	s_mov_b32 s27, exec_lo
	s_waitcnt vmcnt(0) lgkmcnt(0)
	ds_write_b64 v19, v[9:10]
	v_cmpx_gt_i32_e64 s13, v18
	s_cbranch_execz .LBB164_39
; %bb.38:
	s_lshl_b64 s[28:29], s[16:17], 6
	v_add_co_u32 v9, s9, v7, s28
	v_add_co_ci_u32_e64 v10, null, s29, v8, s9
	flat_load_dwordx2 v[11:12], v[9:10]
.LBB164_39:
	s_or_b32 exec_lo, exec_lo, s27
	v_mov_b32_e32 v9, 0
	v_mov_b32_e32 v18, 0
	v_add_nc_u32_e32 v31, 16, v13
	v_add_nc_u32_e32 v29, v22, v23
	v_mov_b32_e32 v10, 0
	v_mov_b32_e32 v19, 0
	s_mov_b32 s27, exec_lo
	s_waitcnt vmcnt(0) lgkmcnt(0)
	ds_write_b64 v29, v[11:12] offset:2112
	v_cmpx_gt_i32_e64 s13, v31
	s_cbranch_execz .LBB164_41
; %bb.40:
	s_lshl_b64 s[28:29], s[16:17], 7
	v_add_co_u32 v11, s9, v7, s28
	v_add_co_ci_u32_e64 v12, null, s29, v8, s9
	flat_load_dwordx2 v[18:19], v[11:12]
.LBB164_41:
	s_or_b32 exec_lo, exec_lo, s27
	v_add_nc_u32_e32 v11, 24, v13
	s_waitcnt vmcnt(0) lgkmcnt(0)
	ds_write_b64 v29, v[18:19] offset:4224
	v_cmp_gt_i32_e64 s9, s13, v11
	s_and_saveexec_b32 s13, s9
	s_cbranch_execz .LBB164_43
; %bb.42:
	v_mad_u64_u32 v[9:10], null, 0xc0, s16, v[7:8]
	v_mad_u64_u32 v[10:11], null, 0xc0, s17, v[10:11]
	flat_load_dwordx2 v[9:10], v[9:10]
.LBB164_43:
	s_or_b32 exec_lo, exec_lo, s13
	v_add_co_u32 v7, s9, v7, v20
	v_add_co_ci_u32_e64 v8, null, 0, v8, s9
	s_waitcnt vmcnt(0) lgkmcnt(0)
	ds_write_b64 v29, v[9:10] offset:6336
	v_sub_co_u32 v7, s9, v7, s20
	v_subrev_co_ci_u32_e64 v8, null, s21, v8, s9
	v_add_co_u32 v7, s9, 0x108, v7
	v_add_co_ci_u32_e64 v8, null, 0, v8, s9
	v_cndmask_b32_e32 v7, v7, v3, vcc_lo
	v_cndmask_b32_e32 v8, v8, v4, vcc_lo
	v_mul_u32_u24_e32 v9, 0x420, v13
	v_mad_u32_u24 v29, 0x108, v13, v23
	s_branch .LBB164_46
.LBB164_44:
                                        ; implicit-def: $vgpr7_vgpr8
	v_mul_u32_u24_e32 v9, 0x420, v13
	v_mad_u32_u24 v29, 0x108, v13, v23
	s_cbranch_execz .LBB164_46
; %bb.45:
	s_lshl_b64 s[20:21], s[16:17], 6
	v_add_co_u32 v7, vcc_lo, v5, s20
	v_add_co_ci_u32_e64 v8, null, s21, v6, vcc_lo
	v_add_co_u32 v10, vcc_lo, v7, s20
	v_add_co_ci_u32_e64 v11, null, s21, v8, vcc_lo
	;; [unrolled: 2-line block ×3, first 2 shown]
	s_clause 0x3
	flat_load_dwordx2 v[5:6], v[5:6] offset:256
	flat_load_dwordx2 v[31:32], v[7:8] offset:256
	flat_load_dwordx2 v[10:11], v[10:11] offset:256
	flat_load_dwordx2 v[18:19], v[18:19] offset:256
	v_mov_b32_e32 v8, v4
	v_mov_b32_e32 v7, v3
	s_waitcnt vmcnt(3) lgkmcnt(3)
	ds_write_b64 v29, v[5:6]
	s_waitcnt vmcnt(2) lgkmcnt(3)
	ds_write_b64 v29, v[31:32] offset:2112
	s_waitcnt vmcnt(1) lgkmcnt(3)
	ds_write_b64 v29, v[10:11] offset:4224
	;; [unrolled: 2-line block ×3, first 2 shown]
.LBB164_46:
	v_mul_u32_u24_e32 v4, 0x108, v28
	v_add_nc_u32_e32 v28, v23, v9
	v_lshl_add_u32 v3, v27, 3, v25
	s_waitcnt lgkmcnt(0)
	s_barrier
	buffer_gl0_inv
	s_and_saveexec_b32 s9, s2
	s_cbranch_execz .LBB164_50
; %bb.47:
	ds_read_b64 v[5:6], v28
	s_waitcnt lgkmcnt(0)
	ds_write_b64 v3, v[5:6]
	s_or_b32 exec_lo, exec_lo, s9
	v_add_nc_u32_e32 v27, v23, v4
	s_and_saveexec_b32 s2, s3
	s_cbranch_execnz .LBB164_51
.LBB164_48:
	s_or_b32 exec_lo, exec_lo, s2
	s_and_saveexec_b32 s2, s7
	s_cbranch_execz .LBB164_52
.LBB164_49:
	ds_read_b64 v[4:5], v27 offset:264
	s_waitcnt lgkmcnt(0)
	ds_write_b64 v3, v[4:5] offset:16
	s_or_b32 exec_lo, exec_lo, s2
	v_add_nc_u32_e32 v30, 0x2380, v30
	s_and_saveexec_b32 s2, s8
	s_cbranch_execnz .LBB164_53
	s_branch .LBB164_54
.LBB164_50:
	s_or_b32 exec_lo, exec_lo, s9
	v_add_nc_u32_e32 v27, v23, v4
	s_and_saveexec_b32 s2, s3
	s_cbranch_execz .LBB164_48
.LBB164_51:
	ds_read_b64 v[4:5], v27
	s_waitcnt lgkmcnt(0)
	ds_write_b64 v3, v[4:5] offset:8
	s_or_b32 exec_lo, exec_lo, s2
	s_and_saveexec_b32 s2, s7
	s_cbranch_execnz .LBB164_49
.LBB164_52:
	s_or_b32 exec_lo, exec_lo, s2
	v_add_nc_u32_e32 v30, 0x2380, v30
	s_and_saveexec_b32 s2, s8
	s_cbranch_execz .LBB164_54
.LBB164_53:
	ds_read_b64 v[4:5], v21
	s_waitcnt lgkmcnt(0)
	ds_write_b64 v3, v[4:5] offset:24
.LBB164_54:
	s_or_b32 exec_lo, exec_lo, s2
	s_waitcnt lgkmcnt(0)
	s_barrier
	buffer_gl0_inv
	ds_read_b64 v[18:19], v28
	ds_read_b128 v[3:6], v30 offset:256
	ds_read_b128 v[9:12], v30 offset:272
	ds_read_b64 v[35:36], v21
	ds_read2_b64 v[31:34], v27 offset1:33
	v_cmp_eq_u32_e64 s2, 1, v13
	s_waitcnt lgkmcnt(0)
	s_barrier
	buffer_gl0_inv
	v_fma_f64 v[3:4], v[18:19], v[3:4], 0
	v_fma_f64 v[3:4], v[31:32], v[5:6], v[3:4]
	v_fma_f64 v[3:4], v[33:34], v[9:10], v[3:4]
	v_fma_f64 v[3:4], v[35:36], v[11:12], v[3:4]
	ds_write_b64 v26, v[3:4]
	s_waitcnt lgkmcnt(0)
	s_barrier
	buffer_gl0_inv
	s_and_saveexec_b32 s3, s2
	s_cbranch_execz .LBB164_56
; %bb.55:
	ds_read2_b64 v[3:6], v25 offset1:1
	ds_read2_b64 v[9:12], v25 offset0:2 offset1:3
	s_waitcnt lgkmcnt(1)
	v_add_f64 v[3:4], v[3:4], v[5:6]
	s_waitcnt lgkmcnt(0)
	v_add_f64 v[3:4], v[3:4], v[9:10]
	v_add_f64 v[18:19], v[3:4], v[11:12]
	ds_read2_b64 v[3:6], v25 offset0:4 offset1:5
	ds_read2_b64 v[9:12], v25 offset0:6 offset1:7
	s_waitcnt lgkmcnt(1)
	v_add_f64 v[3:4], v[18:19], v[3:4]
	v_add_f64 v[3:4], v[3:4], v[5:6]
	s_waitcnt lgkmcnt(0)
	v_add_f64 v[3:4], v[3:4], v[9:10]
	v_add_f64 v[60:61], v[3:4], v[11:12]
.LBB164_56:
	s_or_b32 exec_lo, exec_lo, s3
	v_add_co_u32 v3, vcc_lo, 0xffffff00, v7
	v_add_co_ci_u32_e64 v4, null, -1, v8, vcc_lo
	s_and_b32 vcc_lo, exec_lo, s26
	s_barrier
	buffer_gl0_inv
	s_cbranch_vccz .LBB164_66
; %bb.57:
	v_sub_co_u32 v5, vcc_lo, v3, v20
	s_ashr_i32 s13, s12, 31
	v_subrev_co_ci_u32_e64 v6, null, 0, v4, vcc_lo
	s_lshl_b64 s[8:9], s[12:13], 3
	v_mov_b32_e32 v9, 0
	v_add_co_u32 v5, vcc_lo, v5, s8
	v_add_co_ci_u32_e64 v6, null, s9, v6, vcc_lo
	v_mov_b32_e32 v7, 0
	v_add_co_u32 v5, vcc_lo, v5, -8
	v_add_co_ci_u32_e64 v6, null, -1, v6, vcc_lo
	v_cmp_gt_i32_e32 vcc_lo, s12, v2
	v_mov_b32_e32 v10, 0
	v_mov_b32_e32 v8, 0
	s_sub_i32 s7, s12, 32
	s_mov_b32 s13, exec_lo
	v_cndmask_b32_e32 v6, v6, v4, vcc_lo
	v_cndmask_b32_e32 v5, v5, v3, vcc_lo
	v_cmpx_gt_i32_e64 s7, v13
	s_cbranch_execz .LBB164_59
; %bb.58:
	flat_load_dwordx2 v[7:8], v[5:6]
.LBB164_59:
	s_or_b32 exec_lo, exec_lo, s13
	v_add_nc_u32_e32 v31, 8, v13
	s_mov_b32 s13, exec_lo
	s_waitcnt vmcnt(0) lgkmcnt(0)
	ds_write_b64 v29, v[7:8]
	v_cmpx_gt_i32_e64 s7, v31
	s_cbranch_execz .LBB164_61
; %bb.60:
	s_lshl_b64 s[20:21], s[16:17], 6
	v_add_co_u32 v7, s3, v5, s20
	v_add_co_ci_u32_e64 v8, null, s21, v6, s3
	flat_load_dwordx2 v[9:10], v[7:8]
.LBB164_61:
	s_or_b32 exec_lo, exec_lo, s13
	v_mov_b32_e32 v7, 0
	v_mov_b32_e32 v11, 0
	v_add_nc_u32_e32 v2, 16, v13
	v_add_nc_u32_e32 v22, v22, v23
	v_mov_b32_e32 v8, 0
	v_mov_b32_e32 v12, 0
	s_mov_b32 s13, exec_lo
	s_waitcnt vmcnt(0) lgkmcnt(0)
	ds_write_b64 v22, v[9:10] offset:2112
	v_cmpx_gt_i32_e64 s7, v2
	s_cbranch_execz .LBB164_63
; %bb.62:
	s_lshl_b64 s[20:21], s[16:17], 7
	v_add_co_u32 v9, s3, v5, s20
	v_add_co_ci_u32_e64 v10, null, s21, v6, s3
	flat_load_dwordx2 v[11:12], v[9:10]
.LBB164_63:
	s_or_b32 exec_lo, exec_lo, s13
	v_add_nc_u32_e32 v9, 24, v13
	s_waitcnt vmcnt(0) lgkmcnt(0)
	ds_write_b64 v22, v[11:12] offset:4224
	v_cmp_gt_i32_e64 s3, s7, v9
	s_and_saveexec_b32 s7, s3
	s_cbranch_execz .LBB164_65
; %bb.64:
	v_mad_u64_u32 v[7:8], null, 0xc0, s16, v[5:6]
	v_mad_u64_u32 v[10:11], null, 0xc0, s17, v[8:9]
	v_mov_b32_e32 v8, v10
	flat_load_dwordx2 v[7:8], v[7:8]
.LBB164_65:
	s_or_b32 exec_lo, exec_lo, s7
	v_add_co_u32 v5, s3, v5, v20
	v_add_co_ci_u32_e64 v6, null, 0, v6, s3
	s_waitcnt vmcnt(0) lgkmcnt(0)
	ds_write_b64 v22, v[7:8] offset:6336
	v_sub_co_u32 v5, s3, v5, s8
	v_subrev_co_ci_u32_e64 v6, null, s9, v6, s3
	v_add_co_u32 v5, s3, v5, 8
	v_add_co_ci_u32_e64 v6, null, 0, v6, s3
	v_cndmask_b32_e32 v18, v5, v3, vcc_lo
	v_cndmask_b32_e32 v19, v6, v4, vcc_lo
	s_branch .LBB164_68
.LBB164_66:
                                        ; implicit-def: $vgpr18_vgpr19
                                        ; implicit-def: $vgpr31
                                        ; implicit-def: $vgpr2
                                        ; implicit-def: $vgpr9
	s_cbranch_execz .LBB164_68
; %bb.67:
	s_lshl_b64 s[8:9], s[16:17], 6
	v_mov_b32_e32 v19, v4
	v_add_co_u32 v5, vcc_lo, v3, s8
	v_add_co_ci_u32_e64 v6, null, s9, v4, vcc_lo
	v_add_nc_u32_e32 v31, 8, v13
	v_add_co_u32 v7, vcc_lo, v5, s8
	v_add_co_ci_u32_e64 v8, null, s9, v6, vcc_lo
	v_add_nc_u32_e32 v2, 16, v13
	v_add_co_u32 v9, vcc_lo, v7, s8
	v_add_co_ci_u32_e64 v10, null, s9, v8, vcc_lo
	s_clause 0x3
	flat_load_dwordx2 v[11:12], v[3:4]
	flat_load_dwordx2 v[5:6], v[5:6]
	;; [unrolled: 1-line block ×4, first 2 shown]
	v_add_nc_u32_e32 v9, 24, v13
	v_mov_b32_e32 v18, v3
	s_waitcnt vmcnt(3) lgkmcnt(3)
	ds_write_b64 v29, v[11:12]
	s_waitcnt vmcnt(2) lgkmcnt(3)
	ds_write_b64 v29, v[5:6] offset:2112
	s_waitcnt vmcnt(1) lgkmcnt(3)
	ds_write_b64 v29, v[7:8] offset:4224
	;; [unrolled: 2-line block ×3, first 2 shown]
.LBB164_68:
	v_lshlrev_b32_e32 v7, 3, v13
	v_lshlrev_b32_e32 v10, 3, v31
	s_waitcnt lgkmcnt(0)
	s_barrier
	buffer_gl0_inv
	v_add_nc_u32_e32 v3, v25, v7
	v_lshlrev_b32_e32 v2, 3, v2
	v_lshlrev_b32_e32 v13, 3, v9
	ds_read_b64 v[3:4], v3
	ds_read_b64 v[5:6], v10 offset:9088
	ds_read_b64 v[7:8], v7 offset:9088
	v_add_nc_u32_e32 v10, v25, v10
	ds_read_b64 v[20:21], v21
	v_add_nc_u32_e32 v22, v25, v2
	s_waitcnt lgkmcnt(1)
	v_fma_f64 v[3:4], v[3:4], v[7:8], 0
	ds_read_b64 v[7:8], v10
	ds_read_b64 v[9:10], v13 offset:9088
	ds_read_b64 v[11:12], v2 offset:9088
	s_waitcnt lgkmcnt(2)
	v_fma_f64 v[2:3], v[7:8], v[5:6], v[3:4]
	ds_read_b64 v[4:5], v22
	v_add_nc_u32_e32 v6, v25, v13
	s_waitcnt lgkmcnt(0)
	v_fma_f64 v[2:3], v[4:5], v[11:12], v[2:3]
	ds_read_b64 v[4:5], v6
	ds_read_b64 v[22:23], v28
	s_waitcnt lgkmcnt(1)
	v_fma_f64 v[28:29], v[4:5], v[9:10], v[2:3]
	ds_read_b128 v[10:13], v30 offset:256
	ds_read_b128 v[2:5], v30 offset:272
	ds_read2_b64 v[6:9], v27 offset1:33
	s_waitcnt lgkmcnt(0)
	s_barrier
	buffer_gl0_inv
	ds_write_b64 v26, v[28:29]
	s_waitcnt lgkmcnt(0)
	s_barrier
	buffer_gl0_inv
	s_and_saveexec_b32 s3, s2
	s_cbranch_execz .LBB164_70
; %bb.69:
	ds_read2_b64 v[27:30], v25 offset1:1
	ds_read2_b64 v[31:34], v25 offset0:2 offset1:3
	s_waitcnt lgkmcnt(1)
	v_add_f64 v[27:28], v[60:61], v[27:28]
	v_add_f64 v[27:28], v[27:28], v[29:30]
	s_waitcnt lgkmcnt(0)
	v_add_f64 v[27:28], v[27:28], v[31:32]
	v_add_f64 v[35:36], v[27:28], v[33:34]
	ds_read2_b64 v[27:30], v25 offset0:4 offset1:5
	ds_read2_b64 v[31:34], v25 offset0:6 offset1:7
	s_waitcnt lgkmcnt(1)
	v_add_f64 v[27:28], v[35:36], v[27:28]
	v_add_f64 v[27:28], v[27:28], v[29:30]
	s_waitcnt lgkmcnt(0)
	v_add_f64 v[27:28], v[27:28], v[31:32]
	v_add_f64 v[60:61], v[27:28], v[33:34]
.LBB164_70:
	s_or_b32 exec_lo, exec_lo, s3
	v_fma_f64 v[10:11], v[22:23], v[10:11], 0
	s_barrier
	buffer_gl0_inv
	v_fma_f64 v[6:7], v[6:7], v[12:13], v[10:11]
	v_fma_f64 v[2:3], v[8:9], v[2:3], v[6:7]
	;; [unrolled: 1-line block ×3, first 2 shown]
	ds_write_b64 v26, v[2:3]
	s_waitcnt lgkmcnt(0)
	s_barrier
	buffer_gl0_inv
	s_and_saveexec_b32 s2, s1
	s_cbranch_execz .LBB164_72
; %bb.71:
	ds_read2_b64 v[2:5], v25 offset1:1
	ds_read2_b64 v[6:9], v25 offset0:2 offset1:3
	s_waitcnt lgkmcnt(1)
	v_add_f64 v[2:3], v[60:61], v[2:3]
	v_add_f64 v[2:3], v[2:3], v[4:5]
	s_waitcnt lgkmcnt(0)
	v_add_f64 v[2:3], v[2:3], v[6:7]
	v_add_f64 v[10:11], v[2:3], v[8:9]
	ds_read2_b64 v[2:5], v25 offset0:4 offset1:5
	ds_read2_b64 v[6:9], v25 offset0:6 offset1:7
	s_waitcnt lgkmcnt(1)
	v_add_f64 v[2:3], v[10:11], v[2:3]
	v_add_f64 v[2:3], v[2:3], v[4:5]
	s_waitcnt lgkmcnt(0)
	v_add_f64 v[2:3], v[2:3], v[6:7]
	v_add_f64 v[60:61], v[2:3], v[8:9]
.LBB164_72:
	s_or_b32 exec_lo, exec_lo, s2
	s_load_dwordx2 s[2:3], s[4:5], 0x68
	s_mul_hi_u32 s1, s24, s18
	s_mul_i32 s25, s25, s18
	s_mul_i32 s4, s24, s18
	s_add_i32 s1, s1, s25
	s_mul_hi_u32 s5, s4, s19
	s_mul_i32 s1, s1, s19
	s_mul_i32 s4, s4, s19
	s_add_i32 s5, s5, s1
	s_mul_hi_i32 s9, s24, s6
	s_lshl_b64 s[4:5], s[4:5], 3
	s_mul_i32 s8, s24, s6
	v_lshlrev_b32_e32 v94, 3, v0
	s_waitcnt lgkmcnt(0)
	s_barrier
	buffer_gl0_inv
	s_add_u32 s1, s2, s4
	s_addc_u32 s2, s3, s5
	s_lshl_b64 s[4:5], s[8:9], 3
	s_add_u32 s3, s1, s4
	s_addc_u32 s7, s2, s5
	s_add_i32 s1, s6, 1
	s_cmp_ge_u32 s1, s19
	s_cbranch_scc1 .LBB164_129
; %bb.73:
	v_lshrrev_b32_e32 v2, 4, v24
	v_lshlrev_b32_e32 v12, 5, v1
	v_and_b32_e32 v5, 48, v0
	v_and_b32_e32 v4, 15, v0
	v_or_b32_e32 v7, 0x78, v94
	v_lshlrev_b32_e32 v3, 5, v2
	v_add_nc_u32_e32 v6, 0x110, v12
	v_lshlrev_b32_e32 v5, 3, v5
	v_add_nc_u32_e32 v9, 0x118, v12
	s_mul_i32 s1, s10, s15
	s_mul_hi_u32 s2, s10, s14
	v_mad_u32_u24 v101, 0x218, v4, v3
	v_mul_i32_i24_e32 v13, 0xffffffe8, v2
	v_mad_u64_u32 v[2:3], null, s16, v6, 0
	v_mad_u32_u24 v102, 0x218, v4, v5
	v_mad_u32_u24 v103, 0x218, v4, v7
	v_mad_u64_u32 v[4:5], null, s16, v9, 0
	s_mul_i32 s4, s11, s14
	s_add_i32 s1, s2, s1
	v_add_nc_u32_e32 v25, 0x188, v12
	s_add_i32 s5, s1, s4
	s_mul_i32 s4, s10, s14
	v_cmp_gt_u32_e64 s1, 64, v24
	s_lshl_b64 s[4:5], s[4:5], 3
	v_mad_u64_u32 v[6:7], null, s17, v6, v[3:4]
	v_sub_co_u32 v96, vcc_lo, v16, s4
	v_mov_b32_e32 v3, v5
	v_subrev_co_ci_u32_e64 v97, null, s5, v17, vcc_lo
	v_add_nc_u32_e32 v16, 0x108, v12
	v_add_nc_u32_e32 v17, 0x100, v12
	v_mad_u64_u32 v[9:10], null, s17, v9, v[3:4]
	v_sub_co_u32 v20, vcc_lo, v2, v14
	v_mad_u64_u32 v[7:8], null, s16, v16, 0
	v_mad_u64_u32 v[10:11], null, s16, v17, 0
	v_sub_co_ci_u32_e64 v21, null, v6, v15, vcc_lo
	v_sub_co_u32 v22, vcc_lo, v4, v14
	v_mov_b32_e32 v2, v8
	v_add_nc_u32_e32 v8, 0x190, v12
	v_mov_b32_e32 v3, v11
	v_sub_co_ci_u32_e64 v23, null, v9, v15, vcc_lo
	v_add_nc_u32_e32 v9, 0x198, v12
	v_sub_co_u32 v11, vcc_lo, v7, v14
	v_mad_u64_u32 v[4:5], null, s17, v16, v[2:3]
	v_mad_u64_u32 v[5:6], null, s16, v8, 0
	v_add_nc_u32_e32 v26, 0x180, v12
	v_add_nc_u32_e32 v33, 0x208, v12
	v_add_nc_u32_e32 v34, 0x200, v12
	v_add_nc_u32_e32 v98, 0x2180, v12
	v_mad_u64_u32 v[2:3], null, s17, v17, v[3:4]
	v_mov_b32_e32 v3, v6
	v_mad_u64_u32 v[6:7], null, s16, v9, 0
	v_sub_co_ci_u32_e64 v16, null, v4, v15, vcc_lo
	v_sub_co_u32 v17, vcc_lo, v10, v14
	v_sub_co_ci_u32_e64 v24, null, v2, v15, vcc_lo
	v_mad_u64_u32 v[2:3], null, s17, v8, v[3:4]
	v_mov_b32_e32 v3, v7
	v_mad_u64_u32 v[7:8], null, s16, v25, 0
	v_sub_co_u32 v27, vcc_lo, v5, v14
	v_mad_u64_u32 v[3:4], null, s17, v9, v[3:4]
	v_mad_u64_u32 v[9:10], null, s16, v26, 0
	v_sub_co_ci_u32_e64 v28, null, v2, v15, vcc_lo
	v_sub_co_u32 v29, vcc_lo, v6, v14
	v_mov_b32_e32 v2, v8
	v_sub_co_ci_u32_e64 v30, null, v3, v15, vcc_lo
	v_mov_b32_e32 v3, v10
	v_add_nc_u32_e32 v8, 0x210, v12
	v_add_nc_u32_e32 v10, 0x218, v12
	;; [unrolled: 1-line block ×3, first 2 shown]
	v_lshlrev_b32_e32 v95, 2, v1
	v_mad_u64_u32 v[4:5], null, s17, v25, v[2:3]
	v_mad_u64_u32 v[5:6], null, s16, v8, 0
	v_sub_co_u32 v25, vcc_lo, v7, v14
	v_add_nc_u32_e32 v99, 0x2380, v94
	v_mad_u32_u24 v100, 0x860, v1, v94
	v_mad_u64_u32 v[2:3], null, s17, v26, v[3:4]
	v_mov_b32_e32 v3, v6
	v_mad_u64_u32 v[6:7], null, s16, v10, 0
	v_sub_co_ci_u32_e64 v26, null, v4, v15, vcc_lo
	v_sub_co_u32 v31, vcc_lo, v9, v14
	v_sub_co_ci_u32_e64 v32, null, v2, v15, vcc_lo
	v_mad_u64_u32 v[2:3], null, s17, v8, v[3:4]
	v_mov_b32_e32 v3, v7
	v_mad_u64_u32 v[7:8], null, s16, v33, 0
	v_sub_co_u32 v35, vcc_lo, v5, v14
	v_mad_u64_u32 v[3:4], null, s17, v10, v[3:4]
	v_mad_u64_u32 v[9:10], null, s16, v34, 0
	v_sub_co_ci_u32_e64 v36, null, v2, v15, vcc_lo
	v_sub_co_u32 v37, vcc_lo, v6, v14
	v_mov_b32_e32 v2, v8
	v_sub_co_ci_u32_e64 v38, null, v3, v15, vcc_lo
	v_mov_b32_e32 v3, v10
	v_add_nc_u32_e32 v8, 0x290, v12
	v_add_nc_u32_e32 v10, 0x298, v12
	;; [unrolled: 1-line block ×3, first 2 shown]
	v_or_b32_e32 v104, 1, v95
	v_mad_u64_u32 v[4:5], null, s17, v33, v[2:3]
	v_mad_u64_u32 v[5:6], null, s16, v8, 0
	v_sub_co_u32 v33, vcc_lo, v7, v14
	v_or_b32_e32 v105, 2, v95
	v_or_b32_e32 v106, 3, v95
	v_mad_u64_u32 v[2:3], null, s17, v34, v[3:4]
	v_mov_b32_e32 v3, v6
	v_mad_u64_u32 v[6:7], null, s16, v10, 0
	v_sub_co_ci_u32_e64 v34, null, v4, v15, vcc_lo
	v_sub_co_u32 v39, vcc_lo, v9, v14
	v_sub_co_ci_u32_e64 v40, null, v2, v15, vcc_lo
	v_mad_u64_u32 v[2:3], null, s17, v8, v[3:4]
	v_mov_b32_e32 v3, v7
	v_mad_u64_u32 v[7:8], null, s16, v41, 0
	v_sub_co_u32 v42, vcc_lo, v5, v14
	v_mad_u64_u32 v[3:4], null, s17, v10, v[3:4]
	v_mad_u64_u32 v[9:10], null, s16, v12, 0
	v_sub_co_ci_u32_e64 v43, null, v2, v15, vcc_lo
	v_sub_co_u32 v6, vcc_lo, v6, v14
	v_mov_b32_e32 v2, v8
	v_sub_co_ci_u32_e64 v8, null, v3, v15, vcc_lo
	v_mov_b32_e32 v3, v10
	v_add_nc_u32_e32 v107, 16, v95
	v_add_nc_u32_e32 v108, 17, v95
	;; [unrolled: 1-line block ×4, first 2 shown]
	v_mad_u64_u32 v[4:5], null, s17, v41, v[2:3]
	v_add_nc_u32_e32 v111, 32, v95
	v_add_nc_u32_e32 v112, 33, v95
	;; [unrolled: 1-line block ×6, first 2 shown]
	v_mad_u64_u32 v[2:3], null, s17, v12, v[3:4]
	v_sub_co_u32 v3, vcc_lo, v7, v14
	v_sub_co_ci_u32_e64 v4, null, v4, v15, vcc_lo
	v_sub_co_u32 v5, vcc_lo, v9, v14
	v_sub_co_ci_u32_e64 v2, null, v2, v15, vcc_lo
	v_add_co_u32 v116, vcc_lo, v18, v20
	v_add_co_ci_u32_e64 v117, null, v19, v21, vcc_lo
	v_add_co_u32 v118, vcc_lo, v18, v22
	v_add_co_ci_u32_e64 v119, null, v19, v23, vcc_lo
	;; [unrolled: 2-line block ×16, first 2 shown]
	v_add_nc_u32_e32 v149, 50, v95
	v_add_nc_u32_e32 v150, v101, v13
	;; [unrolled: 1-line block ×3, first 2 shown]
	s_add_i32 s8, s19, -2
	s_add_i32 s9, s14, 64
	s_lshl_b64 s[4:5], s[16:17], 9
	s_cmp_eq_u32 s8, s6
	s_cselect_b32 s13, s22, 0
	s_and_saveexec_b32 s2, s0
	s_cbranch_execz .LBB164_78
	s_branch .LBB164_75
.LBB164_74:                             ;   in Loop: Header=BB164_78 Depth=1
	s_mov_b32 s6, s2
	s_cmp_eq_u32 s8, s6
	s_cselect_b32 s13, s22, 0
	s_and_saveexec_b32 s2, s0
	s_cbranch_execz .LBB164_78
.LBB164_75:
	v_cmp_gt_i32_e32 vcc_lo, s13, v0
	s_cmp_eq_u32 s13, 0
	v_mov_b32_e32 v2, 0
	v_mov_b32_e32 v3, 0
	s_cselect_b32 s14, -1, 0
	s_or_b32 s15, s14, vcc_lo
	s_and_saveexec_b32 s14, s15
	s_cbranch_execz .LBB164_77
; %bb.76:
	s_ashr_i32 s15, s9, 31
	s_mul_hi_u32 s16, s10, s9
	s_mul_i32 s15, s10, s15
	s_mul_i32 s17, s11, s9
	s_add_i32 s15, s16, s15
	s_mul_i32 s16, s10, s9
	s_add_i32 s17, s15, s17
	s_lshl_b64 s[16:17], s[16:17], 3
	v_add_co_u32 v2, vcc_lo, v96, s16
	v_add_co_ci_u32_e64 v3, null, s17, v97, vcc_lo
	flat_load_dwordx2 v[2:3], v[2:3]
.LBB164_77:
	s_or_b32 exec_lo, exec_lo, s14
	v_add_nc_u32_e32 v4, 0x2180, v94
	s_waitcnt vmcnt(0) lgkmcnt(0)
	ds_write_b64 v4, v[2:3]
.LBB164_78:                             ; =>This Inner Loop Header: Depth=1
	s_or_b32 exec_lo, exec_lo, s2
	s_cmp_eq_u32 s13, 0
	v_add_co_u32 v2, vcc_lo, v122, v94
	s_cselect_b32 s14, -1, 0
	s_cmp_lg_u32 s13, 0
	v_add_co_ci_u32_e64 v3, null, 0, v123, vcc_lo
	s_cselect_b32 s2, -1, 0
	s_mov_b32 s15, -1
	s_and_b32 vcc_lo, exec_lo, s2
	s_waitcnt lgkmcnt(0)
	s_barrier
	buffer_gl0_inv
                                        ; implicit-def: $vgpr68_vgpr69
                                        ; implicit-def: $vgpr66_vgpr67
                                        ; implicit-def: $vgpr64_vgpr65
                                        ; implicit-def: $vgpr62_vgpr63
	s_cbranch_vccz .LBB164_88
; %bb.79:                               ;   in Loop: Header=BB164_78 Depth=1
	v_mov_b32_e32 v64, 0
	v_mov_b32_e32 v62, 0
	;; [unrolled: 1-line block ×4, first 2 shown]
	s_mov_b32 s15, exec_lo
	v_cmpx_gt_i32_e64 s13, v95
	s_cbranch_execz .LBB164_81
; %bb.80:                               ;   in Loop: Header=BB164_78 Depth=1
	flat_load_dwordx2 v[62:63], v[2:3]
.LBB164_81:                             ;   in Loop: Header=BB164_78 Depth=1
	s_or_b32 exec_lo, exec_lo, s15
	s_mov_b32 s15, exec_lo
	v_cmpx_gt_i32_e64 s13, v104
	s_cbranch_execz .LBB164_83
; %bb.82:                               ;   in Loop: Header=BB164_78 Depth=1
	v_add_co_u32 v4, vcc_lo, v120, v94
	v_add_co_ci_u32_e64 v5, null, 0, v121, vcc_lo
	flat_load_dwordx2 v[64:65], v[4:5]
.LBB164_83:                             ;   in Loop: Header=BB164_78 Depth=1
	s_or_b32 exec_lo, exec_lo, s15
	v_mov_b32_e32 v68, 0
	v_mov_b32_e32 v66, 0
	;; [unrolled: 1-line block ×4, first 2 shown]
	s_mov_b32 s15, exec_lo
	v_cmpx_gt_i32_e64 s13, v105
	s_cbranch_execz .LBB164_85
; %bb.84:                               ;   in Loop: Header=BB164_78 Depth=1
	v_add_co_u32 v4, vcc_lo, v116, v94
	v_add_co_ci_u32_e64 v5, null, 0, v117, vcc_lo
	flat_load_dwordx2 v[66:67], v[4:5]
.LBB164_85:                             ;   in Loop: Header=BB164_78 Depth=1
	s_or_b32 exec_lo, exec_lo, s15
	s_mov_b32 s15, exec_lo
	v_cmpx_gt_i32_e64 s13, v106
	s_cbranch_execz .LBB164_87
; %bb.86:                               ;   in Loop: Header=BB164_78 Depth=1
	v_add_co_u32 v4, vcc_lo, v118, v94
	v_add_co_ci_u32_e64 v5, null, 0, v119, vcc_lo
	flat_load_dwordx2 v[68:69], v[4:5]
.LBB164_87:                             ;   in Loop: Header=BB164_78 Depth=1
	s_or_b32 exec_lo, exec_lo, s15
	s_mov_b32 s15, 0
.LBB164_88:                             ;   in Loop: Header=BB164_78 Depth=1
	s_and_b32 vcc_lo, exec_lo, s15
	s_cbranch_vccz .LBB164_90
; %bb.89:                               ;   in Loop: Header=BB164_78 Depth=1
	v_add_co_u32 v4, vcc_lo, v120, v94
	v_add_co_ci_u32_e64 v5, null, 0, v121, vcc_lo
	v_add_co_u32 v6, vcc_lo, v116, v94
	v_add_co_ci_u32_e64 v7, null, 0, v117, vcc_lo
	v_add_co_u32 v8, vcc_lo, v118, v94
	v_add_co_ci_u32_e64 v9, null, 0, v119, vcc_lo
	s_waitcnt vmcnt(0) lgkmcnt(0)
	flat_load_dwordx2 v[62:63], v[2:3]
	flat_load_dwordx2 v[64:65], v[4:5]
	;; [unrolled: 1-line block ×4, first 2 shown]
.LBB164_90:                             ;   in Loop: Header=BB164_78 Depth=1
	ds_read_b64 v[2:3], v99
	v_add_co_u32 v18, vcc_lo, v130, v94
	v_cndmask_b32_e64 v42, 0, 1, s2
	v_add_co_ci_u32_e64 v19, null, 0, v131, vcc_lo
	s_andn2_b32 vcc_lo, exec_lo, s2
	s_mov_b32 s2, -1
                                        ; implicit-def: $vgpr76_vgpr77
                                        ; implicit-def: $vgpr74_vgpr75
                                        ; implicit-def: $vgpr72_vgpr73
                                        ; implicit-def: $vgpr70_vgpr71
	s_waitcnt vmcnt(0) lgkmcnt(0)
	v_mul_f64 v[10:11], v[62:63], v[2:3]
	v_mul_f64 v[12:13], v[64:65], v[2:3]
	v_mul_f64 v[14:15], v[66:67], v[2:3]
	v_mul_f64 v[16:17], v[68:69], v[2:3]
	ds_read_b128 v[6:9], v98
	ds_read_b128 v[2:5], v98 offset:16
	ds_write2_b64 v100, v[10:11], v[12:13] offset1:67
	ds_write2_b64 v100, v[14:15], v[16:17] offset0:134 offset1:201
	s_waitcnt lgkmcnt(0)
	s_barrier
	buffer_gl0_inv
	ds_read2_b64 v[14:17], v101 offset1:1
	ds_read2_b64 v[10:13], v101 offset0:2 offset1:3
	s_waitcnt lgkmcnt(0)
	s_barrier
	buffer_gl0_inv
	s_cbranch_vccnz .LBB164_100
; %bb.91:                               ;   in Loop: Header=BB164_78 Depth=1
	v_mov_b32_e32 v72, 0
	v_mov_b32_e32 v70, 0
	;; [unrolled: 1-line block ×4, first 2 shown]
	s_mov_b32 s2, exec_lo
	v_cmpx_gt_i32_e64 s13, v107
	s_cbranch_execz .LBB164_93
; %bb.92:                               ;   in Loop: Header=BB164_78 Depth=1
	flat_load_dwordx2 v[70:71], v[18:19]
.LBB164_93:                             ;   in Loop: Header=BB164_78 Depth=1
	s_or_b32 exec_lo, exec_lo, s2
	s_mov_b32 s2, exec_lo
	v_cmpx_gt_i32_e64 s13, v108
	s_cbranch_execz .LBB164_95
; %bb.94:                               ;   in Loop: Header=BB164_78 Depth=1
	v_add_co_u32 v20, vcc_lo, v128, v94
	v_add_co_ci_u32_e64 v21, null, 0, v129, vcc_lo
	flat_load_dwordx2 v[72:73], v[20:21]
.LBB164_95:                             ;   in Loop: Header=BB164_78 Depth=1
	s_or_b32 exec_lo, exec_lo, s2
	v_mov_b32_e32 v76, 0
	v_mov_b32_e32 v74, 0
	;; [unrolled: 1-line block ×4, first 2 shown]
	s_mov_b32 s2, exec_lo
	v_cmpx_gt_i32_e64 s13, v109
	s_cbranch_execz .LBB164_97
; %bb.96:                               ;   in Loop: Header=BB164_78 Depth=1
	v_add_co_u32 v20, vcc_lo, v124, v94
	v_add_co_ci_u32_e64 v21, null, 0, v125, vcc_lo
	flat_load_dwordx2 v[74:75], v[20:21]
.LBB164_97:                             ;   in Loop: Header=BB164_78 Depth=1
	s_or_b32 exec_lo, exec_lo, s2
	s_mov_b32 s2, exec_lo
	v_cmpx_gt_i32_e64 s13, v110
	s_cbranch_execz .LBB164_99
; %bb.98:                               ;   in Loop: Header=BB164_78 Depth=1
	v_add_co_u32 v20, vcc_lo, v126, v94
	v_add_co_ci_u32_e64 v21, null, 0, v127, vcc_lo
	flat_load_dwordx2 v[76:77], v[20:21]
.LBB164_99:                             ;   in Loop: Header=BB164_78 Depth=1
	s_or_b32 exec_lo, exec_lo, s2
	s_mov_b32 s2, 0
.LBB164_100:                            ;   in Loop: Header=BB164_78 Depth=1
	s_and_b32 vcc_lo, exec_lo, s2
	s_cbranch_vccz .LBB164_102
; %bb.101:                              ;   in Loop: Header=BB164_78 Depth=1
	v_add_co_u32 v20, vcc_lo, v128, v94
	v_add_co_ci_u32_e64 v21, null, 0, v129, vcc_lo
	v_add_co_u32 v22, vcc_lo, v124, v94
	v_add_co_ci_u32_e64 v23, null, 0, v125, vcc_lo
	;; [unrolled: 2-line block ×3, first 2 shown]
	s_waitcnt vmcnt(0) lgkmcnt(0)
	flat_load_dwordx2 v[70:71], v[18:19]
	flat_load_dwordx2 v[72:73], v[20:21]
	;; [unrolled: 1-line block ×4, first 2 shown]
.LBB164_102:                            ;   in Loop: Header=BB164_78 Depth=1
	ds_read_b64 v[18:19], v99
	v_cmp_ne_u32_e32 vcc_lo, 1, v42
                                        ; implicit-def: $vgpr84_vgpr85
                                        ; implicit-def: $vgpr82_vgpr83
                                        ; implicit-def: $vgpr80_vgpr81
                                        ; implicit-def: $vgpr78_vgpr79
	s_and_b32 vcc_lo, exec_lo, vcc_lo
	s_waitcnt vmcnt(0) lgkmcnt(0)
	v_mul_f64 v[26:27], v[70:71], v[18:19]
	v_mul_f64 v[28:29], v[72:73], v[18:19]
	;; [unrolled: 1-line block ×4, first 2 shown]
	ds_read_b128 v[22:25], v98 offset:128
	ds_read_b128 v[18:21], v98 offset:144
	ds_write2_b64 v100, v[26:27], v[28:29] offset1:67
	ds_write2_b64 v100, v[30:31], v[32:33] offset0:134 offset1:201
	s_waitcnt lgkmcnt(0)
	s_barrier
	buffer_gl0_inv
	ds_read2_b64 v[38:41], v101 offset1:1
	ds_read2_b64 v[26:29], v101 offset0:2 offset1:3
	v_add_co_u32 v30, s2, v138, v94
	v_add_co_ci_u32_e64 v31, null, 0, v139, s2
	s_mov_b32 s2, -1
	s_waitcnt lgkmcnt(0)
	s_barrier
	buffer_gl0_inv
	s_cbranch_vccnz .LBB164_112
; %bb.103:                              ;   in Loop: Header=BB164_78 Depth=1
	v_mov_b32_e32 v80, 0
	v_mov_b32_e32 v78, 0
	;; [unrolled: 1-line block ×4, first 2 shown]
	s_mov_b32 s2, exec_lo
	v_cmpx_gt_i32_e64 s13, v111
	s_cbranch_execz .LBB164_105
; %bb.104:                              ;   in Loop: Header=BB164_78 Depth=1
	flat_load_dwordx2 v[78:79], v[30:31]
.LBB164_105:                            ;   in Loop: Header=BB164_78 Depth=1
	s_or_b32 exec_lo, exec_lo, s2
	s_mov_b32 s2, exec_lo
	v_cmpx_gt_i32_e64 s13, v112
	s_cbranch_execz .LBB164_107
; %bb.106:                              ;   in Loop: Header=BB164_78 Depth=1
	v_add_co_u32 v32, vcc_lo, v136, v94
	v_add_co_ci_u32_e64 v33, null, 0, v137, vcc_lo
	flat_load_dwordx2 v[80:81], v[32:33]
.LBB164_107:                            ;   in Loop: Header=BB164_78 Depth=1
	s_or_b32 exec_lo, exec_lo, s2
	v_mov_b32_e32 v84, 0
	v_mov_b32_e32 v82, 0
	;; [unrolled: 1-line block ×4, first 2 shown]
	s_mov_b32 s2, exec_lo
	v_cmpx_gt_i32_e64 s13, v113
	s_cbranch_execz .LBB164_109
; %bb.108:                              ;   in Loop: Header=BB164_78 Depth=1
	v_add_co_u32 v32, vcc_lo, v132, v94
	v_add_co_ci_u32_e64 v33, null, 0, v133, vcc_lo
	flat_load_dwordx2 v[82:83], v[32:33]
.LBB164_109:                            ;   in Loop: Header=BB164_78 Depth=1
	s_or_b32 exec_lo, exec_lo, s2
	s_mov_b32 s2, exec_lo
	v_cmpx_gt_i32_e64 s13, v114
	s_cbranch_execz .LBB164_111
; %bb.110:                              ;   in Loop: Header=BB164_78 Depth=1
	v_add_co_u32 v32, vcc_lo, v134, v94
	v_add_co_ci_u32_e64 v33, null, 0, v135, vcc_lo
	flat_load_dwordx2 v[84:85], v[32:33]
.LBB164_111:                            ;   in Loop: Header=BB164_78 Depth=1
	s_or_b32 exec_lo, exec_lo, s2
	s_mov_b32 s2, 0
.LBB164_112:                            ;   in Loop: Header=BB164_78 Depth=1
	s_and_b32 vcc_lo, exec_lo, s2
	s_cbranch_vccz .LBB164_114
; %bb.113:                              ;   in Loop: Header=BB164_78 Depth=1
	v_add_co_u32 v32, vcc_lo, v136, v94
	v_add_co_ci_u32_e64 v33, null, 0, v137, vcc_lo
	v_add_co_u32 v34, vcc_lo, v132, v94
	v_add_co_ci_u32_e64 v35, null, 0, v133, vcc_lo
	;; [unrolled: 2-line block ×3, first 2 shown]
	s_waitcnt vmcnt(0) lgkmcnt(0)
	flat_load_dwordx2 v[78:79], v[30:31]
	flat_load_dwordx2 v[80:81], v[32:33]
	;; [unrolled: 1-line block ×4, first 2 shown]
.LBB164_114:                            ;   in Loop: Header=BB164_78 Depth=1
	ds_read_b64 v[30:31], v99
	v_cmp_ne_u32_e32 vcc_lo, 1, v42
	v_add_co_u32 v42, s2, v146, v94
                                        ; implicit-def: $vgpr86_vgpr87
                                        ; implicit-def: $vgpr92_vgpr93
                                        ; implicit-def: $vgpr88_vgpr89
                                        ; implicit-def: $vgpr90_vgpr91
	s_and_b32 vcc_lo, exec_lo, vcc_lo
	s_waitcnt vmcnt(0) lgkmcnt(0)
	v_mul_f64 v[43:44], v[78:79], v[30:31]
	v_mul_f64 v[45:46], v[80:81], v[30:31]
	;; [unrolled: 1-line block ×4, first 2 shown]
	ds_read_b128 v[34:37], v98 offset:256
	ds_read_b128 v[30:33], v98 offset:272
	ds_write2_b64 v100, v[43:44], v[45:46] offset1:67
	ds_write2_b64 v100, v[47:48], v[49:50] offset0:134 offset1:201
	s_waitcnt lgkmcnt(0)
	s_barrier
	buffer_gl0_inv
	ds_read2_b64 v[50:53], v101 offset1:1
	ds_read2_b64 v[46:49], v101 offset0:2 offset1:3
	v_add_co_ci_u32_e64 v43, null, 0, v147, s2
	s_mov_b32 s2, -1
	s_waitcnt lgkmcnt(0)
	s_barrier
	buffer_gl0_inv
	s_cbranch_vccnz .LBB164_124
; %bb.115:                              ;   in Loop: Header=BB164_78 Depth=1
	v_mov_b32_e32 v88, 0
	v_mov_b32_e32 v90, 0
	;; [unrolled: 1-line block ×4, first 2 shown]
	s_mov_b32 s2, exec_lo
	v_cmpx_gt_i32_e64 s13, v115
	s_cbranch_execz .LBB164_117
; %bb.116:                              ;   in Loop: Header=BB164_78 Depth=1
	flat_load_dwordx2 v[90:91], v[42:43]
.LBB164_117:                            ;   in Loop: Header=BB164_78 Depth=1
	s_or_b32 exec_lo, exec_lo, s2
	s_mov_b32 s2, exec_lo
	v_cmpx_gt_i32_e64 s13, v148
	s_cbranch_execz .LBB164_119
; %bb.118:                              ;   in Loop: Header=BB164_78 Depth=1
	v_add_co_u32 v44, vcc_lo, v144, v94
	v_add_co_ci_u32_e64 v45, null, 0, v145, vcc_lo
	flat_load_dwordx2 v[88:89], v[44:45]
.LBB164_119:                            ;   in Loop: Header=BB164_78 Depth=1
	s_or_b32 exec_lo, exec_lo, s2
	v_mov_b32_e32 v86, 0
	v_mov_b32_e32 v92, 0
	;; [unrolled: 1-line block ×4, first 2 shown]
	s_mov_b32 s2, exec_lo
	v_cmpx_gt_i32_e64 s13, v149
	s_cbranch_execz .LBB164_121
; %bb.120:                              ;   in Loop: Header=BB164_78 Depth=1
	v_add_co_u32 v44, vcc_lo, v140, v94
	v_add_co_ci_u32_e64 v45, null, 0, v141, vcc_lo
	flat_load_dwordx2 v[92:93], v[44:45]
.LBB164_121:                            ;   in Loop: Header=BB164_78 Depth=1
	s_or_b32 exec_lo, exec_lo, s2
	s_mov_b32 s2, exec_lo
	v_cmpx_gt_i32_e64 s13, v151
	s_cbranch_execz .LBB164_123
; %bb.122:                              ;   in Loop: Header=BB164_78 Depth=1
	v_add_co_u32 v44, vcc_lo, v142, v94
	v_add_co_ci_u32_e64 v45, null, 0, v143, vcc_lo
	flat_load_dwordx2 v[86:87], v[44:45]
.LBB164_123:                            ;   in Loop: Header=BB164_78 Depth=1
	s_or_b32 exec_lo, exec_lo, s2
	s_mov_b32 s2, 0
.LBB164_124:                            ;   in Loop: Header=BB164_78 Depth=1
	s_and_b32 vcc_lo, exec_lo, s2
	s_cbranch_vccz .LBB164_126
; %bb.125:                              ;   in Loop: Header=BB164_78 Depth=1
	v_add_co_u32 v44, vcc_lo, v144, v94
	v_add_co_ci_u32_e64 v45, null, 0, v145, vcc_lo
	v_add_co_u32 v54, vcc_lo, v140, v94
	v_add_co_ci_u32_e64 v55, null, 0, v141, vcc_lo
	;; [unrolled: 2-line block ×3, first 2 shown]
	s_waitcnt vmcnt(0) lgkmcnt(0)
	flat_load_dwordx2 v[90:91], v[42:43]
	flat_load_dwordx2 v[88:89], v[44:45]
	;; [unrolled: 1-line block ×4, first 2 shown]
.LBB164_126:                            ;   in Loop: Header=BB164_78 Depth=1
	ds_read_b64 v[42:43], v99
	v_add_f64 v[38:39], v[38:39], 0
	v_add_f64 v[14:15], v[14:15], 0
	;; [unrolled: 1-line block ×3, first 2 shown]
	v_cmp_gt_i32_e32 vcc_lo, s13, v0
	s_or_b32 s2, s14, vcc_lo
	s_and_b32 s13, s1, s2
	s_waitcnt vmcnt(0) lgkmcnt(0)
	v_mul_f64 v[152:153], v[90:91], v[42:43]
	v_mul_f64 v[154:155], v[88:89], v[42:43]
	v_mul_f64 v[156:157], v[92:93], v[42:43]
	v_mul_f64 v[158:159], v[86:87], v[42:43]
	ds_read_b128 v[54:57], v98 offset:384
	ds_read_b128 v[42:45], v98 offset:400
	v_add_f64 v[38:39], v[38:39], v[40:41]
	v_add_f64 v[40:41], v[14:15], v[16:17]
	;; [unrolled: 1-line block ×3, first 2 shown]
	ds_write2_b64 v100, v[152:153], v[154:155] offset1:67
	ds_write2_b64 v100, v[156:157], v[158:159] offset0:134 offset1:201
	s_waitcnt lgkmcnt(0)
	s_barrier
	buffer_gl0_inv
	ds_read2_b64 v[152:155], v101 offset1:1
	ds_read2_b64 v[14:17], v101 offset0:2 offset1:3
	v_add_f64 v[26:27], v[38:39], v[26:27]
	v_add_f64 v[10:11], v[40:41], v[10:11]
	;; [unrolled: 1-line block ×3, first 2 shown]
	s_waitcnt lgkmcnt(0)
	s_barrier
	buffer_gl0_inv
	v_add_f64 v[152:153], v[152:153], 0
	v_add_f64 v[26:27], v[26:27], v[28:29]
	;; [unrolled: 1-line block ×7, first 2 shown]
	ds_write2_b64 v150, v[10:11], v[26:27] offset1:16
	ds_write2_b64 v150, v[38:39], v[12:13] offset0:32 offset1:48
	s_waitcnt lgkmcnt(0)
	s_barrier
	buffer_gl0_inv
	s_and_saveexec_b32 s2, s13
	s_cbranch_execz .LBB164_128
; %bb.127:                              ;   in Loop: Header=BB164_78 Depth=1
	ds_read2_b64 v[10:13], v102 offset1:1
	ds_read2_b64 v[14:17], v102 offset0:2 offset1:3
	s_waitcnt lgkmcnt(1)
	v_add_f64 v[10:11], v[10:11], v[12:13]
	s_waitcnt lgkmcnt(0)
	v_add_f64 v[10:11], v[10:11], v[14:15]
	v_add_f64 v[26:27], v[10:11], v[16:17]
	ds_read2_b64 v[10:13], v102 offset0:4 offset1:5
	ds_read2_b64 v[14:17], v102 offset0:6 offset1:7
	s_waitcnt lgkmcnt(1)
	v_add_f64 v[10:11], v[26:27], v[10:11]
	v_add_f64 v[10:11], v[10:11], v[12:13]
	s_waitcnt lgkmcnt(0)
	v_add_f64 v[10:11], v[10:11], v[14:15]
	v_add_f64 v[26:27], v[10:11], v[16:17]
	ds_read2_b64 v[10:13], v102 offset0:8 offset1:9
	ds_read2_b64 v[14:17], v102 offset0:10 offset1:11
	s_waitcnt lgkmcnt(1)
	v_add_f64 v[10:11], v[26:27], v[10:11]
	v_add_f64 v[10:11], v[10:11], v[12:13]
	s_waitcnt lgkmcnt(0)
	v_add_f64 v[10:11], v[10:11], v[14:15]
	v_add_f64 v[14:15], v[10:11], v[16:17]
	ds_read2_b64 v[10:13], v102 offset0:12 offset1:13
	ds_read_b64 v[16:17], v102 offset:112
	s_waitcnt lgkmcnt(1)
	v_add_f64 v[10:11], v[14:15], v[10:11]
	v_add_nc_u32_e32 v14, s9, v0
	v_ashrrev_i32_e32 v15, 31, v14
	v_add_f64 v[10:11], v[10:11], v[12:13]
	ds_read_b64 v[12:13], v103
	s_waitcnt lgkmcnt(1)
	v_add_f64 v[10:11], v[10:11], v[16:17]
	s_waitcnt lgkmcnt(0)
	v_add_f64 v[10:11], v[10:11], v[12:13]
	v_lshlrev_b64 v[12:13], 3, v[14:15]
	v_add_co_u32 v12, vcc_lo, s3, v12
	v_add_co_ci_u32_e64 v13, null, s7, v13, vcc_lo
	global_store_dwordx2 v[12:13], v[10:11], off
.LBB164_128:                            ;   in Loop: Header=BB164_78 Depth=1
	s_or_b32 exec_lo, exec_lo, s2
	v_fma_f64 v[6:7], v[62:63], v[6:7], v[60:61]
	v_add_co_u32 v116, vcc_lo, v116, s4
	v_add_co_ci_u32_e64 v117, null, s5, v117, vcc_lo
	v_add_co_u32 v118, vcc_lo, v118, s4
	v_add_co_ci_u32_e64 v119, null, s5, v119, vcc_lo
	;; [unrolled: 2-line block ×5, first 2 shown]
	v_add_co_u32 v126, vcc_lo, v126, s4
	v_fma_f64 v[6:7], v[64:65], v[8:9], v[6:7]
	v_add_co_ci_u32_e64 v127, null, s5, v127, vcc_lo
	v_add_co_u32 v128, vcc_lo, v128, s4
	v_add_co_ci_u32_e64 v129, null, s5, v129, vcc_lo
	v_add_co_u32 v130, vcc_lo, v130, s4
	;; [unrolled: 2-line block ×5, first 2 shown]
	v_add_co_ci_u32_e64 v137, null, s5, v137, vcc_lo
	v_fma_f64 v[2:3], v[66:67], v[2:3], v[6:7]
	v_add_co_u32 v138, vcc_lo, v138, s4
	v_add_co_ci_u32_e64 v139, null, s5, v139, vcc_lo
	v_add_co_u32 v140, vcc_lo, v140, s4
	v_add_co_ci_u32_e64 v141, null, s5, v141, vcc_lo
	;; [unrolled: 2-line block ×5, first 2 shown]
	s_add_i32 s2, s6, 1
	v_fma_f64 v[2:3], v[68:69], v[4:5], v[2:3]
	s_add_i32 s6, s6, 2
	s_add_i32 s9, s9, 64
	s_cmp_ge_u32 s6, s19
	s_waitcnt_vscnt null, 0x0
	s_barrier
	buffer_gl0_inv
	v_fma_f64 v[2:3], v[70:71], v[22:23], v[2:3]
	v_fma_f64 v[2:3], v[72:73], v[24:25], v[2:3]
	;; [unrolled: 1-line block ×12, first 2 shown]
	s_cbranch_scc0 .LBB164_74
.LBB164_129:
	v_cmp_gt_i32_e32 vcc_lo, s12, v0
	v_mad_u32_u24 v1, 0x218, v1, v94
	s_or_b32 s1, s23, vcc_lo
	ds_write_b64 v1, v[60:61]
	s_and_b32 s0, s0, s1
	s_waitcnt lgkmcnt(0)
	s_barrier
	buffer_gl0_inv
	s_and_saveexec_b32 s1, s0
	s_cbranch_execz .LBB164_4
; %bb.130:
	ds_read2_b64 v[0:3], v94 offset1:67
	s_waitcnt lgkmcnt(0)
	v_add_f64 v[4:5], v[0:1], v[2:3]
	ds_read2_b64 v[0:3], v94 offset0:134 offset1:201
	s_waitcnt lgkmcnt(0)
	v_add_f64 v[0:1], v[4:5], v[0:1]
	v_add_f64 v[0:1], v[0:1], v[2:3]
	v_lshlrev_b64 v[2:3], 3, v[58:59]
	v_add_co_u32 v2, vcc_lo, s3, v2
	v_add_co_ci_u32_e64 v3, null, s7, v3, vcc_lo
	global_store_dwordx2 v[2:3], v[0:1], off
	s_endpgm
	.section	.rodata,"a",@progbits
	.p2align	6, 0x0
	.amdhsa_kernel _ZL26rocblas_hemvn_kernel_upperILb0ELi64ELi4ELi33ELi32ELi16EldPKPKdPdEviT6_lT7_lT5_lS6_lS7_lS5_lT8_i
		.amdhsa_group_segment_fixed_size 9600
		.amdhsa_private_segment_fixed_size 0
		.amdhsa_kernarg_size 376
		.amdhsa_user_sgpr_count 6
		.amdhsa_user_sgpr_private_segment_buffer 1
		.amdhsa_user_sgpr_dispatch_ptr 0
		.amdhsa_user_sgpr_queue_ptr 0
		.amdhsa_user_sgpr_kernarg_segment_ptr 1
		.amdhsa_user_sgpr_dispatch_id 0
		.amdhsa_user_sgpr_flat_scratch_init 0
		.amdhsa_user_sgpr_private_segment_size 0
		.amdhsa_wavefront_size32 1
		.amdhsa_uses_dynamic_stack 0
		.amdhsa_system_sgpr_private_segment_wavefront_offset 0
		.amdhsa_system_sgpr_workgroup_id_x 1
		.amdhsa_system_sgpr_workgroup_id_y 0
		.amdhsa_system_sgpr_workgroup_id_z 1
		.amdhsa_system_sgpr_workgroup_info 0
		.amdhsa_system_vgpr_workitem_id 1
		.amdhsa_next_free_vgpr 160
		.amdhsa_next_free_sgpr 30
		.amdhsa_reserve_vcc 1
		.amdhsa_reserve_flat_scratch 1
		.amdhsa_float_round_mode_32 0
		.amdhsa_float_round_mode_16_64 0
		.amdhsa_float_denorm_mode_32 3
		.amdhsa_float_denorm_mode_16_64 3
		.amdhsa_dx10_clamp 1
		.amdhsa_ieee_mode 1
		.amdhsa_fp16_overflow 0
		.amdhsa_workgroup_processor_mode 1
		.amdhsa_memory_ordered 1
		.amdhsa_forward_progress 1
		.amdhsa_shared_vgpr_count 0
		.amdhsa_exception_fp_ieee_invalid_op 0
		.amdhsa_exception_fp_denorm_src 0
		.amdhsa_exception_fp_ieee_div_zero 0
		.amdhsa_exception_fp_ieee_overflow 0
		.amdhsa_exception_fp_ieee_underflow 0
		.amdhsa_exception_fp_ieee_inexact 0
		.amdhsa_exception_int_div_zero 0
	.end_amdhsa_kernel
	.section	.text._ZL26rocblas_hemvn_kernel_upperILb0ELi64ELi4ELi33ELi32ELi16EldPKPKdPdEviT6_lT7_lT5_lS6_lS7_lS5_lT8_i,"axG",@progbits,_ZL26rocblas_hemvn_kernel_upperILb0ELi64ELi4ELi33ELi32ELi16EldPKPKdPdEviT6_lT7_lT5_lS6_lS7_lS5_lT8_i,comdat
.Lfunc_end164:
	.size	_ZL26rocblas_hemvn_kernel_upperILb0ELi64ELi4ELi33ELi32ELi16EldPKPKdPdEviT6_lT7_lT5_lS6_lS7_lS5_lT8_i, .Lfunc_end164-_ZL26rocblas_hemvn_kernel_upperILb0ELi64ELi4ELi33ELi32ELi16EldPKPKdPdEviT6_lT7_lT5_lS6_lS7_lS5_lT8_i
                                        ; -- End function
	.set _ZL26rocblas_hemvn_kernel_upperILb0ELi64ELi4ELi33ELi32ELi16EldPKPKdPdEviT6_lT7_lT5_lS6_lS7_lS5_lT8_i.num_vgpr, 160
	.set _ZL26rocblas_hemvn_kernel_upperILb0ELi64ELi4ELi33ELi32ELi16EldPKPKdPdEviT6_lT7_lT5_lS6_lS7_lS5_lT8_i.num_agpr, 0
	.set _ZL26rocblas_hemvn_kernel_upperILb0ELi64ELi4ELi33ELi32ELi16EldPKPKdPdEviT6_lT7_lT5_lS6_lS7_lS5_lT8_i.numbered_sgpr, 30
	.set _ZL26rocblas_hemvn_kernel_upperILb0ELi64ELi4ELi33ELi32ELi16EldPKPKdPdEviT6_lT7_lT5_lS6_lS7_lS5_lT8_i.num_named_barrier, 0
	.set _ZL26rocblas_hemvn_kernel_upperILb0ELi64ELi4ELi33ELi32ELi16EldPKPKdPdEviT6_lT7_lT5_lS6_lS7_lS5_lT8_i.private_seg_size, 0
	.set _ZL26rocblas_hemvn_kernel_upperILb0ELi64ELi4ELi33ELi32ELi16EldPKPKdPdEviT6_lT7_lT5_lS6_lS7_lS5_lT8_i.uses_vcc, 1
	.set _ZL26rocblas_hemvn_kernel_upperILb0ELi64ELi4ELi33ELi32ELi16EldPKPKdPdEviT6_lT7_lT5_lS6_lS7_lS5_lT8_i.uses_flat_scratch, 1
	.set _ZL26rocblas_hemvn_kernel_upperILb0ELi64ELi4ELi33ELi32ELi16EldPKPKdPdEviT6_lT7_lT5_lS6_lS7_lS5_lT8_i.has_dyn_sized_stack, 0
	.set _ZL26rocblas_hemvn_kernel_upperILb0ELi64ELi4ELi33ELi32ELi16EldPKPKdPdEviT6_lT7_lT5_lS6_lS7_lS5_lT8_i.has_recursion, 0
	.set _ZL26rocblas_hemvn_kernel_upperILb0ELi64ELi4ELi33ELi32ELi16EldPKPKdPdEviT6_lT7_lT5_lS6_lS7_lS5_lT8_i.has_indirect_call, 0
	.section	.AMDGPU.csdata,"",@progbits
; Kernel info:
; codeLenInByte = 8372
; TotalNumSgprs: 32
; NumVgprs: 160
; ScratchSize: 0
; MemoryBound: 0
; FloatMode: 240
; IeeeMode: 1
; LDSByteSize: 9600 bytes/workgroup (compile time only)
; SGPRBlocks: 0
; VGPRBlocks: 19
; NumSGPRsForWavesPerEU: 32
; NumVGPRsForWavesPerEU: 160
; Occupancy: 6
; WaveLimiterHint : 1
; COMPUTE_PGM_RSRC2:SCRATCH_EN: 0
; COMPUTE_PGM_RSRC2:USER_SGPR: 6
; COMPUTE_PGM_RSRC2:TRAP_HANDLER: 0
; COMPUTE_PGM_RSRC2:TGID_X_EN: 1
; COMPUTE_PGM_RSRC2:TGID_Y_EN: 0
; COMPUTE_PGM_RSRC2:TGID_Z_EN: 1
; COMPUTE_PGM_RSRC2:TIDIG_COMP_CNT: 1
	.section	.text._ZL36rocblas_hemvn_kernel_upper_block_sumILi64EldPKPddEviT1_lS3_lT2_lT0_lPT3_i,"axG",@progbits,_ZL36rocblas_hemvn_kernel_upper_block_sumILi64EldPKPddEviT1_lS3_lT2_lT0_lPT3_i,comdat
	.globl	_ZL36rocblas_hemvn_kernel_upper_block_sumILi64EldPKPddEviT1_lS3_lT2_lT0_lPT3_i ; -- Begin function _ZL36rocblas_hemvn_kernel_upper_block_sumILi64EldPKPddEviT1_lS3_lT2_lT0_lPT3_i
	.p2align	8
	.type	_ZL36rocblas_hemvn_kernel_upper_block_sumILi64EldPKPddEviT1_lS3_lT2_lT0_lPT3_i,@function
_ZL36rocblas_hemvn_kernel_upper_block_sumILi64EldPKPddEviT1_lS3_lT2_lT0_lPT3_i: ; @_ZL36rocblas_hemvn_kernel_upper_block_sumILi64EldPKPddEviT1_lS3_lT2_lT0_lPT3_i
; %bb.0:
	s_clause 0x1
	s_load_dwordx2 s[10:11], s[4:5], 0x8
	s_load_dwordx2 s[12:13], s[4:5], 0x18
	s_waitcnt lgkmcnt(0)
	v_cmp_eq_f64_e64 s0, s[10:11], 0
	v_cmp_eq_f64_e64 s1, s[12:13], 1.0
	s_and_b32 s0, s0, s1
	s_and_b32 vcc_lo, exec_lo, s0
	s_cbranch_vccnz .LBB165_19
; %bb.1:
	s_clause 0x1
	s_load_dwordx2 s[16:17], s[4:5], 0x28
	s_load_dword s14, s[4:5], 0x0
	s_mov_b32 s8, s7
	s_mov_b32 s9, 0
	s_load_dwordx4 s[0:3], s[4:5], 0x30
	s_lshl_b64 s[18:19], s[8:9], 3
	v_cmp_neq_f64_e64 s15, s[10:11], 0
	v_lshl_or_b32 v0, s6, 6, v0
	s_waitcnt lgkmcnt(0)
	s_add_u32 s16, s16, s18
	s_addc_u32 s17, s17, s19
	s_load_dwordx2 s[16:17], s[16:17], 0x0
	s_lshl_b64 s[0:1], s[0:1], 3
	s_waitcnt lgkmcnt(0)
	s_add_u32 s7, s16, s0
	v_cmp_gt_i32_e64 s0, s14, v0
	s_addc_u32 s16, s17, s1
	s_and_b32 vcc_lo, exec_lo, s15
	s_cbranch_vccnz .LBB165_6
; %bb.2:
	s_mov_b32 s1, 0
                                        ; implicit-def: $vgpr3_vgpr4
                                        ; implicit-def: $vgpr1_vgpr2
	s_and_saveexec_b32 s15, s0
	s_cbranch_execz .LBB165_7
; %bb.3:
	v_cmp_eq_f64_e64 s0, s[12:13], 0
	v_ashrrev_i32_e32 v1, 31, v0
	v_mul_lo_u32 v5, s3, v0
	v_mov_b32_e32 v3, 0
	v_mov_b32_e32 v4, 0
	v_mul_lo_u32 v6, s2, v1
	v_mad_u64_u32 v[1:2], null, s2, v0, 0
	v_add3_u32 v2, v2, v6, v5
	s_and_b32 vcc_lo, exec_lo, s0
	s_cbranch_vccnz .LBB165_5
; %bb.4:
	v_lshlrev_b64 v[3:4], 3, v[1:2]
	v_add_co_u32 v3, vcc_lo, s7, v3
	v_add_co_ci_u32_e64 v4, null, s16, v4, vcc_lo
	flat_load_dwordx2 v[3:4], v[3:4]
	s_waitcnt vmcnt(0) lgkmcnt(0)
	v_mul_f64 v[3:4], s[12:13], v[3:4]
.LBB165_5:
	s_mov_b32 s9, exec_lo
	s_or_b32 exec_lo, exec_lo, s15
	s_and_b32 vcc_lo, exec_lo, s1
	s_cbranch_vccnz .LBB165_8
	s_branch .LBB165_17
.LBB165_6:
                                        ; implicit-def: $vgpr3_vgpr4
                                        ; implicit-def: $vgpr1_vgpr2
	s_cbranch_execnz .LBB165_8
	s_branch .LBB165_17
.LBB165_7:
	s_or_b32 exec_lo, exec_lo, s15
	s_and_b32 vcc_lo, exec_lo, s1
	s_cbranch_vccz .LBB165_17
.LBB165_8:
	s_mov_b32 s17, exec_lo
                                        ; implicit-def: $vgpr3_vgpr4
                                        ; implicit-def: $vgpr1_vgpr2
	v_cmpx_gt_i32_e64 s14, v0
	s_cbranch_execz .LBB165_16
; %bb.9:
	v_mov_b32_e32 v5, 0
	v_mov_b32_e32 v6, 0
	v_ashrrev_i32_e32 v1, 31, v0
	s_cmp_lt_i32 s6, 0
	s_cbranch_scc1 .LBB165_12
; %bb.10:
	s_clause 0x1
	s_load_dword s18, s[4:5], 0x58
	s_load_dwordx2 s[0:1], s[4:5], 0x48
	s_ashr_i32 s15, s14, 31
	s_mul_hi_u32 s4, s14, s8
	s_mul_i32 s5, s15, s8
	v_lshlrev_b64 v[2:3], 3, v[0:1]
	s_add_i32 s4, s4, s5
	s_mul_i32 s5, s14, s8
	v_mov_b32_e32 v5, 0
	v_mov_b32_e32 v6, 0
	s_waitcnt lgkmcnt(0)
	s_mul_i32 s8, s4, s18
	s_mul_hi_u32 s19, s5, s18
	s_mul_i32 s4, s5, s18
	s_add_i32 s5, s19, s8
	s_lshl_b64 s[4:5], s[4:5], 3
	s_add_u32 s0, s0, s4
	s_addc_u32 s1, s1, s5
	v_add_co_u32 v2, vcc_lo, s0, v2
	v_add_co_ci_u32_e64 v3, null, s1, v3, vcc_lo
	s_add_i32 s4, s6, 1
	s_lshl_b64 s[0:1], s[14:15], 3
.LBB165_11:                             ; =>This Inner Loop Header: Depth=1
	global_load_dwordx2 v[7:8], v[2:3], off
	v_add_co_u32 v2, vcc_lo, v2, s0
	v_add_co_ci_u32_e64 v3, null, s1, v3, vcc_lo
	s_add_i32 s4, s4, -1
	s_cmp_eq_u32 s4, 0
	s_waitcnt vmcnt(0)
	v_add_f64 v[5:6], v[5:6], v[7:8]
	s_cbranch_scc0 .LBB165_11
.LBB165_12:
	v_cmp_eq_f64_e64 s0, s[12:13], 0
	v_mul_lo_u32 v7, s3, v0
	v_mul_lo_u32 v8, s2, v1
	s_and_b32 vcc_lo, exec_lo, s0
	s_cbranch_vccz .LBB165_20
; %bb.13:
	v_mad_u64_u32 v[1:2], null, s2, v0, 0
	v_mul_f64 v[3:4], s[10:11], v[5:6]
	v_add3_u32 v2, v2, v8, v7
	s_cbranch_execnz .LBB165_15
.LBB165_14:
	v_mad_u64_u32 v[1:2], null, s2, v0, 0
	v_add3_u32 v2, v2, v8, v7
	v_lshlrev_b64 v[3:4], 3, v[1:2]
	v_add_co_u32 v3, vcc_lo, s7, v3
	v_add_co_ci_u32_e64 v4, null, s16, v4, vcc_lo
	flat_load_dwordx2 v[3:4], v[3:4]
	s_waitcnt vmcnt(0) lgkmcnt(0)
	v_mul_f64 v[3:4], s[12:13], v[3:4]
	v_fma_f64 v[3:4], s[10:11], v[5:6], v[3:4]
.LBB165_15:
	s_or_b32 s9, s9, exec_lo
.LBB165_16:
	s_or_b32 exec_lo, exec_lo, s17
.LBB165_17:
	s_and_saveexec_b32 s0, s9
	s_cbranch_execz .LBB165_19
; %bb.18:
	v_lshlrev_b64 v[0:1], 3, v[1:2]
	v_add_co_u32 v0, vcc_lo, s7, v0
	v_add_co_ci_u32_e64 v1, null, s16, v1, vcc_lo
	flat_store_dwordx2 v[0:1], v[3:4]
.LBB165_19:
	s_endpgm
.LBB165_20:
                                        ; implicit-def: $vgpr3_vgpr4
                                        ; implicit-def: $vgpr1_vgpr2
	s_branch .LBB165_14
	.section	.rodata,"a",@progbits
	.p2align	6, 0x0
	.amdhsa_kernel _ZL36rocblas_hemvn_kernel_upper_block_sumILi64EldPKPddEviT1_lS3_lT2_lT0_lPT3_i
		.amdhsa_group_segment_fixed_size 0
		.amdhsa_private_segment_fixed_size 0
		.amdhsa_kernarg_size 344
		.amdhsa_user_sgpr_count 6
		.amdhsa_user_sgpr_private_segment_buffer 1
		.amdhsa_user_sgpr_dispatch_ptr 0
		.amdhsa_user_sgpr_queue_ptr 0
		.amdhsa_user_sgpr_kernarg_segment_ptr 1
		.amdhsa_user_sgpr_dispatch_id 0
		.amdhsa_user_sgpr_flat_scratch_init 0
		.amdhsa_user_sgpr_private_segment_size 0
		.amdhsa_wavefront_size32 1
		.amdhsa_uses_dynamic_stack 0
		.amdhsa_system_sgpr_private_segment_wavefront_offset 0
		.amdhsa_system_sgpr_workgroup_id_x 1
		.amdhsa_system_sgpr_workgroup_id_y 0
		.amdhsa_system_sgpr_workgroup_id_z 1
		.amdhsa_system_sgpr_workgroup_info 0
		.amdhsa_system_vgpr_workitem_id 0
		.amdhsa_next_free_vgpr 9
		.amdhsa_next_free_sgpr 20
		.amdhsa_reserve_vcc 1
		.amdhsa_reserve_flat_scratch 0
		.amdhsa_float_round_mode_32 0
		.amdhsa_float_round_mode_16_64 0
		.amdhsa_float_denorm_mode_32 3
		.amdhsa_float_denorm_mode_16_64 3
		.amdhsa_dx10_clamp 1
		.amdhsa_ieee_mode 1
		.amdhsa_fp16_overflow 0
		.amdhsa_workgroup_processor_mode 1
		.amdhsa_memory_ordered 1
		.amdhsa_forward_progress 1
		.amdhsa_shared_vgpr_count 0
		.amdhsa_exception_fp_ieee_invalid_op 0
		.amdhsa_exception_fp_denorm_src 0
		.amdhsa_exception_fp_ieee_div_zero 0
		.amdhsa_exception_fp_ieee_overflow 0
		.amdhsa_exception_fp_ieee_underflow 0
		.amdhsa_exception_fp_ieee_inexact 0
		.amdhsa_exception_int_div_zero 0
	.end_amdhsa_kernel
	.section	.text._ZL36rocblas_hemvn_kernel_upper_block_sumILi64EldPKPddEviT1_lS3_lT2_lT0_lPT3_i,"axG",@progbits,_ZL36rocblas_hemvn_kernel_upper_block_sumILi64EldPKPddEviT1_lS3_lT2_lT0_lPT3_i,comdat
.Lfunc_end165:
	.size	_ZL36rocblas_hemvn_kernel_upper_block_sumILi64EldPKPddEviT1_lS3_lT2_lT0_lPT3_i, .Lfunc_end165-_ZL36rocblas_hemvn_kernel_upper_block_sumILi64EldPKPddEviT1_lS3_lT2_lT0_lPT3_i
                                        ; -- End function
	.set _ZL36rocblas_hemvn_kernel_upper_block_sumILi64EldPKPddEviT1_lS3_lT2_lT0_lPT3_i.num_vgpr, 9
	.set _ZL36rocblas_hemvn_kernel_upper_block_sumILi64EldPKPddEviT1_lS3_lT2_lT0_lPT3_i.num_agpr, 0
	.set _ZL36rocblas_hemvn_kernel_upper_block_sumILi64EldPKPddEviT1_lS3_lT2_lT0_lPT3_i.numbered_sgpr, 20
	.set _ZL36rocblas_hemvn_kernel_upper_block_sumILi64EldPKPddEviT1_lS3_lT2_lT0_lPT3_i.num_named_barrier, 0
	.set _ZL36rocblas_hemvn_kernel_upper_block_sumILi64EldPKPddEviT1_lS3_lT2_lT0_lPT3_i.private_seg_size, 0
	.set _ZL36rocblas_hemvn_kernel_upper_block_sumILi64EldPKPddEviT1_lS3_lT2_lT0_lPT3_i.uses_vcc, 1
	.set _ZL36rocblas_hemvn_kernel_upper_block_sumILi64EldPKPddEviT1_lS3_lT2_lT0_lPT3_i.uses_flat_scratch, 0
	.set _ZL36rocblas_hemvn_kernel_upper_block_sumILi64EldPKPddEviT1_lS3_lT2_lT0_lPT3_i.has_dyn_sized_stack, 0
	.set _ZL36rocblas_hemvn_kernel_upper_block_sumILi64EldPKPddEviT1_lS3_lT2_lT0_lPT3_i.has_recursion, 0
	.set _ZL36rocblas_hemvn_kernel_upper_block_sumILi64EldPKPddEviT1_lS3_lT2_lT0_lPT3_i.has_indirect_call, 0
	.section	.AMDGPU.csdata,"",@progbits
; Kernel info:
; codeLenInByte = 696
; TotalNumSgprs: 22
; NumVgprs: 9
; ScratchSize: 0
; MemoryBound: 0
; FloatMode: 240
; IeeeMode: 1
; LDSByteSize: 0 bytes/workgroup (compile time only)
; SGPRBlocks: 0
; VGPRBlocks: 1
; NumSGPRsForWavesPerEU: 22
; NumVGPRsForWavesPerEU: 9
; Occupancy: 16
; WaveLimiterHint : 1
; COMPUTE_PGM_RSRC2:SCRATCH_EN: 0
; COMPUTE_PGM_RSRC2:USER_SGPR: 6
; COMPUTE_PGM_RSRC2:TRAP_HANDLER: 0
; COMPUTE_PGM_RSRC2:TGID_X_EN: 1
; COMPUTE_PGM_RSRC2:TGID_Y_EN: 0
; COMPUTE_PGM_RSRC2:TGID_Z_EN: 1
; COMPUTE_PGM_RSRC2:TIDIG_COMP_CNT: 0
	.section	.text._ZL26rocblas_hemvn_kernel_upperILb0ELi64ELi4ELi33ELi32ELi16EidPKPKdPdEviT6_lT7_lT5_lS6_lS7_lS5_lT8_i,"axG",@progbits,_ZL26rocblas_hemvn_kernel_upperILb0ELi64ELi4ELi33ELi32ELi16EidPKPKdPdEviT6_lT7_lT5_lS6_lS7_lS5_lT8_i,comdat
	.globl	_ZL26rocblas_hemvn_kernel_upperILb0ELi64ELi4ELi33ELi32ELi16EidPKPKdPdEviT6_lT7_lT5_lS6_lS7_lS5_lT8_i ; -- Begin function _ZL26rocblas_hemvn_kernel_upperILb0ELi64ELi4ELi33ELi32ELi16EidPKPKdPdEviT6_lT7_lT5_lS6_lS7_lS5_lT8_i
	.p2align	8
	.type	_ZL26rocblas_hemvn_kernel_upperILb0ELi64ELi4ELi33ELi32ELi16EidPKPKdPdEviT6_lT7_lT5_lS6_lS7_lS5_lT8_i,@function
_ZL26rocblas_hemvn_kernel_upperILb0ELi64ELi4ELi33ELi32ELi16EidPKPKdPdEviT6_lT7_lT5_lS6_lS7_lS5_lT8_i: ; @_ZL26rocblas_hemvn_kernel_upperILb0ELi64ELi4ELi33ELi32ELi16EidPKPKdPdEviT6_lT7_lT5_lS6_lS7_lS5_lT8_i
; %bb.0:
	s_load_dwordx2 s[0:1], s[4:5], 0x84
	s_add_u32 s8, s4, 0x78
	s_addc_u32 s9, s5, 0
	s_waitcnt lgkmcnt(0)
	s_lshr_b32 s2, s0, 16
	s_and_b32 s0, s0, 0xffff
	s_and_b32 s1, s1, 0xffff
	s_mul_i32 s0, s2, s0
	s_mul_i32 s0, s0, s1
	s_cmpk_lg_i32 s0, 0x100
	s_cbranch_scc1 .LBB166_4
; %bb.1:
	s_clause 0x1
	s_load_dwordx2 s[0:1], s[4:5], 0x8
	s_load_dwordx2 s[2:3], s[4:5], 0x58
	s_waitcnt lgkmcnt(0)
	v_cmp_eq_f64_e64 s0, s[0:1], 0
	v_cmp_eq_f64_e64 s1, s[2:3], 1.0
	s_and_b32 s1, s0, s1
	s_and_b32 vcc_lo, exec_lo, s1
	s_cbranch_vccnz .LBB166_4
; %bb.2:
	s_mov_b32 s14, s7
	s_and_b32 vcc_lo, exec_lo, s0
	s_cbranch_vccz .LBB166_5
; %bb.3:
	s_cbranch_execz .LBB166_6
.LBB166_4:
	s_endpgm
.LBB166_5:
.LBB166_6:
	s_clause 0x1
	s_load_dwordx4 s[0:3], s[4:5], 0x18
	s_load_dwordx4 s[16:19], s[4:5], 0x38
	s_mov_b32 s15, 0
	s_lshl_b64 s[10:11], s[14:15], 3
	s_load_dword s15, s[4:5], 0x48
	s_waitcnt lgkmcnt(0)
	s_add_u32 s0, s0, s10
	s_addc_u32 s1, s1, s11
	s_add_u32 s10, s16, s10
	s_addc_u32 s11, s17, s11
	s_lshl_b64 s[12:13], s[18:19], 3
	s_load_dwordx2 s[10:11], s[10:11], 0x0
	s_load_dword s24, s[4:5], 0x0
	s_load_dword s26, s[8:9], 0x0
	s_load_dwordx2 s[8:9], s[0:1], 0x0
	s_waitcnt lgkmcnt(0)
	s_add_u32 s7, s10, s12
	s_addc_u32 s10, s11, s13
	s_lshl_b32 s16, s6, 6
	s_ashr_i32 s25, s24, 31
	v_add_nc_u32_e32 v58, s16, v0
	s_lshr_b32 s0, s25, 26
	s_add_i32 s1, s26, -1
	s_add_i32 s0, s24, s0
	v_mul_lo_u32 v2, s15, v58
	s_andn2_b32 s0, s0, 63
	s_sub_i32 s27, s24, s0
	v_cmp_eq_u32_e64 s0, 0, v1
	s_cmp_eq_u32 s6, s1
	v_ashrrev_i32_e32 v3, 31, v2
	v_lshlrev_b64 v[2:3], 3, v[2:3]
	v_add_co_u32 v16, vcc_lo, s7, v2
	v_add_co_ci_u32_e64 v17, null, s10, v3, vcc_lo
	s_cselect_b32 s10, s27, 0
	s_and_saveexec_b32 s1, s0
	s_cbranch_execz .LBB166_10
; %bb.7:
	v_cmp_gt_i32_e32 vcc_lo, s10, v0
	s_cmp_eq_u32 s10, 0
	v_mov_b32_e32 v2, 0
	v_mov_b32_e32 v3, 0
	s_cselect_b32 s7, -1, 0
	s_or_b32 s11, s7, vcc_lo
	s_and_saveexec_b32 s7, s11
	s_cbranch_execz .LBB166_9
; %bb.8:
	flat_load_dwordx2 v[2:3], v[16:17]
.LBB166_9:
	s_or_b32 exec_lo, exec_lo, s7
	v_lshlrev_b32_e32 v4, 3, v0
	s_waitcnt vmcnt(0) lgkmcnt(0)
	ds_write_b64 v4, v[2:3] offset:9088
.LBB166_10:
	s_or_b32 exec_lo, exec_lo, s1
	s_load_dword s12, s[4:5], 0x28
	v_lshl_add_u32 v24, v1, 6, v0
	v_and_b32_e32 v2, 31, v0
	s_lshl_b64 s[2:3], s[2:3], 3
	s_add_u32 s1, s8, s2
	v_lshrrev_b32_e32 v13, 5, v24
	s_addc_u32 s7, s9, s3
	s_ashr_i32 s17, s16, 31
	v_lshlrev_b32_e32 v20, 3, v2
	s_lshl_b64 s[2:3], s[16:17], 3
	s_add_u32 s8, s1, s2
	s_addc_u32 s7, s7, s3
	v_cmp_gt_i32_e64 s1, s10, v2
	s_waitcnt lgkmcnt(0)
	v_mad_u64_u32 v[3:4], null, s12, v13, v[2:3]
	s_mul_i32 s2, s12, s16
	s_ashr_i32 s3, s2, 31
	s_lshl_b64 s[2:3], s[2:3], 3
	s_cmp_eq_u32 s10, 0
	v_ashrrev_i32_e32 v4, 31, v3
	s_cselect_b32 s28, -1, 0
	s_cmp_lg_u32 s10, 0
	s_cselect_b32 s17, -1, 0
	v_lshlrev_b64 v[14:15], 3, v[3:4]
	v_add_co_u32 v3, vcc_lo, s8, v14
	v_add_co_ci_u32_e64 v4, null, s7, v15, vcc_lo
	s_and_b32 vcc_lo, exec_lo, s17
	v_add_co_u32 v5, s2, v3, s2
	v_add_co_ci_u32_e64 v6, null, s3, v4, s2
	s_cbranch_vccz .LBB166_20
; %bb.11:
	v_sub_co_u32 v3, vcc_lo, v5, v20
	s_ashr_i32 s11, s10, 31
	v_subrev_co_ci_u32_e64 v4, null, 0, v6, vcc_lo
	s_lshl_b64 s[2:3], s[10:11], 3
	v_mov_b32_e32 v9, 0
	v_add_co_u32 v3, vcc_lo, v3, s2
	v_add_co_ci_u32_e64 v4, null, s3, v4, vcc_lo
	v_mov_b32_e32 v7, 0
	v_add_co_u32 v3, vcc_lo, v3, -8
	v_add_co_ci_u32_e64 v4, null, -1, v4, vcc_lo
	v_mov_b32_e32 v10, 0
	v_cndmask_b32_e64 v3, v3, v5, s1
	v_mov_b32_e32 v8, 0
	v_cndmask_b32_e64 v4, v4, v6, s1
	s_mov_b32 s7, exec_lo
	v_cmpx_gt_i32_e64 s10, v13
	s_cbranch_execz .LBB166_13
; %bb.12:
	flat_load_dwordx2 v[7:8], v[3:4]
.LBB166_13:
	s_or_b32 exec_lo, exec_lo, s7
	v_add_nc_u32_e32 v12, 8, v13
	v_mul_u32_u24_e32 v11, 0x108, v13
	v_mad_u32_u24 v18, 0x108, v13, v20
	s_mov_b32 s7, exec_lo
	s_waitcnt vmcnt(0) lgkmcnt(0)
	ds_write_b64 v18, v[7:8]
	v_cmpx_gt_i32_e64 s10, v12
	s_cbranch_execz .LBB166_15
; %bb.14:
	s_lshl_b32 s8, s12, 3
	s_ashr_i32 s9, s8, 31
	s_lshl_b64 s[8:9], s[8:9], 3
	v_add_co_u32 v7, vcc_lo, v3, s8
	v_add_co_ci_u32_e64 v8, null, s9, v4, vcc_lo
	flat_load_dwordx2 v[9:10], v[7:8]
.LBB166_15:
	s_or_b32 exec_lo, exec_lo, s7
	v_add_nc_u32_e32 v18, v11, v20
	v_mov_b32_e32 v7, 0
	v_mov_b32_e32 v11, 0
	v_add_nc_u32_e32 v19, 16, v13
	v_mov_b32_e32 v8, 0
	v_mov_b32_e32 v12, 0
	s_mov_b32 s7, exec_lo
	s_waitcnt vmcnt(0) lgkmcnt(0)
	ds_write_b64 v18, v[9:10] offset:2112
	v_cmpx_gt_i32_e64 s10, v19
	s_cbranch_execz .LBB166_17
; %bb.16:
	s_lshl_b32 s8, s12, 4
	s_ashr_i32 s9, s8, 31
	s_lshl_b64 s[8:9], s[8:9], 3
	v_add_co_u32 v9, vcc_lo, v3, s8
	v_add_co_ci_u32_e64 v10, null, s9, v4, vcc_lo
	flat_load_dwordx2 v[11:12], v[9:10]
.LBB166_17:
	s_or_b32 exec_lo, exec_lo, s7
	v_add_nc_u32_e32 v9, 24, v13
	s_mov_b32 s7, exec_lo
	s_waitcnt vmcnt(0) lgkmcnt(0)
	ds_write_b64 v18, v[11:12] offset:4224
	v_cmpx_gt_i32_e64 s10, v9
	s_cbranch_execz .LBB166_19
; %bb.18:
	s_mul_i32 s8, s12, 24
	s_ashr_i32 s9, s8, 31
	s_lshl_b64 s[8:9], s[8:9], 3
	v_add_co_u32 v7, vcc_lo, v3, s8
	v_add_co_ci_u32_e64 v8, null, s9, v4, vcc_lo
	flat_load_dwordx2 v[7:8], v[7:8]
.LBB166_19:
	s_or_b32 exec_lo, exec_lo, s7
	v_add_co_u32 v3, vcc_lo, v3, v20
	v_add_co_ci_u32_e64 v4, null, 0, v4, vcc_lo
	s_waitcnt vmcnt(0) lgkmcnt(0)
	ds_write_b64 v18, v[7:8] offset:6336
	v_sub_co_u32 v3, vcc_lo, v3, s2
	v_subrev_co_ci_u32_e64 v4, null, s3, v4, vcc_lo
	v_add_co_u32 v3, vcc_lo, v3, 8
	v_add_co_ci_u32_e64 v4, null, 0, v4, vcc_lo
	v_cndmask_b32_e64 v3, v3, v5, s1
	v_cndmask_b32_e64 v4, v4, v6, s1
	v_mul_u32_u24_e32 v22, 0x108, v13
	s_branch .LBB166_22
.LBB166_20:
                                        ; implicit-def: $vgpr3_vgpr4
	v_mul_u32_u24_e32 v22, 0x108, v13
	s_cbranch_execz .LBB166_22
; %bb.21:
	s_lshl_b32 s2, s12, 3
	s_ashr_i32 s13, s12, 31
	s_ashr_i32 s3, s2, 31
	v_lshl_add_u32 v21, v2, 3, v22
	s_lshl_b64 s[2:3], s[2:3], 3
	v_add_co_u32 v3, vcc_lo, v5, s2
	v_add_co_ci_u32_e64 v4, null, s3, v6, vcc_lo
	s_lshl_b64 s[2:3], s[12:13], 6
	v_add_co_u32 v7, vcc_lo, v3, s2
	v_add_co_ci_u32_e64 v8, null, s3, v4, vcc_lo
	v_add_co_u32 v9, vcc_lo, v7, s2
	v_add_co_ci_u32_e64 v10, null, s3, v8, vcc_lo
	s_clause 0x3
	flat_load_dwordx2 v[11:12], v[5:6]
	flat_load_dwordx2 v[18:19], v[3:4]
	flat_load_dwordx2 v[7:8], v[7:8]
	flat_load_dwordx2 v[9:10], v[9:10]
	v_mov_b32_e32 v3, v5
	v_mov_b32_e32 v4, v6
	s_waitcnt vmcnt(3) lgkmcnt(3)
	ds_write_b64 v21, v[11:12]
	s_waitcnt vmcnt(2) lgkmcnt(3)
	ds_write_b64 v21, v[18:19] offset:2112
	s_waitcnt vmcnt(1) lgkmcnt(3)
	ds_write_b64 v21, v[7:8] offset:4224
	;; [unrolled: 2-line block ×3, first 2 shown]
.LBB166_22:
	v_lshlrev_b32_e32 v23, 2, v13
	v_lshl_or_b32 v5, v2, 8, v20
	v_mad_u32_u24 v6, 0x420, v13, v20
	s_waitcnt lgkmcnt(0)
	s_barrier
	v_cmp_gt_u32_e64 s2, v23, v2
	v_lshl_add_u32 v7, v23, 3, v5
	buffer_gl0_inv
	s_and_saveexec_b32 s1, s2
	s_cbranch_execz .LBB166_24
; %bb.23:
	ds_read_b64 v[8:9], v6
	s_waitcnt lgkmcnt(0)
	ds_write_b64 v7, v[8:9]
.LBB166_24:
	s_or_b32 exec_lo, exec_lo, s1
	v_or_b32_e32 v28, 1, v23
	v_cmp_ge_u32_e64 s3, v23, v2
	v_mad_u32_u24 v5, 0x108, v28, v20
	s_and_saveexec_b32 s1, s3
	s_cbranch_execz .LBB166_26
; %bb.25:
	ds_read_b64 v[8:9], v5
	s_waitcnt lgkmcnt(0)
	ds_write_b64 v7, v[8:9] offset:8
.LBB166_26:
	s_or_b32 exec_lo, exec_lo, s1
	v_or_b32_e32 v8, 2, v23
	v_cmp_gt_u32_e64 s7, v8, v2
	s_and_saveexec_b32 s1, s7
	s_cbranch_execz .LBB166_28
; %bb.27:
	v_mad_u32_u24 v8, 0x108, v8, v20
	ds_read_b64 v[8:9], v8
	s_waitcnt lgkmcnt(0)
	ds_write_b64 v7, v[8:9] offset:16
.LBB166_28:
	s_or_b32 exec_lo, exec_lo, s1
	v_or_b32_e32 v9, 3, v23
	s_mov_b32 s1, exec_lo
	v_cmp_gt_u32_e64 s8, v9, v2
	v_mul_u32_u24_e32 v8, 0x108, v9
	v_cmpx_le_u32_e64 v9, v2
	s_xor_b32 s1, exec_lo, s1
; %bb.29:
	v_mul_u32_u24_e32 v8, 0x108, v9
                                        ; implicit-def: $vgpr9
                                        ; implicit-def: $vgpr7
; %bb.30:
	s_andn2_saveexec_b32 s1, s1
	s_cbranch_execz .LBB166_32
; %bb.31:
	v_mad_u32_u24 v9, 0x108, v9, v20
	ds_read_b64 v[9:10], v9
	s_waitcnt lgkmcnt(0)
	ds_write_b64 v7, v[9:10] offset:24
.LBB166_32:
	s_or_b32 exec_lo, exec_lo, s1
	v_lshlrev_b32_e32 v30, 3, v23
	s_waitcnt lgkmcnt(0)
	s_barrier
	buffer_gl0_inv
	ds_read_b64 v[6:7], v6
	ds_read_b128 v[9:12], v30 offset:9088
	v_add_nc_u32_e32 v21, v20, v8
	ds_read_b128 v[31:34], v30 offset:9104
	ds_read_b64 v[18:19], v21
	v_mov_b32_e32 v59, 0
	v_mov_b32_e32 v60, 0
	v_cmp_gt_u32_e64 s1, 32, v24
	s_waitcnt lgkmcnt(2)
	v_fma_f64 v[9:10], v[6:7], v[9:10], 0
	ds_read2_b64 v[5:8], v5 offset1:33
	s_waitcnt lgkmcnt(0)
	s_barrier
	buffer_gl0_inv
	v_fma_f64 v[5:6], v[5:6], v[11:12], v[9:10]
	v_fma_f64 v[5:6], v[7:8], v[31:32], v[5:6]
	v_mul_u32_u24_e32 v7, 33, v2
	v_lshlrev_b32_e32 v25, 3, v7
	v_lshl_add_u32 v26, v13, 3, v25
	v_fma_f64 v[5:6], v[18:19], v[33:34], v[5:6]
	ds_write_b64 v26, v[5:6]
	s_waitcnt lgkmcnt(0)
	s_barrier
	buffer_gl0_inv
	s_and_saveexec_b32 s9, s1
	s_cbranch_execz .LBB166_34
; %bb.33:
	ds_read2_b64 v[5:8], v25 offset1:1
	ds_read2_b64 v[9:12], v25 offset0:2 offset1:3
	s_waitcnt lgkmcnt(1)
	v_add_f64 v[5:6], v[5:6], v[7:8]
	s_waitcnt lgkmcnt(0)
	v_add_f64 v[5:6], v[5:6], v[9:10]
	v_add_f64 v[18:19], v[5:6], v[11:12]
	ds_read2_b64 v[5:8], v25 offset0:4 offset1:5
	ds_read2_b64 v[9:12], v25 offset0:6 offset1:7
	s_waitcnt lgkmcnt(1)
	v_add_f64 v[5:6], v[18:19], v[5:6]
	v_add_f64 v[5:6], v[5:6], v[7:8]
	s_waitcnt lgkmcnt(0)
	v_add_f64 v[5:6], v[5:6], v[9:10]
	v_add_f64 v[59:60], v[5:6], v[11:12]
.LBB166_34:
	s_or_b32 exec_lo, exec_lo, s9
	s_lshl_b32 s20, s12, 5
	s_ashr_i32 s21, s20, 31
	s_barrier
	s_lshl_b64 s[18:19], s[20:21], 3
	buffer_gl0_inv
	v_add_co_u32 v5, vcc_lo, v3, s18
	v_add_co_ci_u32_e64 v6, null, s19, v4, vcc_lo
	v_add_co_u32 v3, vcc_lo, 0x100, v5
	v_add_co_ci_u32_e64 v4, null, 0, v6, vcc_lo
	s_and_b32 vcc_lo, exec_lo, s17
	s_cbranch_vccz .LBB166_44
; %bb.35:
	v_sub_co_u32 v7, vcc_lo, v5, v20
	s_ashr_i32 s11, s10, 31
	v_subrev_co_ci_u32_e64 v8, null, 0, v6, vcc_lo
	s_lshl_b64 s[22:23], s[10:11], 3
	v_or_b32_e32 v9, 32, v2
	v_add_co_u32 v7, vcc_lo, v7, s22
	v_add_co_ci_u32_e64 v8, null, s23, v8, vcc_lo
	v_mov_b32_e32 v11, 0
	v_add_co_u32 v7, vcc_lo, v7, -8
	v_add_co_ci_u32_e64 v8, null, -1, v8, vcc_lo
	v_cmp_gt_i32_e32 vcc_lo, s10, v9
	v_mov_b32_e32 v9, 0
	v_mov_b32_e32 v12, 0
	;; [unrolled: 1-line block ×3, first 2 shown]
	s_sub_i32 s11, s10, 32
	v_cndmask_b32_e32 v8, v8, v4, vcc_lo
	v_cndmask_b32_e32 v7, v7, v3, vcc_lo
	s_mov_b32 s13, exec_lo
	v_cmpx_gt_i32_e64 s11, v13
	s_cbranch_execz .LBB166_37
; %bb.36:
	flat_load_dwordx2 v[9:10], v[7:8]
.LBB166_37:
	s_or_b32 exec_lo, exec_lo, s13
	v_add_nc_u32_e32 v18, 8, v13
	v_mad_u32_u24 v19, 0x108, v13, v20
	s_mov_b32 s13, exec_lo
	s_waitcnt vmcnt(0) lgkmcnt(0)
	ds_write_b64 v19, v[9:10]
	v_cmpx_gt_i32_e64 s11, v18
	s_cbranch_execz .LBB166_39
; %bb.38:
	s_lshl_b32 s30, s12, 3
	s_ashr_i32 s31, s30, 31
	s_lshl_b64 s[30:31], s[30:31], 3
	v_add_co_u32 v9, s9, v7, s30
	v_add_co_ci_u32_e64 v10, null, s31, v8, s9
	flat_load_dwordx2 v[11:12], v[9:10]
.LBB166_39:
	s_or_b32 exec_lo, exec_lo, s13
	v_mov_b32_e32 v9, 0
	v_mov_b32_e32 v18, 0
	v_add_nc_u32_e32 v29, 16, v13
	v_add_nc_u32_e32 v27, v22, v20
	v_mov_b32_e32 v10, 0
	v_mov_b32_e32 v19, 0
	s_mov_b32 s13, exec_lo
	s_waitcnt vmcnt(0) lgkmcnt(0)
	ds_write_b64 v27, v[11:12] offset:2112
	v_cmpx_gt_i32_e64 s11, v29
	s_cbranch_execz .LBB166_41
; %bb.40:
	s_lshl_b32 s30, s12, 4
	s_ashr_i32 s31, s30, 31
	s_lshl_b64 s[30:31], s[30:31], 3
	v_add_co_u32 v11, s9, v7, s30
	v_add_co_ci_u32_e64 v12, null, s31, v8, s9
	flat_load_dwordx2 v[18:19], v[11:12]
.LBB166_41:
	s_or_b32 exec_lo, exec_lo, s13
	v_add_nc_u32_e32 v11, 24, v13
	s_waitcnt vmcnt(0) lgkmcnt(0)
	ds_write_b64 v27, v[18:19] offset:4224
	v_cmp_gt_i32_e64 s9, s11, v11
	s_and_saveexec_b32 s11, s9
	s_cbranch_execz .LBB166_43
; %bb.42:
	s_mul_i32 s30, s12, 24
	s_ashr_i32 s31, s30, 31
	s_lshl_b64 s[30:31], s[30:31], 3
	v_add_co_u32 v9, s9, v7, s30
	v_add_co_ci_u32_e64 v10, null, s31, v8, s9
	flat_load_dwordx2 v[9:10], v[9:10]
.LBB166_43:
	s_or_b32 exec_lo, exec_lo, s11
	v_add_co_u32 v7, s9, v7, v20
	v_add_co_ci_u32_e64 v8, null, 0, v8, s9
	s_waitcnt vmcnt(0) lgkmcnt(0)
	ds_write_b64 v27, v[9:10] offset:6336
	v_sub_co_u32 v7, s9, v7, s22
	v_subrev_co_ci_u32_e64 v8, null, s23, v8, s9
	v_add_co_u32 v7, s9, 0x108, v7
	v_add_co_ci_u32_e64 v8, null, 0, v8, s9
	v_cndmask_b32_e32 v7, v7, v3, vcc_lo
	v_cndmask_b32_e32 v8, v8, v4, vcc_lo
	v_mul_u32_u24_e32 v9, 0x420, v13
	v_mad_u32_u24 v27, 0x108, v13, v20
	s_branch .LBB166_46
.LBB166_44:
                                        ; implicit-def: $vgpr7_vgpr8
	v_mul_u32_u24_e32 v9, 0x420, v13
	v_mad_u32_u24 v27, 0x108, v13, v20
	s_cbranch_execz .LBB166_46
; %bb.45:
	s_lshl_b32 s22, s12, 3
	s_ashr_i32 s13, s12, 31
	s_ashr_i32 s23, s22, 31
	s_lshl_b64 s[22:23], s[22:23], 3
	v_add_co_u32 v7, vcc_lo, v5, s22
	v_add_co_ci_u32_e64 v8, null, s23, v6, vcc_lo
	s_lshl_b64 s[22:23], s[12:13], 6
	v_add_co_u32 v10, vcc_lo, v7, s22
	v_add_co_ci_u32_e64 v11, null, s23, v8, vcc_lo
	v_add_co_u32 v18, vcc_lo, v10, s22
	v_add_co_ci_u32_e64 v19, null, s23, v11, vcc_lo
	s_clause 0x3
	flat_load_dwordx2 v[5:6], v[5:6] offset:256
	flat_load_dwordx2 v[31:32], v[7:8] offset:256
	;; [unrolled: 1-line block ×4, first 2 shown]
	v_mov_b32_e32 v8, v4
	v_mov_b32_e32 v7, v3
	s_waitcnt vmcnt(3) lgkmcnt(3)
	ds_write_b64 v27, v[5:6]
	s_waitcnt vmcnt(2) lgkmcnt(3)
	ds_write_b64 v27, v[31:32] offset:2112
	s_waitcnt vmcnt(1) lgkmcnt(3)
	ds_write_b64 v27, v[10:11] offset:4224
	;; [unrolled: 2-line block ×3, first 2 shown]
.LBB166_46:
	v_mul_u32_u24_e32 v4, 0x108, v28
	v_add_nc_u32_e32 v28, v20, v9
	v_lshl_add_u32 v3, v23, 3, v25
	s_waitcnt lgkmcnt(0)
	s_barrier
	buffer_gl0_inv
	s_and_saveexec_b32 s9, s2
	s_cbranch_execz .LBB166_50
; %bb.47:
	ds_read_b64 v[5:6], v28
	s_waitcnt lgkmcnt(0)
	ds_write_b64 v3, v[5:6]
	s_or_b32 exec_lo, exec_lo, s9
	v_add_nc_u32_e32 v29, v20, v4
	s_and_saveexec_b32 s2, s3
	s_cbranch_execnz .LBB166_51
.LBB166_48:
	s_or_b32 exec_lo, exec_lo, s2
	s_and_saveexec_b32 s2, s7
	s_cbranch_execz .LBB166_52
.LBB166_49:
	ds_read_b64 v[4:5], v29 offset:264
	s_waitcnt lgkmcnt(0)
	ds_write_b64 v3, v[4:5] offset:16
	s_or_b32 exec_lo, exec_lo, s2
	v_add_nc_u32_e32 v30, 0x2380, v30
	s_and_saveexec_b32 s2, s8
	s_cbranch_execnz .LBB166_53
	s_branch .LBB166_54
.LBB166_50:
	s_or_b32 exec_lo, exec_lo, s9
	v_add_nc_u32_e32 v29, v20, v4
	s_and_saveexec_b32 s2, s3
	s_cbranch_execz .LBB166_48
.LBB166_51:
	ds_read_b64 v[4:5], v29
	s_waitcnt lgkmcnt(0)
	ds_write_b64 v3, v[4:5] offset:8
	s_or_b32 exec_lo, exec_lo, s2
	s_and_saveexec_b32 s2, s7
	s_cbranch_execnz .LBB166_49
.LBB166_52:
	s_or_b32 exec_lo, exec_lo, s2
	v_add_nc_u32_e32 v30, 0x2380, v30
	s_and_saveexec_b32 s2, s8
	s_cbranch_execz .LBB166_54
.LBB166_53:
	ds_read_b64 v[4:5], v21
	s_waitcnt lgkmcnt(0)
	ds_write_b64 v3, v[4:5] offset:24
.LBB166_54:
	s_or_b32 exec_lo, exec_lo, s2
	s_waitcnt lgkmcnt(0)
	s_barrier
	buffer_gl0_inv
	ds_read_b64 v[18:19], v28
	ds_read_b128 v[3:6], v30 offset:256
	ds_read_b128 v[9:12], v30 offset:272
	ds_read_b64 v[35:36], v21
	ds_read2_b64 v[31:34], v29 offset1:33
	v_cmp_eq_u32_e64 s2, 1, v13
	s_waitcnt lgkmcnt(0)
	s_barrier
	buffer_gl0_inv
	v_fma_f64 v[3:4], v[18:19], v[3:4], 0
	v_fma_f64 v[3:4], v[31:32], v[5:6], v[3:4]
	;; [unrolled: 1-line block ×4, first 2 shown]
	ds_write_b64 v26, v[3:4]
	s_waitcnt lgkmcnt(0)
	s_barrier
	buffer_gl0_inv
	s_and_saveexec_b32 s3, s2
	s_cbranch_execz .LBB166_56
; %bb.55:
	ds_read2_b64 v[3:6], v25 offset1:1
	ds_read2_b64 v[9:12], v25 offset0:2 offset1:3
	s_waitcnt lgkmcnt(1)
	v_add_f64 v[3:4], v[3:4], v[5:6]
	s_waitcnt lgkmcnt(0)
	v_add_f64 v[3:4], v[3:4], v[9:10]
	v_add_f64 v[18:19], v[3:4], v[11:12]
	ds_read2_b64 v[3:6], v25 offset0:4 offset1:5
	ds_read2_b64 v[9:12], v25 offset0:6 offset1:7
	s_waitcnt lgkmcnt(1)
	v_add_f64 v[3:4], v[18:19], v[3:4]
	v_add_f64 v[3:4], v[3:4], v[5:6]
	s_waitcnt lgkmcnt(0)
	v_add_f64 v[3:4], v[3:4], v[9:10]
	v_add_f64 v[59:60], v[3:4], v[11:12]
.LBB166_56:
	s_or_b32 exec_lo, exec_lo, s3
	v_add_co_u32 v3, vcc_lo, 0xffffff00, v7
	v_add_co_ci_u32_e64 v4, null, -1, v8, vcc_lo
	s_and_b32 vcc_lo, exec_lo, s17
	s_barrier
	buffer_gl0_inv
	s_cbranch_vccz .LBB166_66
; %bb.57:
	v_sub_co_u32 v5, vcc_lo, v3, v20
	s_ashr_i32 s11, s10, 31
	v_subrev_co_ci_u32_e64 v6, null, 0, v4, vcc_lo
	s_lshl_b64 s[8:9], s[10:11], 3
	v_mov_b32_e32 v9, 0
	v_add_co_u32 v5, vcc_lo, v5, s8
	v_add_co_ci_u32_e64 v6, null, s9, v6, vcc_lo
	v_mov_b32_e32 v7, 0
	v_add_co_u32 v5, vcc_lo, v5, -8
	v_add_co_ci_u32_e64 v6, null, -1, v6, vcc_lo
	v_cmp_gt_i32_e32 vcc_lo, s10, v2
	v_mov_b32_e32 v10, 0
	v_mov_b32_e32 v8, 0
	s_sub_i32 s7, s10, 32
	s_mov_b32 s11, exec_lo
	v_cndmask_b32_e32 v6, v6, v4, vcc_lo
	v_cndmask_b32_e32 v5, v5, v3, vcc_lo
	v_cmpx_gt_i32_e64 s7, v13
	s_cbranch_execz .LBB166_59
; %bb.58:
	flat_load_dwordx2 v[7:8], v[5:6]
.LBB166_59:
	s_or_b32 exec_lo, exec_lo, s11
	v_add_nc_u32_e32 v2, 8, v13
	s_mov_b32 s11, exec_lo
	s_waitcnt vmcnt(0) lgkmcnt(0)
	ds_write_b64 v27, v[7:8]
	v_cmpx_gt_i32_e64 s7, v2
	s_cbranch_execz .LBB166_61
; %bb.60:
	s_lshl_b32 s22, s12, 3
	s_ashr_i32 s23, s22, 31
	s_lshl_b64 s[22:23], s[22:23], 3
	v_add_co_u32 v7, s3, v5, s22
	v_add_co_ci_u32_e64 v8, null, s23, v6, s3
	flat_load_dwordx2 v[9:10], v[7:8]
.LBB166_61:
	s_or_b32 exec_lo, exec_lo, s11
	v_mov_b32_e32 v7, 0
	v_mov_b32_e32 v11, 0
	v_add_nc_u32_e32 v23, 16, v13
	v_add_nc_u32_e32 v22, v22, v20
	v_mov_b32_e32 v8, 0
	v_mov_b32_e32 v12, 0
	s_mov_b32 s11, exec_lo
	s_waitcnt vmcnt(0) lgkmcnt(0)
	ds_write_b64 v22, v[9:10] offset:2112
	v_cmpx_gt_i32_e64 s7, v23
	s_cbranch_execz .LBB166_63
; %bb.62:
	s_lshl_b32 s22, s12, 4
	s_ashr_i32 s23, s22, 31
	s_lshl_b64 s[22:23], s[22:23], 3
	v_add_co_u32 v9, s3, v5, s22
	v_add_co_ci_u32_e64 v10, null, s23, v6, s3
	flat_load_dwordx2 v[11:12], v[9:10]
.LBB166_63:
	s_or_b32 exec_lo, exec_lo, s11
	v_add_nc_u32_e32 v9, 24, v13
	s_waitcnt vmcnt(0) lgkmcnt(0)
	ds_write_b64 v22, v[11:12] offset:4224
	v_cmp_gt_i32_e64 s3, s7, v9
	s_and_saveexec_b32 s7, s3
	s_cbranch_execz .LBB166_65
; %bb.64:
	s_mul_i32 s22, s12, 24
	s_ashr_i32 s23, s22, 31
	s_lshl_b64 s[22:23], s[22:23], 3
	v_add_co_u32 v7, s3, v5, s22
	v_add_co_ci_u32_e64 v8, null, s23, v6, s3
	flat_load_dwordx2 v[7:8], v[7:8]
.LBB166_65:
	s_or_b32 exec_lo, exec_lo, s7
	v_add_co_u32 v5, s3, v5, v20
	v_add_co_ci_u32_e64 v6, null, 0, v6, s3
	s_waitcnt vmcnt(0) lgkmcnt(0)
	ds_write_b64 v22, v[7:8] offset:6336
	v_sub_co_u32 v5, s3, v5, s8
	v_subrev_co_ci_u32_e64 v6, null, s9, v6, s3
	v_add_co_u32 v5, s3, v5, 8
	v_add_co_ci_u32_e64 v6, null, 0, v6, s3
	v_cndmask_b32_e32 v18, v5, v3, vcc_lo
	v_cndmask_b32_e32 v19, v6, v4, vcc_lo
	s_branch .LBB166_68
.LBB166_66:
                                        ; implicit-def: $vgpr18_vgpr19
                                        ; implicit-def: $vgpr2
                                        ; implicit-def: $vgpr23
                                        ; implicit-def: $vgpr9
	s_cbranch_execz .LBB166_68
; %bb.67:
	s_lshl_b32 s8, s12, 3
	s_ashr_i32 s13, s12, 31
	s_ashr_i32 s9, s8, 31
	v_mov_b32_e32 v19, v4
	s_lshl_b64 s[8:9], s[8:9], 3
	v_add_nc_u32_e32 v2, 8, v13
	v_add_co_u32 v5, vcc_lo, v3, s8
	v_add_co_ci_u32_e64 v6, null, s9, v4, vcc_lo
	s_lshl_b64 s[8:9], s[12:13], 6
	v_add_nc_u32_e32 v23, 16, v13
	v_add_co_u32 v7, vcc_lo, v5, s8
	v_add_co_ci_u32_e64 v8, null, s9, v6, vcc_lo
	v_mov_b32_e32 v18, v3
	v_add_co_u32 v9, vcc_lo, v7, s8
	v_add_co_ci_u32_e64 v10, null, s9, v8, vcc_lo
	s_clause 0x3
	flat_load_dwordx2 v[11:12], v[3:4]
	flat_load_dwordx2 v[5:6], v[5:6]
	;; [unrolled: 1-line block ×4, first 2 shown]
	v_add_nc_u32_e32 v9, 24, v13
	s_waitcnt vmcnt(3) lgkmcnt(3)
	ds_write_b64 v27, v[11:12]
	s_waitcnt vmcnt(2) lgkmcnt(3)
	ds_write_b64 v27, v[5:6] offset:2112
	s_waitcnt vmcnt(1) lgkmcnt(3)
	ds_write_b64 v27, v[7:8] offset:4224
	;; [unrolled: 2-line block ×3, first 2 shown]
.LBB166_68:
	v_lshlrev_b32_e32 v6, 3, v13
	v_lshlrev_b32_e32 v8, 3, v2
	s_waitcnt lgkmcnt(0)
	s_barrier
	buffer_gl0_inv
	v_add_nc_u32_e32 v3, v25, v6
	v_lshlrev_b32_e32 v10, 3, v23
	v_lshlrev_b32_e32 v12, 3, v9
	ds_read_b64 v[2:3], v3
	ds_read_b64 v[4:5], v8 offset:9088
	ds_read_b64 v[6:7], v6 offset:9088
	v_add_nc_u32_e32 v8, v25, v8
	ds_read_b64 v[20:21], v21
	v_add_nc_u32_e32 v13, v25, v10
	s_waitcnt lgkmcnt(1)
	v_fma_f64 v[2:3], v[2:3], v[6:7], 0
	ds_read_b64 v[6:7], v8
	ds_read_b64 v[8:9], v12 offset:9088
	ds_read_b64 v[10:11], v10 offset:9088
	s_waitcnt lgkmcnt(2)
	v_fma_f64 v[2:3], v[6:7], v[4:5], v[2:3]
	ds_read_b64 v[4:5], v13
	v_add_nc_u32_e32 v6, v25, v12
	s_waitcnt lgkmcnt(0)
	v_fma_f64 v[2:3], v[4:5], v[10:11], v[2:3]
	ds_read_b64 v[4:5], v6
	ds_read_b64 v[22:23], v28
	s_waitcnt lgkmcnt(1)
	v_fma_f64 v[27:28], v[4:5], v[8:9], v[2:3]
	ds_read_b128 v[10:13], v30 offset:256
	ds_read_b128 v[2:5], v30 offset:272
	ds_read2_b64 v[6:9], v29 offset1:33
	s_waitcnt lgkmcnt(0)
	s_barrier
	buffer_gl0_inv
	ds_write_b64 v26, v[27:28]
	s_waitcnt lgkmcnt(0)
	s_barrier
	buffer_gl0_inv
	s_and_saveexec_b32 s3, s2
	s_cbranch_execz .LBB166_70
; %bb.69:
	ds_read2_b64 v[27:30], v25 offset1:1
	ds_read2_b64 v[31:34], v25 offset0:2 offset1:3
	s_waitcnt lgkmcnt(1)
	v_add_f64 v[27:28], v[59:60], v[27:28]
	v_add_f64 v[27:28], v[27:28], v[29:30]
	s_waitcnt lgkmcnt(0)
	v_add_f64 v[27:28], v[27:28], v[31:32]
	v_add_f64 v[35:36], v[27:28], v[33:34]
	ds_read2_b64 v[27:30], v25 offset0:4 offset1:5
	ds_read2_b64 v[31:34], v25 offset0:6 offset1:7
	s_waitcnt lgkmcnt(1)
	v_add_f64 v[27:28], v[35:36], v[27:28]
	v_add_f64 v[27:28], v[27:28], v[29:30]
	s_waitcnt lgkmcnt(0)
	v_add_f64 v[27:28], v[27:28], v[31:32]
	v_add_f64 v[59:60], v[27:28], v[33:34]
.LBB166_70:
	s_or_b32 exec_lo, exec_lo, s3
	v_fma_f64 v[10:11], v[22:23], v[10:11], 0
	s_barrier
	buffer_gl0_inv
	v_fma_f64 v[6:7], v[6:7], v[12:13], v[10:11]
	v_fma_f64 v[2:3], v[8:9], v[2:3], v[6:7]
	;; [unrolled: 1-line block ×3, first 2 shown]
	ds_write_b64 v26, v[2:3]
	s_waitcnt lgkmcnt(0)
	s_barrier
	buffer_gl0_inv
	s_and_saveexec_b32 s2, s1
	s_cbranch_execz .LBB166_72
; %bb.71:
	ds_read2_b64 v[2:5], v25 offset1:1
	ds_read2_b64 v[6:9], v25 offset0:2 offset1:3
	s_waitcnt lgkmcnt(1)
	v_add_f64 v[2:3], v[59:60], v[2:3]
	v_add_f64 v[2:3], v[2:3], v[4:5]
	s_waitcnt lgkmcnt(0)
	v_add_f64 v[2:3], v[2:3], v[6:7]
	v_add_f64 v[10:11], v[2:3], v[8:9]
	ds_read2_b64 v[2:5], v25 offset0:4 offset1:5
	ds_read2_b64 v[6:9], v25 offset0:6 offset1:7
	s_waitcnt lgkmcnt(1)
	v_add_f64 v[2:3], v[10:11], v[2:3]
	v_add_f64 v[2:3], v[2:3], v[4:5]
	s_waitcnt lgkmcnt(0)
	v_add_f64 v[2:3], v[2:3], v[6:7]
	v_add_f64 v[59:60], v[2:3], v[8:9]
.LBB166_72:
	s_or_b32 exec_lo, exec_lo, s2
	s_load_dwordx2 s[2:3], s[4:5], 0x68
	s_mul_hi_u32 s1, s24, s14
	s_mul_i32 s25, s25, s14
	s_mul_i32 s4, s24, s14
	s_add_i32 s1, s1, s25
	s_mul_hi_u32 s5, s4, s26
	s_mul_i32 s1, s1, s26
	s_mul_i32 s4, s4, s26
	s_add_i32 s5, s5, s1
	s_mul_hi_i32 s9, s24, s6
	s_lshl_b64 s[4:5], s[4:5], 3
	s_mul_i32 s8, s24, s6
	v_lshlrev_b32_e32 v95, 3, v0
	s_waitcnt lgkmcnt(0)
	s_barrier
	buffer_gl0_inv
	s_add_u32 s1, s2, s4
	s_addc_u32 s4, s3, s5
	s_lshl_b64 s[2:3], s[8:9], 3
	s_add_u32 s7, s1, s2
	s_addc_u32 s11, s4, s3
	s_add_i32 s4, s6, 1
	s_cmp_ge_u32 s4, s26
	s_cbranch_scc1 .LBB166_129
; %bb.73:
	v_lshlrev_b32_e32 v96, 2, v1
	s_mul_i32 s2, s15, s16
	v_lshrrev_b32_e32 v8, 4, v24
	s_ashr_i32 s3, s2, 31
	v_and_b32_e32 v5, 48, v0
	v_mad_u64_u32 v[2:3], null, s12, v96, v[0:1]
	s_lshl_b64 s[2:3], s[2:3], 3
	s_ashr_i32 s13, s12, 31
	v_sub_co_u32 v97, vcc_lo, v16, s2
	s_lshl_b32 s2, s12, 4
	s_lshl_b32 s16, s12, 1
	s_mul_i32 s24, s12, 3
	s_mul_i32 s4, s15, s4
	v_subrev_co_ci_u32_e64 v98, null, s3, v17, vcc_lo
	v_and_b32_e32 v4, 15, v0
	v_add_co_u32 v99, vcc_lo, v18, s18
	v_ashrrev_i32_e32 v3, 31, v2
	v_lshlrev_b32_e32 v6, 5, v8
	v_lshlrev_b32_e32 v5, 3, v5
	v_or_b32_e32 v7, 0x78, v95
	s_lshl_b64 s[22:23], s[12:13], 4
	s_add_i32 s29, s26, -2
	s_lshl_b32 s30, s15, 6
	s_ashr_i32 s3, s2, 31
	s_ashr_i32 s17, s16, 31
	s_ashr_i32 s25, s24, 31
	s_lshl_b64 s[14:15], s[12:13], 3
	s_lshl_b32 s4, s4, 6
	v_add_co_ci_u32_e64 v100, null, s19, v19, vcc_lo
	v_sub_co_u32 v104, vcc_lo, 0, v14
	s_add_u32 s5, s22, s18
	v_sub_co_ci_u32_e64 v105, null, 0, v15, vcc_lo
	s_addc_u32 s31, s23, s19
	v_add_co_u32 v106, vcc_lo, v18, s5
	v_mad_u32_u24 v101, 0x218, v4, v6
	v_mad_u32_u24 v102, 0x218, v4, v5
	;; [unrolled: 1-line block ×3, first 2 shown]
	v_lshlrev_b64 v[4:5], 3, v[2:3]
	v_add_co_ci_u32_e64 v107, null, s31, v19, vcc_lo
	v_add_co_u32 v6, vcc_lo, s20, v2
	v_add_co_ci_u32_e64 v7, null, s21, v3, vcc_lo
	v_sub_co_u32 v108, vcc_lo, v4, v14
	v_sub_co_ci_u32_e64 v109, null, v5, v15, vcc_lo
	v_lshlrev_b64 v[4:5], 3, v[6:7]
	s_lshl_b64 s[8:9], s[2:3], 5
	s_add_u32 s37, s14, s18
	s_addc_u32 s38, s15, s19
	s_lshl_b64 s[16:17], s[16:17], 3
	s_mul_i32 s36, s12, 24
	s_add_u32 s39, s18, s16
	s_mul_hi_i32 s33, s12, 24
	v_add_co_u32 v6, vcc_lo, s36, v4
	s_addc_u32 s40, s19, s17
	s_lshl_b64 s[24:25], s[24:25], 3
	v_add_co_ci_u32_e64 v7, null, s33, v5, vcc_lo
	s_add_u32 s41, s18, s24
	s_addc_u32 s42, s19, s25
	s_lshl_b64 s[34:35], s[2:3], 3
	v_add_co_u32 v110, vcc_lo, v18, v6
	s_add_u32 s43, s5, s34
	s_addc_u32 s44, s31, s35
	v_add_co_ci_u32_e64 v111, null, v19, v7, vcc_lo
	v_add_co_u32 v112, vcc_lo, v18, s37
	s_add_u32 s20, s20, s2
	v_add_co_ci_u32_e64 v113, null, s38, v19, vcc_lo
	s_addc_u32 s21, s21, s3
	v_add_co_u32 v2, vcc_lo, s20, v2
	v_add_co_ci_u32_e64 v3, null, s21, v3, vcc_lo
	v_add_co_u32 v114, vcc_lo, v18, s39
	v_add_co_ci_u32_e64 v115, null, s40, v19, vcc_lo
	v_lshlrev_b64 v[2:3], 3, v[2:3]
	v_add_co_u32 v116, vcc_lo, v18, s41
	v_add_co_ci_u32_e64 v117, null, s42, v19, vcc_lo
	s_add_u32 s20, s37, s34
	v_add_co_u32 v2, vcc_lo, s36, v2
	v_add_co_ci_u32_e64 v3, null, s33, v3, vcc_lo
	v_add_co_u32 v118, vcc_lo, v18, s43
	v_add_co_ci_u32_e64 v119, null, s44, v19, vcc_lo
	;; [unrolled: 2-line block ×3, first 2 shown]
	s_addc_u32 s21, s38, s35
	v_add_co_u32 v122, vcc_lo, v18, s20
	s_add_u32 s20, s18, s34
	v_add_co_ci_u32_e64 v123, null, s21, v19, vcc_lo
	s_addc_u32 s21, s19, s35
	v_add_co_u32 v124, vcc_lo, v18, s20
	s_add_u32 s34, s20, s16
	v_add_co_ci_u32_e64 v125, null, s21, v19, vcc_lo
	s_addc_u32 s35, s21, s17
	v_add_co_u32 v126, vcc_lo, v18, s34
	s_add_u32 s34, s20, s24
	v_add_co_ci_u32_e64 v127, null, s35, v19, vcc_lo
	s_addc_u32 s35, s21, s25
	s_lshl_b64 s[20:21], s[2:3], 4
	v_add_co_u32 v128, vcc_lo, v18, s34
	s_add_u32 s5, s5, s20
	v_add_co_ci_u32_e64 v129, null, s35, v19, vcc_lo
	s_addc_u32 s31, s31, s21
	v_add_co_u32 v130, vcc_lo, v18, s5
	s_add_u32 s5, s36, s20
	v_add_co_ci_u32_e64 v131, null, s31, v19, vcc_lo
	s_addc_u32 s31, s33, s21
	v_add_co_u32 v6, vcc_lo, s5, v4
	s_add_u32 s5, s20, s18
	s_addc_u32 s18, s21, s19
	s_add_u32 s19, s5, s14
	s_addc_u32 s20, s18, s15
	s_add_u32 s21, s5, s16
	v_add_co_ci_u32_e64 v7, null, s31, v5, vcc_lo
	s_addc_u32 s31, s18, s17
	s_add_u32 s33, s5, s24
	s_mul_i32 s35, s12, 0x180
	s_addc_u32 s34, s18, s25
	s_mul_hi_i32 s36, s2, 24
	s_add_u32 s22, s35, s22
	v_add_co_u32 v132, vcc_lo, v18, v6
	s_addc_u32 s23, s36, s23
	s_add_u32 s12, s12, s2
	v_add_co_ci_u32_e64 v133, null, v19, v7, vcc_lo
	v_add_co_u32 v6, vcc_lo, s22, v4
	v_mad_u64_u32 v[2:3], null, s12, 24, v[4:5]
	v_add_co_ci_u32_e64 v7, null, s23, v5, vcc_lo
	v_mad_i64_i32 v[4:5], null, s2, 24, v[4:5]
	v_add_co_u32 v134, vcc_lo, v18, v6
	s_addc_u32 s2, s13, s3
	v_add_co_ci_u32_e64 v135, null, v19, v7, vcc_lo
	v_cmp_gt_u32_e64 s1, 64, v24
	v_mad_u64_u32 v[6:7], null, s2, 24, v[3:4]
	v_add_co_u32 v3, vcc_lo, v4, s14
	v_add_co_ci_u32_e64 v7, null, s15, v5, vcc_lo
	v_add_co_u32 v136, vcc_lo, v18, v2
	v_add_co_ci_u32_e64 v137, null, v19, v6, vcc_lo
	;; [unrolled: 2-line block ×9, first 2 shown]
	v_add_co_u32 v148, vcc_lo, v18, s5
	v_mul_i32_i24_e32 v2, 0xffffffe8, v8
	v_add_co_ci_u32_e64 v149, null, s18, v19, vcc_lo
	v_add_co_u32 v150, vcc_lo, v18, s21
	v_add_co_ci_u32_e64 v151, null, s31, v19, vcc_lo
	v_add_co_u32 v152, vcc_lo, v18, s33
	v_add_co_ci_u32_e64 v153, null, s34, v19, vcc_lo
	v_add_nc_u32_e32 v154, v101, v2
	v_add_nc_u32_e32 v155, 0x2180, v95
	v_lshl_add_u32 v156, v1, 5, 0x2180
	v_add_nc_u32_e32 v157, 0x2380, v95
	v_mad_u32_u24 v158, 0x860, v1, v95
	v_or_b32_e32 v159, 1, v96
	v_or_b32_e32 v160, 2, v96
	;; [unrolled: 1-line block ×3, first 2 shown]
	v_add_nc_u32_e32 v162, 16, v96
	v_add_nc_u32_e32 v163, 17, v96
	;; [unrolled: 1-line block ×13, first 2 shown]
	s_cmp_eq_u32 s29, s6
	s_cselect_b32 s3, s27, 0
	s_and_saveexec_b32 s2, s0
	s_cbranch_execz .LBB166_78
	s_branch .LBB166_75
.LBB166_74:                             ;   in Loop: Header=BB166_78 Depth=1
	s_mov_b32 s6, s2
	s_cmp_eq_u32 s29, s6
	s_cselect_b32 s3, s27, 0
	s_and_saveexec_b32 s2, s0
	s_cbranch_execz .LBB166_78
.LBB166_75:
	v_cmp_gt_i32_e32 vcc_lo, s3, v0
	s_cmp_eq_u32 s3, 0
	v_mov_b32_e32 v2, 0
	v_mov_b32_e32 v3, 0
	s_cselect_b32 s5, -1, 0
	s_or_b32 s5, s5, vcc_lo
	s_and_saveexec_b32 s12, s5
	s_cbranch_execz .LBB166_77
; %bb.76:
	s_ashr_i32 s5, s4, 31
	s_lshl_b64 s[14:15], s[4:5], 3
	v_add_co_u32 v2, vcc_lo, v97, s14
	v_add_co_ci_u32_e64 v3, null, s15, v98, vcc_lo
	flat_load_dwordx2 v[2:3], v[2:3]
.LBB166_77:
	s_or_b32 exec_lo, exec_lo, s12
	s_waitcnt vmcnt(0) lgkmcnt(0)
	ds_write_b64 v155, v[2:3]
.LBB166_78:                             ; =>This Inner Loop Header: Depth=1
	s_or_b32 exec_lo, exec_lo, s2
	s_cmp_eq_u32 s3, 0
	v_add_co_u32 v2, vcc_lo, v99, v108
	s_cselect_b32 s5, -1, 0
	s_cmp_lg_u32 s3, 0
	v_add_co_ci_u32_e64 v3, null, v100, v109, vcc_lo
	s_cselect_b32 s2, -1, 0
	s_mov_b32 s12, -1
	s_and_b32 vcc_lo, exec_lo, s2
	s_waitcnt lgkmcnt(0)
	s_barrier
	buffer_gl0_inv
                                        ; implicit-def: $vgpr69_vgpr70
                                        ; implicit-def: $vgpr67_vgpr68
                                        ; implicit-def: $vgpr65_vgpr66
                                        ; implicit-def: $vgpr63_vgpr64
	s_cbranch_vccz .LBB166_88
; %bb.79:                               ;   in Loop: Header=BB166_78 Depth=1
	v_mov_b32_e32 v65, 0
	v_mov_b32_e32 v63, 0
	;; [unrolled: 1-line block ×4, first 2 shown]
	s_mov_b32 s12, exec_lo
	v_cmpx_gt_i32_e64 s3, v96
	s_cbranch_execz .LBB166_81
; %bb.80:                               ;   in Loop: Header=BB166_78 Depth=1
	flat_load_dwordx2 v[63:64], v[2:3]
.LBB166_81:                             ;   in Loop: Header=BB166_78 Depth=1
	s_or_b32 exec_lo, exec_lo, s12
	s_mov_b32 s12, exec_lo
	v_cmpx_gt_i32_e64 s3, v159
	s_cbranch_execz .LBB166_83
; %bb.82:                               ;   in Loop: Header=BB166_78 Depth=1
	v_add_co_u32 v4, vcc_lo, v112, v108
	v_add_co_ci_u32_e64 v5, null, v113, v109, vcc_lo
	flat_load_dwordx2 v[65:66], v[4:5]
.LBB166_83:                             ;   in Loop: Header=BB166_78 Depth=1
	s_or_b32 exec_lo, exec_lo, s12
	v_mov_b32_e32 v69, 0
	v_mov_b32_e32 v67, 0
	;; [unrolled: 1-line block ×4, first 2 shown]
	s_mov_b32 s12, exec_lo
	v_cmpx_gt_i32_e64 s3, v160
	s_cbranch_execz .LBB166_85
; %bb.84:                               ;   in Loop: Header=BB166_78 Depth=1
	v_add_co_u32 v4, vcc_lo, v114, v108
	v_add_co_ci_u32_e64 v5, null, v115, v109, vcc_lo
	flat_load_dwordx2 v[67:68], v[4:5]
.LBB166_85:                             ;   in Loop: Header=BB166_78 Depth=1
	s_or_b32 exec_lo, exec_lo, s12
	s_mov_b32 s12, exec_lo
	v_cmpx_gt_i32_e64 s3, v161
	s_cbranch_execz .LBB166_87
; %bb.86:                               ;   in Loop: Header=BB166_78 Depth=1
	v_add_co_u32 v4, vcc_lo, v116, v108
	v_add_co_ci_u32_e64 v5, null, v117, v109, vcc_lo
	flat_load_dwordx2 v[69:70], v[4:5]
.LBB166_87:                             ;   in Loop: Header=BB166_78 Depth=1
	s_or_b32 exec_lo, exec_lo, s12
	s_mov_b32 s12, 0
.LBB166_88:                             ;   in Loop: Header=BB166_78 Depth=1
	s_and_b32 vcc_lo, exec_lo, s12
	s_cbranch_vccz .LBB166_90
; %bb.89:                               ;   in Loop: Header=BB166_78 Depth=1
	v_add_co_u32 v4, vcc_lo, v112, v108
	v_add_co_ci_u32_e64 v5, null, v113, v109, vcc_lo
	v_add_co_u32 v6, vcc_lo, v106, v108
	v_add_co_ci_u32_e64 v7, null, v107, v109, vcc_lo
	;; [unrolled: 2-line block ×3, first 2 shown]
	s_waitcnt vmcnt(0) lgkmcnt(0)
	flat_load_dwordx2 v[63:64], v[2:3]
	flat_load_dwordx2 v[65:66], v[4:5]
	;; [unrolled: 1-line block ×4, first 2 shown]
.LBB166_90:                             ;   in Loop: Header=BB166_78 Depth=1
	ds_read_b64 v[2:3], v157
	v_add_co_u32 v18, vcc_lo, v124, v108
	v_cndmask_b32_e64 v42, 0, 1, s2
	v_add_co_ci_u32_e64 v19, null, v125, v109, vcc_lo
	s_andn2_b32 vcc_lo, exec_lo, s2
	s_mov_b32 s2, -1
                                        ; implicit-def: $vgpr77_vgpr78
                                        ; implicit-def: $vgpr75_vgpr76
                                        ; implicit-def: $vgpr73_vgpr74
                                        ; implicit-def: $vgpr71_vgpr72
	s_waitcnt vmcnt(0) lgkmcnt(0)
	v_mul_f64 v[10:11], v[63:64], v[2:3]
	v_mul_f64 v[12:13], v[65:66], v[2:3]
	;; [unrolled: 1-line block ×4, first 2 shown]
	ds_read_b128 v[6:9], v156
	ds_read_b128 v[2:5], v156 offset:16
	ds_write2_b64 v158, v[10:11], v[12:13] offset1:67
	ds_write2_b64 v158, v[14:15], v[16:17] offset0:134 offset1:201
	s_waitcnt lgkmcnt(0)
	s_barrier
	buffer_gl0_inv
	ds_read2_b64 v[14:17], v101 offset1:1
	ds_read2_b64 v[10:13], v101 offset0:2 offset1:3
	s_waitcnt lgkmcnt(0)
	s_barrier
	buffer_gl0_inv
	s_cbranch_vccnz .LBB166_100
; %bb.91:                               ;   in Loop: Header=BB166_78 Depth=1
	v_mov_b32_e32 v73, 0
	v_mov_b32_e32 v71, 0
	;; [unrolled: 1-line block ×4, first 2 shown]
	s_mov_b32 s2, exec_lo
	v_cmpx_gt_i32_e64 s3, v162
	s_cbranch_execz .LBB166_93
; %bb.92:                               ;   in Loop: Header=BB166_78 Depth=1
	flat_load_dwordx2 v[71:72], v[18:19]
.LBB166_93:                             ;   in Loop: Header=BB166_78 Depth=1
	s_or_b32 exec_lo, exec_lo, s2
	s_mov_b32 s2, exec_lo
	v_cmpx_gt_i32_e64 s3, v163
	s_cbranch_execz .LBB166_95
; %bb.94:                               ;   in Loop: Header=BB166_78 Depth=1
	v_add_co_u32 v20, vcc_lo, v122, v108
	v_add_co_ci_u32_e64 v21, null, v123, v109, vcc_lo
	flat_load_dwordx2 v[73:74], v[20:21]
.LBB166_95:                             ;   in Loop: Header=BB166_78 Depth=1
	s_or_b32 exec_lo, exec_lo, s2
	v_mov_b32_e32 v77, 0
	v_mov_b32_e32 v75, 0
	;; [unrolled: 1-line block ×4, first 2 shown]
	s_mov_b32 s2, exec_lo
	v_cmpx_gt_i32_e64 s3, v164
	s_cbranch_execz .LBB166_97
; %bb.96:                               ;   in Loop: Header=BB166_78 Depth=1
	v_add_co_u32 v20, vcc_lo, v126, v108
	v_add_co_ci_u32_e64 v21, null, v127, v109, vcc_lo
	flat_load_dwordx2 v[75:76], v[20:21]
.LBB166_97:                             ;   in Loop: Header=BB166_78 Depth=1
	s_or_b32 exec_lo, exec_lo, s2
	s_mov_b32 s2, exec_lo
	v_cmpx_gt_i32_e64 s3, v165
	s_cbranch_execz .LBB166_99
; %bb.98:                               ;   in Loop: Header=BB166_78 Depth=1
	v_add_co_u32 v20, vcc_lo, v128, v108
	v_add_co_ci_u32_e64 v21, null, v129, v109, vcc_lo
	flat_load_dwordx2 v[77:78], v[20:21]
.LBB166_99:                             ;   in Loop: Header=BB166_78 Depth=1
	s_or_b32 exec_lo, exec_lo, s2
	s_mov_b32 s2, 0
.LBB166_100:                            ;   in Loop: Header=BB166_78 Depth=1
	s_and_b32 vcc_lo, exec_lo, s2
	s_cbranch_vccz .LBB166_102
; %bb.101:                              ;   in Loop: Header=BB166_78 Depth=1
	v_add_co_u32 v20, vcc_lo, v122, v108
	v_add_co_ci_u32_e64 v21, null, v123, v109, vcc_lo
	v_add_co_u32 v22, vcc_lo, v118, v108
	v_add_co_ci_u32_e64 v23, null, v119, v109, vcc_lo
	;; [unrolled: 2-line block ×3, first 2 shown]
	s_waitcnt vmcnt(0) lgkmcnt(0)
	flat_load_dwordx2 v[71:72], v[18:19]
	flat_load_dwordx2 v[73:74], v[20:21]
	;; [unrolled: 1-line block ×4, first 2 shown]
.LBB166_102:                            ;   in Loop: Header=BB166_78 Depth=1
	ds_read_b64 v[18:19], v157
	v_cmp_ne_u32_e32 vcc_lo, 1, v42
	v_add_co_u32 v34, s2, v148, v108
	v_add_co_ci_u32_e64 v35, null, v149, v109, s2
	s_and_b32 vcc_lo, exec_lo, vcc_lo
	s_mov_b32 s2, -1
                                        ; implicit-def: $vgpr85_vgpr86
                                        ; implicit-def: $vgpr83_vgpr84
                                        ; implicit-def: $vgpr81_vgpr82
                                        ; implicit-def: $vgpr79_vgpr80
	s_waitcnt vmcnt(0) lgkmcnt(0)
	v_mul_f64 v[26:27], v[71:72], v[18:19]
	v_mul_f64 v[28:29], v[73:74], v[18:19]
	;; [unrolled: 1-line block ×4, first 2 shown]
	ds_read_b128 v[22:25], v156 offset:128
	ds_read_b128 v[18:21], v156 offset:144
	ds_write2_b64 v158, v[26:27], v[28:29] offset1:67
	ds_write2_b64 v158, v[30:31], v[32:33] offset0:134 offset1:201
	s_waitcnt lgkmcnt(0)
	s_barrier
	buffer_gl0_inv
	ds_read2_b64 v[30:33], v101 offset1:1
	ds_read2_b64 v[26:29], v101 offset0:2 offset1:3
	s_waitcnt lgkmcnt(0)
	s_barrier
	buffer_gl0_inv
	s_cbranch_vccnz .LBB166_112
; %bb.103:                              ;   in Loop: Header=BB166_78 Depth=1
	v_mov_b32_e32 v81, 0
	v_mov_b32_e32 v79, 0
	;; [unrolled: 1-line block ×4, first 2 shown]
	s_mov_b32 s2, exec_lo
	v_cmpx_gt_i32_e64 s3, v166
	s_cbranch_execz .LBB166_105
; %bb.104:                              ;   in Loop: Header=BB166_78 Depth=1
	flat_load_dwordx2 v[79:80], v[34:35]
.LBB166_105:                            ;   in Loop: Header=BB166_78 Depth=1
	s_or_b32 exec_lo, exec_lo, s2
	s_mov_b32 s2, exec_lo
	v_cmpx_gt_i32_e64 s3, v167
	s_cbranch_execz .LBB166_107
; %bb.106:                              ;   in Loop: Header=BB166_78 Depth=1
	v_add_co_u32 v36, vcc_lo, v146, v108
	v_add_co_ci_u32_e64 v37, null, v147, v109, vcc_lo
	flat_load_dwordx2 v[81:82], v[36:37]
.LBB166_107:                            ;   in Loop: Header=BB166_78 Depth=1
	s_or_b32 exec_lo, exec_lo, s2
	v_mov_b32_e32 v85, 0
	v_mov_b32_e32 v83, 0
	v_mov_b32_e32 v86, 0
	v_mov_b32_e32 v84, 0
	s_mov_b32 s2, exec_lo
	v_cmpx_gt_i32_e64 s3, v168
	s_cbranch_execz .LBB166_109
; %bb.108:                              ;   in Loop: Header=BB166_78 Depth=1
	v_add_co_u32 v36, vcc_lo, v150, v108
	v_add_co_ci_u32_e64 v37, null, v151, v109, vcc_lo
	flat_load_dwordx2 v[83:84], v[36:37]
.LBB166_109:                            ;   in Loop: Header=BB166_78 Depth=1
	s_or_b32 exec_lo, exec_lo, s2
	s_mov_b32 s2, exec_lo
	v_cmpx_gt_i32_e64 s3, v169
	s_cbranch_execz .LBB166_111
; %bb.110:                              ;   in Loop: Header=BB166_78 Depth=1
	v_add_co_u32 v36, vcc_lo, v152, v108
	v_add_co_ci_u32_e64 v37, null, v153, v109, vcc_lo
	flat_load_dwordx2 v[85:86], v[36:37]
.LBB166_111:                            ;   in Loop: Header=BB166_78 Depth=1
	s_or_b32 exec_lo, exec_lo, s2
	s_mov_b32 s2, 0
.LBB166_112:                            ;   in Loop: Header=BB166_78 Depth=1
	s_and_b32 vcc_lo, exec_lo, s2
	s_cbranch_vccz .LBB166_114
; %bb.113:                              ;   in Loop: Header=BB166_78 Depth=1
	v_add_co_u32 v36, vcc_lo, v146, v108
	v_add_co_ci_u32_e64 v37, null, v147, v109, vcc_lo
	v_add_co_u32 v38, vcc_lo, v130, v108
	v_add_co_ci_u32_e64 v39, null, v131, v109, vcc_lo
	;; [unrolled: 2-line block ×3, first 2 shown]
	s_waitcnt vmcnt(0) lgkmcnt(0)
	flat_load_dwordx2 v[79:80], v[34:35]
	flat_load_dwordx2 v[81:82], v[36:37]
	;; [unrolled: 1-line block ×4, first 2 shown]
.LBB166_114:                            ;   in Loop: Header=BB166_78 Depth=1
	ds_read_b64 v[34:35], v157
	v_cmp_ne_u32_e32 vcc_lo, 1, v42
	v_add_co_u32 v42, s2, v140, v104
                                        ; implicit-def: $vgpr87_vgpr88
                                        ; implicit-def: $vgpr91_vgpr92
                                        ; implicit-def: $vgpr89_vgpr90
                                        ; implicit-def: $vgpr93_vgpr94
	s_and_b32 vcc_lo, exec_lo, vcc_lo
	s_waitcnt vmcnt(0) lgkmcnt(0)
	v_mul_f64 v[43:44], v[79:80], v[34:35]
	v_mul_f64 v[45:46], v[81:82], v[34:35]
	;; [unrolled: 1-line block ×4, first 2 shown]
	ds_read_b128 v[38:41], v156 offset:256
	ds_read_b128 v[34:37], v156 offset:272
	ds_write2_b64 v158, v[43:44], v[45:46] offset1:67
	ds_write2_b64 v158, v[47:48], v[49:50] offset0:134 offset1:201
	s_waitcnt lgkmcnt(0)
	s_barrier
	buffer_gl0_inv
	ds_read2_b64 v[54:57], v101 offset1:1
	ds_read2_b64 v[46:49], v101 offset0:2 offset1:3
	v_add_co_ci_u32_e64 v43, null, v141, v105, s2
	s_mov_b32 s2, -1
	s_waitcnt lgkmcnt(0)
	s_barrier
	buffer_gl0_inv
	s_cbranch_vccnz .LBB166_124
; %bb.115:                              ;   in Loop: Header=BB166_78 Depth=1
	v_mov_b32_e32 v89, 0
	v_mov_b32_e32 v93, 0
	;; [unrolled: 1-line block ×4, first 2 shown]
	s_mov_b32 s2, exec_lo
	v_cmpx_gt_i32_e64 s3, v170
	s_cbranch_execz .LBB166_117
; %bb.116:                              ;   in Loop: Header=BB166_78 Depth=1
	flat_load_dwordx2 v[93:94], v[42:43]
.LBB166_117:                            ;   in Loop: Header=BB166_78 Depth=1
	s_or_b32 exec_lo, exec_lo, s2
	s_mov_b32 s2, exec_lo
	v_cmpx_gt_i32_e64 s3, v171
	s_cbranch_execz .LBB166_119
; %bb.118:                              ;   in Loop: Header=BB166_78 Depth=1
	v_add_co_u32 v44, vcc_lo, v138, v104
	v_add_co_ci_u32_e64 v45, null, v139, v105, vcc_lo
	flat_load_dwordx2 v[89:90], v[44:45]
.LBB166_119:                            ;   in Loop: Header=BB166_78 Depth=1
	s_or_b32 exec_lo, exec_lo, s2
	v_mov_b32_e32 v87, 0
	v_mov_b32_e32 v91, 0
	;; [unrolled: 1-line block ×4, first 2 shown]
	s_mov_b32 s2, exec_lo
	v_cmpx_gt_i32_e64 s3, v172
	s_cbranch_execz .LBB166_121
; %bb.120:                              ;   in Loop: Header=BB166_78 Depth=1
	v_add_co_u32 v44, vcc_lo, v142, v104
	v_add_co_ci_u32_e64 v45, null, v143, v105, vcc_lo
	flat_load_dwordx2 v[91:92], v[44:45]
.LBB166_121:                            ;   in Loop: Header=BB166_78 Depth=1
	s_or_b32 exec_lo, exec_lo, s2
	s_mov_b32 s2, exec_lo
	v_cmpx_gt_i32_e64 s3, v173
	s_cbranch_execz .LBB166_123
; %bb.122:                              ;   in Loop: Header=BB166_78 Depth=1
	v_add_co_u32 v44, vcc_lo, v144, v104
	v_add_co_ci_u32_e64 v45, null, v145, v105, vcc_lo
	flat_load_dwordx2 v[87:88], v[44:45]
.LBB166_123:                            ;   in Loop: Header=BB166_78 Depth=1
	s_or_b32 exec_lo, exec_lo, s2
	s_mov_b32 s2, 0
.LBB166_124:                            ;   in Loop: Header=BB166_78 Depth=1
	s_and_b32 vcc_lo, exec_lo, s2
	s_cbranch_vccz .LBB166_126
; %bb.125:                              ;   in Loop: Header=BB166_78 Depth=1
	v_add_co_u32 v44, vcc_lo, v138, v104
	v_add_co_ci_u32_e64 v45, null, v139, v105, vcc_lo
	v_add_co_u32 v50, vcc_lo, v134, v104
	v_add_co_ci_u32_e64 v51, null, v135, v105, vcc_lo
	;; [unrolled: 2-line block ×3, first 2 shown]
	s_waitcnt vmcnt(0) lgkmcnt(0)
	flat_load_dwordx2 v[93:94], v[42:43]
	flat_load_dwordx2 v[89:90], v[44:45]
	;; [unrolled: 1-line block ×4, first 2 shown]
.LBB166_126:                            ;   in Loop: Header=BB166_78 Depth=1
	ds_read_b64 v[42:43], v157
	v_add_f64 v[30:31], v[30:31], 0
	v_add_f64 v[14:15], v[14:15], 0
	;; [unrolled: 1-line block ×3, first 2 shown]
	v_cmp_gt_i32_e32 vcc_lo, s3, v0
	s_or_b32 s2, s5, vcc_lo
	s_and_b32 s3, s1, s2
	s_waitcnt vmcnt(0) lgkmcnt(0)
	v_mul_f64 v[174:175], v[93:94], v[42:43]
	v_mul_f64 v[176:177], v[89:90], v[42:43]
	;; [unrolled: 1-line block ×4, first 2 shown]
	ds_read_b128 v[50:53], v156 offset:384
	ds_read_b128 v[42:45], v156 offset:400
	v_add_f64 v[30:31], v[30:31], v[32:33]
	v_add_f64 v[14:15], v[14:15], v[16:17]
	;; [unrolled: 1-line block ×3, first 2 shown]
	ds_write2_b64 v158, v[174:175], v[176:177] offset1:67
	ds_write2_b64 v158, v[178:179], v[180:181] offset0:134 offset1:201
	s_waitcnt lgkmcnt(0)
	s_barrier
	buffer_gl0_inv
	ds_read2_b64 v[174:177], v101 offset1:1
	ds_read2_b64 v[178:181], v101 offset0:2 offset1:3
	v_add_f64 v[26:27], v[30:31], v[26:27]
	v_add_f64 v[10:11], v[14:15], v[10:11]
	;; [unrolled: 1-line block ×3, first 2 shown]
	s_waitcnt lgkmcnt(0)
	s_barrier
	buffer_gl0_inv
	v_add_f64 v[174:175], v[174:175], 0
	v_add_f64 v[26:27], v[26:27], v[28:29]
	;; [unrolled: 1-line block ×7, first 2 shown]
	ds_write2_b64 v154, v[10:11], v[26:27] offset1:16
	ds_write2_b64 v154, v[16:17], v[12:13] offset0:32 offset1:48
	s_waitcnt lgkmcnt(0)
	s_barrier
	buffer_gl0_inv
	s_and_saveexec_b32 s2, s3
	s_cbranch_execz .LBB166_128
; %bb.127:                              ;   in Loop: Header=BB166_78 Depth=1
	ds_read2_b64 v[10:13], v102 offset1:1
	ds_read2_b64 v[14:17], v102 offset0:2 offset1:3
	v_ashrrev_i32_e32 v62, 31, v61
	s_waitcnt lgkmcnt(1)
	v_add_f64 v[10:11], v[10:11], v[12:13]
	s_waitcnt lgkmcnt(0)
	v_add_f64 v[10:11], v[10:11], v[14:15]
	v_add_f64 v[26:27], v[10:11], v[16:17]
	ds_read2_b64 v[10:13], v102 offset0:4 offset1:5
	ds_read2_b64 v[14:17], v102 offset0:6 offset1:7
	s_waitcnt lgkmcnt(1)
	v_add_f64 v[10:11], v[26:27], v[10:11]
	v_add_f64 v[10:11], v[10:11], v[12:13]
	s_waitcnt lgkmcnt(0)
	v_add_f64 v[10:11], v[10:11], v[14:15]
	v_add_f64 v[26:27], v[10:11], v[16:17]
	ds_read2_b64 v[10:13], v102 offset0:8 offset1:9
	ds_read2_b64 v[14:17], v102 offset0:10 offset1:11
	s_waitcnt lgkmcnt(1)
	v_add_f64 v[10:11], v[26:27], v[10:11]
	v_add_f64 v[10:11], v[10:11], v[12:13]
	s_waitcnt lgkmcnt(0)
	v_add_f64 v[10:11], v[10:11], v[14:15]
	v_add_f64 v[14:15], v[10:11], v[16:17]
	ds_read2_b64 v[10:13], v102 offset0:12 offset1:13
	ds_read_b64 v[16:17], v102 offset:112
	s_waitcnt lgkmcnt(1)
	v_add_f64 v[10:11], v[14:15], v[10:11]
	v_add_f64 v[10:11], v[10:11], v[12:13]
	ds_read_b64 v[12:13], v103
	s_waitcnt lgkmcnt(1)
	v_add_f64 v[10:11], v[10:11], v[16:17]
	s_waitcnt lgkmcnt(0)
	v_add_f64 v[10:11], v[10:11], v[12:13]
	v_lshlrev_b64 v[12:13], 3, v[61:62]
	v_add_co_u32 v12, vcc_lo, s7, v12
	v_add_co_ci_u32_e64 v13, null, s11, v13, vcc_lo
	global_store_dwordx2 v[12:13], v[10:11], off
.LBB166_128:                            ;   in Loop: Header=BB166_78 Depth=1
	s_or_b32 exec_lo, exec_lo, s2
	v_fma_f64 v[6:7], v[63:64], v[6:7], v[59:60]
	v_add_co_u32 v106, vcc_lo, v106, s8
	v_add_co_ci_u32_e64 v107, null, s9, v107, vcc_lo
	v_add_co_u32 v110, vcc_lo, v110, s8
	v_add_co_ci_u32_e64 v111, null, s9, v111, vcc_lo
	;; [unrolled: 2-line block ×5, first 2 shown]
	v_add_co_u32 v116, vcc_lo, v116, s8
	v_fma_f64 v[6:7], v[65:66], v[8:9], v[6:7]
	v_add_co_ci_u32_e64 v117, null, s9, v117, vcc_lo
	v_add_co_u32 v118, vcc_lo, v118, s8
	v_add_co_ci_u32_e64 v119, null, s9, v119, vcc_lo
	v_add_co_u32 v120, vcc_lo, v120, s8
	;; [unrolled: 2-line block ×5, first 2 shown]
	v_add_co_ci_u32_e64 v127, null, s9, v127, vcc_lo
	v_fma_f64 v[2:3], v[67:68], v[2:3], v[6:7]
	v_add_co_u32 v128, vcc_lo, v128, s8
	v_add_co_ci_u32_e64 v129, null, s9, v129, vcc_lo
	v_add_co_u32 v130, vcc_lo, v130, s8
	v_add_co_ci_u32_e64 v131, null, s9, v131, vcc_lo
	;; [unrolled: 2-line block ×5, first 2 shown]
	v_add_co_u32 v150, vcc_lo, v150, s8
	v_fma_f64 v[2:3], v[69:70], v[4:5], v[2:3]
	v_add_co_ci_u32_e64 v151, null, s9, v151, vcc_lo
	v_add_co_u32 v152, vcc_lo, v152, s8
	v_add_co_ci_u32_e64 v153, null, s9, v153, vcc_lo
	v_add_co_u32 v134, vcc_lo, v134, s8
	;; [unrolled: 2-line block ×5, first 2 shown]
	v_add_co_ci_u32_e64 v141, null, s9, v141, vcc_lo
	v_fma_f64 v[2:3], v[71:72], v[22:23], v[2:3]
	v_add_co_u32 v142, vcc_lo, v142, s8
	v_add_co_ci_u32_e64 v143, null, s9, v143, vcc_lo
	v_add_co_u32 v144, vcc_lo, v144, s8
	v_add_nc_u32_e32 v61, 64, v61
	v_add_co_ci_u32_e64 v145, null, s9, v145, vcc_lo
	s_add_i32 s3, s6, 2
	s_add_i32 s2, s6, 1
	s_add_i32 s4, s4, s30
	s_cmp_ge_u32 s3, s26
	s_waitcnt_vscnt null, 0x0
	s_barrier
	buffer_gl0_inv
	v_fma_f64 v[2:3], v[73:74], v[24:25], v[2:3]
	v_fma_f64 v[2:3], v[75:76], v[18:19], v[2:3]
	;; [unrolled: 1-line block ×11, first 2 shown]
	s_cbranch_scc0 .LBB166_74
.LBB166_129:
	v_cmp_gt_i32_e32 vcc_lo, s10, v0
	v_mad_u32_u24 v1, 0x218, v1, v95
	s_or_b32 s1, s28, vcc_lo
	ds_write_b64 v1, v[59:60]
	s_and_b32 s0, s0, s1
	s_waitcnt lgkmcnt(0)
	s_barrier
	buffer_gl0_inv
	s_and_saveexec_b32 s1, s0
	s_cbranch_execz .LBB166_4
; %bb.130:
	ds_read2_b64 v[0:3], v95 offset1:67
	v_ashrrev_i32_e32 v59, 31, v58
	s_waitcnt lgkmcnt(0)
	v_add_f64 v[4:5], v[0:1], v[2:3]
	ds_read2_b64 v[0:3], v95 offset0:134 offset1:201
	s_waitcnt lgkmcnt(0)
	v_add_f64 v[0:1], v[4:5], v[0:1]
	v_add_f64 v[0:1], v[0:1], v[2:3]
	v_lshlrev_b64 v[2:3], 3, v[58:59]
	v_add_co_u32 v2, vcc_lo, s7, v2
	v_add_co_ci_u32_e64 v3, null, s11, v3, vcc_lo
	global_store_dwordx2 v[2:3], v[0:1], off
	s_endpgm
	.section	.rodata,"a",@progbits
	.p2align	6, 0x0
	.amdhsa_kernel _ZL26rocblas_hemvn_kernel_upperILb0ELi64ELi4ELi33ELi32ELi16EidPKPKdPdEviT6_lT7_lT5_lS6_lS7_lS5_lT8_i
		.amdhsa_group_segment_fixed_size 9600
		.amdhsa_private_segment_fixed_size 0
		.amdhsa_kernarg_size 376
		.amdhsa_user_sgpr_count 6
		.amdhsa_user_sgpr_private_segment_buffer 1
		.amdhsa_user_sgpr_dispatch_ptr 0
		.amdhsa_user_sgpr_queue_ptr 0
		.amdhsa_user_sgpr_kernarg_segment_ptr 1
		.amdhsa_user_sgpr_dispatch_id 0
		.amdhsa_user_sgpr_flat_scratch_init 0
		.amdhsa_user_sgpr_private_segment_size 0
		.amdhsa_wavefront_size32 1
		.amdhsa_uses_dynamic_stack 0
		.amdhsa_system_sgpr_private_segment_wavefront_offset 0
		.amdhsa_system_sgpr_workgroup_id_x 1
		.amdhsa_system_sgpr_workgroup_id_y 0
		.amdhsa_system_sgpr_workgroup_id_z 1
		.amdhsa_system_sgpr_workgroup_info 0
		.amdhsa_system_vgpr_workitem_id 1
		.amdhsa_next_free_vgpr 182
		.amdhsa_next_free_sgpr 45
		.amdhsa_reserve_vcc 1
		.amdhsa_reserve_flat_scratch 1
		.amdhsa_float_round_mode_32 0
		.amdhsa_float_round_mode_16_64 0
		.amdhsa_float_denorm_mode_32 3
		.amdhsa_float_denorm_mode_16_64 3
		.amdhsa_dx10_clamp 1
		.amdhsa_ieee_mode 1
		.amdhsa_fp16_overflow 0
		.amdhsa_workgroup_processor_mode 1
		.amdhsa_memory_ordered 1
		.amdhsa_forward_progress 1
		.amdhsa_shared_vgpr_count 0
		.amdhsa_exception_fp_ieee_invalid_op 0
		.amdhsa_exception_fp_denorm_src 0
		.amdhsa_exception_fp_ieee_div_zero 0
		.amdhsa_exception_fp_ieee_overflow 0
		.amdhsa_exception_fp_ieee_underflow 0
		.amdhsa_exception_fp_ieee_inexact 0
		.amdhsa_exception_int_div_zero 0
	.end_amdhsa_kernel
	.section	.text._ZL26rocblas_hemvn_kernel_upperILb0ELi64ELi4ELi33ELi32ELi16EidPKPKdPdEviT6_lT7_lT5_lS6_lS7_lS5_lT8_i,"axG",@progbits,_ZL26rocblas_hemvn_kernel_upperILb0ELi64ELi4ELi33ELi32ELi16EidPKPKdPdEviT6_lT7_lT5_lS6_lS7_lS5_lT8_i,comdat
.Lfunc_end166:
	.size	_ZL26rocblas_hemvn_kernel_upperILb0ELi64ELi4ELi33ELi32ELi16EidPKPKdPdEviT6_lT7_lT5_lS6_lS7_lS5_lT8_i, .Lfunc_end166-_ZL26rocblas_hemvn_kernel_upperILb0ELi64ELi4ELi33ELi32ELi16EidPKPKdPdEviT6_lT7_lT5_lS6_lS7_lS5_lT8_i
                                        ; -- End function
	.set _ZL26rocblas_hemvn_kernel_upperILb0ELi64ELi4ELi33ELi32ELi16EidPKPKdPdEviT6_lT7_lT5_lS6_lS7_lS5_lT8_i.num_vgpr, 182
	.set _ZL26rocblas_hemvn_kernel_upperILb0ELi64ELi4ELi33ELi32ELi16EidPKPKdPdEviT6_lT7_lT5_lS6_lS7_lS5_lT8_i.num_agpr, 0
	.set _ZL26rocblas_hemvn_kernel_upperILb0ELi64ELi4ELi33ELi32ELi16EidPKPKdPdEviT6_lT7_lT5_lS6_lS7_lS5_lT8_i.numbered_sgpr, 45
	.set _ZL26rocblas_hemvn_kernel_upperILb0ELi64ELi4ELi33ELi32ELi16EidPKPKdPdEviT6_lT7_lT5_lS6_lS7_lS5_lT8_i.num_named_barrier, 0
	.set _ZL26rocblas_hemvn_kernel_upperILb0ELi64ELi4ELi33ELi32ELi16EidPKPKdPdEviT6_lT7_lT5_lS6_lS7_lS5_lT8_i.private_seg_size, 0
	.set _ZL26rocblas_hemvn_kernel_upperILb0ELi64ELi4ELi33ELi32ELi16EidPKPKdPdEviT6_lT7_lT5_lS6_lS7_lS5_lT8_i.uses_vcc, 1
	.set _ZL26rocblas_hemvn_kernel_upperILb0ELi64ELi4ELi33ELi32ELi16EidPKPKdPdEviT6_lT7_lT5_lS6_lS7_lS5_lT8_i.uses_flat_scratch, 1
	.set _ZL26rocblas_hemvn_kernel_upperILb0ELi64ELi4ELi33ELi32ELi16EidPKPKdPdEviT6_lT7_lT5_lS6_lS7_lS5_lT8_i.has_dyn_sized_stack, 0
	.set _ZL26rocblas_hemvn_kernel_upperILb0ELi64ELi4ELi33ELi32ELi16EidPKPKdPdEviT6_lT7_lT5_lS6_lS7_lS5_lT8_i.has_recursion, 0
	.set _ZL26rocblas_hemvn_kernel_upperILb0ELi64ELi4ELi33ELi32ELi16EidPKPKdPdEviT6_lT7_lT5_lS6_lS7_lS5_lT8_i.has_indirect_call, 0
	.section	.AMDGPU.csdata,"",@progbits
; Kernel info:
; codeLenInByte = 8412
; TotalNumSgprs: 47
; NumVgprs: 182
; ScratchSize: 0
; MemoryBound: 0
; FloatMode: 240
; IeeeMode: 1
; LDSByteSize: 9600 bytes/workgroup (compile time only)
; SGPRBlocks: 0
; VGPRBlocks: 22
; NumSGPRsForWavesPerEU: 47
; NumVGPRsForWavesPerEU: 182
; Occupancy: 5
; WaveLimiterHint : 1
; COMPUTE_PGM_RSRC2:SCRATCH_EN: 0
; COMPUTE_PGM_RSRC2:USER_SGPR: 6
; COMPUTE_PGM_RSRC2:TRAP_HANDLER: 0
; COMPUTE_PGM_RSRC2:TGID_X_EN: 1
; COMPUTE_PGM_RSRC2:TGID_Y_EN: 0
; COMPUTE_PGM_RSRC2:TGID_Z_EN: 1
; COMPUTE_PGM_RSRC2:TIDIG_COMP_CNT: 1
	.section	.text._ZL36rocblas_hemvn_kernel_upper_block_sumILi64EidPKPddEviT1_lS3_lT2_lT0_lPT3_i,"axG",@progbits,_ZL36rocblas_hemvn_kernel_upper_block_sumILi64EidPKPddEviT1_lS3_lT2_lT0_lPT3_i,comdat
	.globl	_ZL36rocblas_hemvn_kernel_upper_block_sumILi64EidPKPddEviT1_lS3_lT2_lT0_lPT3_i ; -- Begin function _ZL36rocblas_hemvn_kernel_upper_block_sumILi64EidPKPddEviT1_lS3_lT2_lT0_lPT3_i
	.p2align	8
	.type	_ZL36rocblas_hemvn_kernel_upper_block_sumILi64EidPKPddEviT1_lS3_lT2_lT0_lPT3_i,@function
_ZL36rocblas_hemvn_kernel_upper_block_sumILi64EidPKPddEviT1_lS3_lT2_lT0_lPT3_i: ; @_ZL36rocblas_hemvn_kernel_upper_block_sumILi64EidPKPddEviT1_lS3_lT2_lT0_lPT3_i
; %bb.0:
	s_clause 0x1
	s_load_dwordx2 s[8:9], s[4:5], 0x8
	s_load_dwordx2 s[10:11], s[4:5], 0x18
	s_waitcnt lgkmcnt(0)
	v_cmp_eq_f64_e64 s0, s[8:9], 0
	v_cmp_eq_f64_e64 s1, s[10:11], 1.0
	s_and_b32 s0, s0, s1
	s_and_b32 vcc_lo, exec_lo, s0
	s_cbranch_vccnz .LBB167_19
; %bb.1:
	s_load_dwordx4 s[16:19], s[4:5], 0x28
	s_mov_b32 s2, s7
	s_mov_b32 s3, 0
	s_clause 0x1
	s_load_dword s15, s[4:5], 0x38
	s_load_dword s12, s[4:5], 0x0
	s_lshl_b64 s[0:1], s[2:3], 3
	v_cmp_neq_f64_e64 s13, s[8:9], 0
	v_lshl_or_b32 v0, s6, 6, v0
	s_waitcnt lgkmcnt(0)
	s_add_u32 s0, s16, s0
	s_addc_u32 s1, s17, s1
	s_lshl_b64 s[16:17], s[18:19], 3
	s_load_dwordx2 s[0:1], s[0:1], 0x0
	s_waitcnt lgkmcnt(0)
	s_add_u32 s7, s0, s16
	v_cmp_gt_i32_e64 s0, s12, v0
	s_addc_u32 s14, s1, s17
	s_and_b32 vcc_lo, exec_lo, s13
	s_cbranch_vccnz .LBB167_6
; %bb.2:
	s_mov_b32 s1, 0
                                        ; implicit-def: $vgpr3_vgpr4
                                        ; implicit-def: $vgpr1_vgpr2
	s_and_saveexec_b32 s13, s0
	s_cbranch_execz .LBB167_7
; %bb.3:
	v_cmp_eq_f64_e64 s0, s[10:11], 0
	v_mul_lo_u32 v1, s15, v0
	v_mov_b32_e32 v3, 0
	v_mov_b32_e32 v4, 0
	v_ashrrev_i32_e32 v2, 31, v1
	s_and_b32 vcc_lo, exec_lo, s0
	s_cbranch_vccnz .LBB167_5
; %bb.4:
	v_lshlrev_b64 v[3:4], 3, v[1:2]
	v_add_co_u32 v3, vcc_lo, s7, v3
	v_add_co_ci_u32_e64 v4, null, s14, v4, vcc_lo
	flat_load_dwordx2 v[3:4], v[3:4]
	s_waitcnt vmcnt(0) lgkmcnt(0)
	v_mul_f64 v[3:4], s[10:11], v[3:4]
.LBB167_5:
	s_mov_b32 s3, exec_lo
	s_or_b32 exec_lo, exec_lo, s13
	s_and_b32 vcc_lo, exec_lo, s1
	s_cbranch_vccnz .LBB167_8
	s_branch .LBB167_17
.LBB167_6:
                                        ; implicit-def: $vgpr3_vgpr4
                                        ; implicit-def: $vgpr1_vgpr2
	s_cbranch_execnz .LBB167_8
	s_branch .LBB167_17
.LBB167_7:
	s_or_b32 exec_lo, exec_lo, s13
	s_and_b32 vcc_lo, exec_lo, s1
	s_cbranch_vccz .LBB167_17
.LBB167_8:
	s_mov_b32 s16, exec_lo
                                        ; implicit-def: $vgpr3_vgpr4
                                        ; implicit-def: $vgpr1_vgpr2
	v_cmpx_gt_i32_e64 s12, v0
	s_cbranch_execz .LBB167_16
; %bb.9:
	v_mov_b32_e32 v5, 0
	v_mov_b32_e32 v6, 0
	s_cmp_lt_i32 s6, 0
	s_cbranch_scc1 .LBB167_12
; %bb.10:
	s_clause 0x1
	s_load_dword s17, s[4:5], 0x58
	s_load_dwordx2 s[0:1], s[4:5], 0x48
	s_ashr_i32 s13, s12, 31
	s_mul_hi_u32 s4, s12, s2
	s_mul_i32 s5, s13, s2
	v_mov_b32_e32 v1, 0
	s_mul_i32 s2, s12, s2
	s_add_i32 s4, s4, s5
	v_mov_b32_e32 v5, 0
	v_mov_b32_e32 v6, 0
	v_lshlrev_b64 v[1:2], 3, v[0:1]
	s_waitcnt lgkmcnt(0)
	s_mul_i32 s5, s4, s17
	s_mul_hi_u32 s18, s2, s17
	s_mul_i32 s4, s2, s17
	s_add_i32 s5, s18, s5
	s_lshl_b64 s[4:5], s[4:5], 3
	s_add_u32 s0, s0, s4
	s_addc_u32 s1, s1, s5
	v_add_co_u32 v1, vcc_lo, s0, v1
	v_add_co_ci_u32_e64 v2, null, s1, v2, vcc_lo
	s_add_i32 s2, s6, 1
	s_lshl_b64 s[0:1], s[12:13], 3
.LBB167_11:                             ; =>This Inner Loop Header: Depth=1
	global_load_dwordx2 v[3:4], v[1:2], off
	v_add_co_u32 v1, vcc_lo, v1, s0
	v_add_co_ci_u32_e64 v2, null, s1, v2, vcc_lo
	s_add_i32 s2, s2, -1
	s_cmp_eq_u32 s2, 0
	s_waitcnt vmcnt(0)
	v_add_f64 v[5:6], v[5:6], v[3:4]
	s_cbranch_scc0 .LBB167_11
.LBB167_12:
	v_cmp_eq_f64_e64 s0, s[10:11], 0
	v_mul_lo_u32 v1, s15, v0
	v_ashrrev_i32_e32 v2, 31, v1
	s_and_b32 vcc_lo, exec_lo, s0
	s_cbranch_vccz .LBB167_20
; %bb.13:
	v_mul_f64 v[3:4], s[8:9], v[5:6]
	s_cbranch_execnz .LBB167_15
.LBB167_14:
	v_lshlrev_b64 v[3:4], 3, v[1:2]
	v_add_co_u32 v3, vcc_lo, s7, v3
	v_add_co_ci_u32_e64 v4, null, s14, v4, vcc_lo
	flat_load_dwordx2 v[3:4], v[3:4]
	s_waitcnt vmcnt(0) lgkmcnt(0)
	v_mul_f64 v[3:4], s[10:11], v[3:4]
	v_fma_f64 v[3:4], s[8:9], v[5:6], v[3:4]
.LBB167_15:
	s_or_b32 s3, s3, exec_lo
.LBB167_16:
	s_or_b32 exec_lo, exec_lo, s16
.LBB167_17:
	s_and_saveexec_b32 s0, s3
	s_cbranch_execz .LBB167_19
; %bb.18:
	v_lshlrev_b64 v[0:1], 3, v[1:2]
	v_add_co_u32 v0, vcc_lo, s7, v0
	v_add_co_ci_u32_e64 v1, null, s14, v1, vcc_lo
	flat_store_dwordx2 v[0:1], v[3:4]
.LBB167_19:
	s_endpgm
.LBB167_20:
                                        ; implicit-def: $vgpr3_vgpr4
	s_branch .LBB167_14
	.section	.rodata,"a",@progbits
	.p2align	6, 0x0
	.amdhsa_kernel _ZL36rocblas_hemvn_kernel_upper_block_sumILi64EidPKPddEviT1_lS3_lT2_lT0_lPT3_i
		.amdhsa_group_segment_fixed_size 0
		.amdhsa_private_segment_fixed_size 0
		.amdhsa_kernarg_size 344
		.amdhsa_user_sgpr_count 6
		.amdhsa_user_sgpr_private_segment_buffer 1
		.amdhsa_user_sgpr_dispatch_ptr 0
		.amdhsa_user_sgpr_queue_ptr 0
		.amdhsa_user_sgpr_kernarg_segment_ptr 1
		.amdhsa_user_sgpr_dispatch_id 0
		.amdhsa_user_sgpr_flat_scratch_init 0
		.amdhsa_user_sgpr_private_segment_size 0
		.amdhsa_wavefront_size32 1
		.amdhsa_uses_dynamic_stack 0
		.amdhsa_system_sgpr_private_segment_wavefront_offset 0
		.amdhsa_system_sgpr_workgroup_id_x 1
		.amdhsa_system_sgpr_workgroup_id_y 0
		.amdhsa_system_sgpr_workgroup_id_z 1
		.amdhsa_system_sgpr_workgroup_info 0
		.amdhsa_system_vgpr_workitem_id 0
		.amdhsa_next_free_vgpr 7
		.amdhsa_next_free_sgpr 20
		.amdhsa_reserve_vcc 1
		.amdhsa_reserve_flat_scratch 0
		.amdhsa_float_round_mode_32 0
		.amdhsa_float_round_mode_16_64 0
		.amdhsa_float_denorm_mode_32 3
		.amdhsa_float_denorm_mode_16_64 3
		.amdhsa_dx10_clamp 1
		.amdhsa_ieee_mode 1
		.amdhsa_fp16_overflow 0
		.amdhsa_workgroup_processor_mode 1
		.amdhsa_memory_ordered 1
		.amdhsa_forward_progress 1
		.amdhsa_shared_vgpr_count 0
		.amdhsa_exception_fp_ieee_invalid_op 0
		.amdhsa_exception_fp_denorm_src 0
		.amdhsa_exception_fp_ieee_div_zero 0
		.amdhsa_exception_fp_ieee_overflow 0
		.amdhsa_exception_fp_ieee_underflow 0
		.amdhsa_exception_fp_ieee_inexact 0
		.amdhsa_exception_int_div_zero 0
	.end_amdhsa_kernel
	.section	.text._ZL36rocblas_hemvn_kernel_upper_block_sumILi64EidPKPddEviT1_lS3_lT2_lT0_lPT3_i,"axG",@progbits,_ZL36rocblas_hemvn_kernel_upper_block_sumILi64EidPKPddEviT1_lS3_lT2_lT0_lPT3_i,comdat
.Lfunc_end167:
	.size	_ZL36rocblas_hemvn_kernel_upper_block_sumILi64EidPKPddEviT1_lS3_lT2_lT0_lPT3_i, .Lfunc_end167-_ZL36rocblas_hemvn_kernel_upper_block_sumILi64EidPKPddEviT1_lS3_lT2_lT0_lPT3_i
                                        ; -- End function
	.set _ZL36rocblas_hemvn_kernel_upper_block_sumILi64EidPKPddEviT1_lS3_lT2_lT0_lPT3_i.num_vgpr, 7
	.set _ZL36rocblas_hemvn_kernel_upper_block_sumILi64EidPKPddEviT1_lS3_lT2_lT0_lPT3_i.num_agpr, 0
	.set _ZL36rocblas_hemvn_kernel_upper_block_sumILi64EidPKPddEviT1_lS3_lT2_lT0_lPT3_i.numbered_sgpr, 20
	.set _ZL36rocblas_hemvn_kernel_upper_block_sumILi64EidPKPddEviT1_lS3_lT2_lT0_lPT3_i.num_named_barrier, 0
	.set _ZL36rocblas_hemvn_kernel_upper_block_sumILi64EidPKPddEviT1_lS3_lT2_lT0_lPT3_i.private_seg_size, 0
	.set _ZL36rocblas_hemvn_kernel_upper_block_sumILi64EidPKPddEviT1_lS3_lT2_lT0_lPT3_i.uses_vcc, 1
	.set _ZL36rocblas_hemvn_kernel_upper_block_sumILi64EidPKPddEviT1_lS3_lT2_lT0_lPT3_i.uses_flat_scratch, 0
	.set _ZL36rocblas_hemvn_kernel_upper_block_sumILi64EidPKPddEviT1_lS3_lT2_lT0_lPT3_i.has_dyn_sized_stack, 0
	.set _ZL36rocblas_hemvn_kernel_upper_block_sumILi64EidPKPddEviT1_lS3_lT2_lT0_lPT3_i.has_recursion, 0
	.set _ZL36rocblas_hemvn_kernel_upper_block_sumILi64EidPKPddEviT1_lS3_lT2_lT0_lPT3_i.has_indirect_call, 0
	.section	.AMDGPU.csdata,"",@progbits
; Kernel info:
; codeLenInByte = 636
; TotalNumSgprs: 22
; NumVgprs: 7
; ScratchSize: 0
; MemoryBound: 0
; FloatMode: 240
; IeeeMode: 1
; LDSByteSize: 0 bytes/workgroup (compile time only)
; SGPRBlocks: 0
; VGPRBlocks: 0
; NumSGPRsForWavesPerEU: 22
; NumVGPRsForWavesPerEU: 7
; Occupancy: 16
; WaveLimiterHint : 1
; COMPUTE_PGM_RSRC2:SCRATCH_EN: 0
; COMPUTE_PGM_RSRC2:USER_SGPR: 6
; COMPUTE_PGM_RSRC2:TRAP_HANDLER: 0
; COMPUTE_PGM_RSRC2:TGID_X_EN: 1
; COMPUTE_PGM_RSRC2:TGID_Y_EN: 0
; COMPUTE_PGM_RSRC2:TGID_Z_EN: 1
; COMPUTE_PGM_RSRC2:TIDIG_COMP_CNT: 0
	.section	.text._ZL50rocblas_symv_kernel_lower_double_buffered_diagonalILi32ELi4E24rocblas_internal_val_ptrIdEPKPKdPKPdEvbiT1_lT2_lllSA_lllS9_lT3_llli,"axG",@progbits,_ZL50rocblas_symv_kernel_lower_double_buffered_diagonalILi32ELi4E24rocblas_internal_val_ptrIdEPKPKdPKPdEvbiT1_lT2_lllSA_lllS9_lT3_llli,comdat
	.globl	_ZL50rocblas_symv_kernel_lower_double_buffered_diagonalILi32ELi4E24rocblas_internal_val_ptrIdEPKPKdPKPdEvbiT1_lT2_lllSA_lllS9_lT3_llli ; -- Begin function _ZL50rocblas_symv_kernel_lower_double_buffered_diagonalILi32ELi4E24rocblas_internal_val_ptrIdEPKPKdPKPdEvbiT1_lT2_lllSA_lllS9_lT3_llli
	.p2align	8
	.type	_ZL50rocblas_symv_kernel_lower_double_buffered_diagonalILi32ELi4E24rocblas_internal_val_ptrIdEPKPKdPKPdEvbiT1_lT2_lllSA_lllS9_lT3_llli,@function
_ZL50rocblas_symv_kernel_lower_double_buffered_diagonalILi32ELi4E24rocblas_internal_val_ptrIdEPKPKdPKPdEvbiT1_lT2_lllSA_lllS9_lT3_llli: ; @_ZL50rocblas_symv_kernel_lower_double_buffered_diagonalILi32ELi4E24rocblas_internal_val_ptrIdEPKPKdPKPdEvbiT1_lT2_lllSA_lllS9_lT3_llli
; %bb.0:
	s_mov_b32 s18, s7
	s_clause 0x3
	s_load_dword s7, s[4:5], 0x0
	s_load_dwordx8 s[8:15], s[4:5], 0x8
	s_load_dwordx2 s[16:17], s[4:5], 0x28
	s_load_dwordx4 s[0:3], s[4:5], 0x58
	s_waitcnt lgkmcnt(0)
	s_bitcmp1_b32 s7, 0
	v_mov_b32_e32 v2, s8
	v_mov_b32_e32 v3, s9
	s_cselect_b32 s7, -1, 0
	s_and_b32 vcc_lo, exec_lo, s7
	s_xor_b32 s7, s7, -1
	s_cbranch_vccnz .LBB168_2
; %bb.1:
	s_mul_i32 s11, s11, s18
	s_mul_hi_u32 s19, s10, s18
	s_mul_i32 s10, s10, s18
	s_add_i32 s11, s19, s11
	s_lshl_b64 s[10:11], s[10:11], 3
	s_add_u32 s8, s8, s10
	s_addc_u32 s9, s9, s11
	v_mov_b32_e32 v2, s8
	v_mov_b32_e32 v3, s9
	flat_load_dwordx2 v[2:3], v[2:3]
.LBB168_2:
	v_mov_b32_e32 v5, s1
	v_mov_b32_e32 v4, s0
	s_andn2_b32 vcc_lo, exec_lo, s7
	s_cbranch_vccnz .LBB168_4
; %bb.3:
	s_mul_i32 s3, s3, s18
	s_mul_hi_u32 s7, s2, s18
	s_mul_i32 s2, s2, s18
	s_add_i32 s3, s7, s3
	s_lshl_b64 s[2:3], s[2:3], 3
	s_add_u32 s0, s0, s2
	s_addc_u32 s1, s1, s3
	v_mov_b32_e32 v5, s1
	v_mov_b32_e32 v4, s0
	flat_load_dwordx2 v[4:5], v[4:5]
.LBB168_4:
	s_waitcnt vmcnt(0) lgkmcnt(0)
	v_cmp_neq_f64_e32 vcc_lo, 0, v[2:3]
	v_cmp_neq_f64_e64 s0, 1.0, v[4:5]
	s_or_b32 s0, vcc_lo, s0
	s_and_saveexec_b32 s1, s0
	s_cbranch_execz .LBB168_44
; %bb.5:
	v_cmp_neq_f64_e64 s0, 0, v[2:3]
	v_cmp_eq_f64_e32 vcc_lo, 0, v[2:3]
	s_mov_b32 s19, 0
	v_mov_b32_e32 v6, s18
	v_mov_b32_e32 v7, s19
	s_and_saveexec_b32 s1, vcc_lo
	s_xor_b32 s1, exec_lo, s1
; %bb.6:
	v_mov_b32_e32 v6, s18
	v_mov_b32_e32 v7, s19
; %bb.7:
	s_or_saveexec_b32 s1, s1
	s_load_dwordx2 s[2:3], s[4:5], 0x68
	v_mov_b32_e32 v10, 0
	v_mov_b32_e32 v8, 0
	;; [unrolled: 1-line block ×4, first 2 shown]
	s_xor_b32 exec_lo, exec_lo, s1
	s_cbranch_execz .LBB168_9
; %bb.8:
	s_lshl_b64 s[8:9], s[18:19], 3
	s_add_u32 s8, s12, s8
	s_addc_u32 s9, s13, s9
	s_lshl_b64 s[10:11], s[14:15], 3
	s_load_dwordx2 s[8:9], s[8:9], 0x0
	s_waitcnt lgkmcnt(0)
	s_add_u32 s8, s8, s10
	s_addc_u32 s9, s9, s11
	v_mov_b32_e32 v8, s8
	v_mov_b32_e32 v9, s9
.LBB168_9:
	s_or_b32 exec_lo, exec_lo, s1
	s_clause 0x1
	s_load_dwordx4 s[8:11], s[4:5], 0x38
	s_load_dwordx2 s[12:13], s[4:5], 0x48
	v_lshlrev_b64 v[6:7], 3, v[6:7]
	s_and_saveexec_b32 s1, s0
	s_cbranch_execz .LBB168_11
; %bb.10:
	s_waitcnt lgkmcnt(0)
	v_add_co_u32 v10, s0, s8, v6
	v_add_co_ci_u32_e64 v11, null, s9, v7, s0
	s_lshl_b64 s[8:9], s[10:11], 3
	global_load_dwordx2 v[10:11], v[10:11], off
	s_waitcnt vmcnt(0)
	v_add_co_u32 v10, s0, v10, s8
	v_add_co_ci_u32_e64 v11, null, s9, v11, s0
.LBB168_11:
	s_or_b32 exec_lo, exec_lo, s1
	s_waitcnt lgkmcnt(0)
	v_add_co_u32 v6, s0, s2, v6
	v_add_co_ci_u32_e64 v7, null, s3, v7, s0
	s_load_dwordx4 s[0:3], s[4:5], 0x70
	s_lshl_b32 s4, s6, 5
	s_ashr_i32 s5, s4, 31
	global_load_dwordx2 v[6:7], v[6:7], off
	s_waitcnt lgkmcnt(0)
	s_mul_i32 s6, s2, s5
	s_mul_hi_u32 s7, s2, s4
	s_lshl_b64 s[0:1], s[0:1], 3
	s_mul_i32 s8, s3, s4
	s_add_i32 s7, s7, s6
	s_mul_i32 s6, s2, s4
	s_add_i32 s7, s7, s8
	s_waitcnt vmcnt(0)
	v_add_co_u32 v6, s0, v6, s0
	v_add_co_ci_u32_e64 v7, null, s1, v7, s0
	s_lshl_b64 s[0:1], s[6:7], 3
	v_add_co_u32 v12, s0, v6, s0
	v_add_co_ci_u32_e64 v13, null, s1, v7, s0
	s_and_saveexec_b32 s0, vcc_lo
	s_xor_b32 s0, exec_lo, s0
	s_cbranch_execz .LBB168_15
; %bb.12:
	s_mov_b32 s1, exec_lo
	v_cmpx_eq_u32_e32 0, v1
	s_cbranch_execz .LBB168_14
; %bb.13:
	v_mad_u64_u32 v[1:2], null, s2, v0, 0
	v_mad_u64_u32 v[2:3], null, s3, v0, v[2:3]
	v_lshlrev_b64 v[0:1], 3, v[1:2]
	v_add_co_u32 v0, vcc_lo, v12, v0
	v_add_co_ci_u32_e64 v1, null, v13, v1, vcc_lo
	flat_load_dwordx2 v[2:3], v[0:1]
	s_waitcnt vmcnt(0) lgkmcnt(0)
	v_mul_f64 v[2:3], v[4:5], v[2:3]
	flat_store_dwordx2 v[0:1], v[2:3]
.LBB168_14:
	s_or_b32 exec_lo, exec_lo, s1
                                        ; implicit-def: $vgpr1
                                        ; implicit-def: $vgpr0
                                        ; implicit-def: $vgpr2_vgpr3
                                        ; implicit-def: $vgpr4_vgpr5
                                        ; implicit-def: $vgpr12
                                        ; implicit-def: $vgpr13
                                        ; implicit-def: $vgpr8_vgpr9
                                        ; implicit-def: $vgpr10_vgpr11
.LBB168_15:
	s_andn2_saveexec_b32 s0, s0
	s_cbranch_execz .LBB168_44
; %bb.16:
	v_mov_b32_e32 v6, 0
	v_mov_b32_e32 v7, 0
	v_cmp_eq_u32_e32 vcc_lo, 0, v1
	s_and_saveexec_b32 s1, vcc_lo
	s_cbranch_execz .LBB168_20
; %bb.17:
	v_mov_b32_e32 v6, 0
	v_mov_b32_e32 v7, 0
	s_mov_b32 s6, exec_lo
	v_cmpx_neq_f64_e32 0, v[4:5]
	s_cbranch_execz .LBB168_19
; %bb.18:
	v_mad_u64_u32 v[6:7], null, s2, v0, 0
	v_mad_u64_u32 v[14:15], null, s3, v0, v[7:8]
	v_mov_b32_e32 v7, v14
	v_lshlrev_b64 v[6:7], 3, v[6:7]
	v_add_co_u32 v6, s0, v12, v6
	v_add_co_ci_u32_e64 v7, null, v13, v7, s0
	flat_load_dwordx2 v[6:7], v[6:7]
	s_waitcnt vmcnt(0) lgkmcnt(0)
	v_mul_f64 v[6:7], v[4:5], v[6:7]
.LBB168_19:
	s_or_b32 exec_lo, exec_lo, s6
	v_mad_u64_u32 v[14:15], null, s12, v0, 0
	s_mul_i32 s0, s12, s5
	s_mul_hi_u32 s6, s12, s4
	s_mul_i32 s7, s13, s4
	s_add_i32 s0, s6, s0
	s_mul_i32 s6, s12, s4
	s_add_i32 s7, s0, s7
	v_mad_u64_u32 v[15:16], null, s13, v0, v[15:16]
	s_lshl_b64 s[6:7], s[6:7], 3
	v_add_co_u32 v10, s0, v10, s6
	v_add_co_ci_u32_e64 v11, null, s7, v11, s0
	v_lshlrev_b64 v[14:15], 3, v[14:15]
	v_add_co_u32 v10, s0, v10, v14
	v_add_co_ci_u32_e64 v11, null, v11, v15, s0
	v_lshlrev_b32_e32 v14, 3, v0
	flat_load_dwordx2 v[10:11], v[10:11]
	s_waitcnt vmcnt(0) lgkmcnt(0)
	ds_write_b64 v14, v[10:11] offset:10240
.LBB168_20:
	s_or_b32 exec_lo, exec_lo, s1
	v_mad_u64_u32 v[10:11], null, s16, v1, 0
	s_add_u32 s0, s16, 1
	s_addc_u32 s1, s17, 0
	s_mul_i32 s5, s0, s5
	s_mul_hi_u32 s6, s0, s4
	s_mul_i32 s1, s1, s4
	s_add_i32 s5, s6, s5
	v_mad_u64_u32 v[14:15], null, s17, v1, v[11:12]
	s_mul_i32 s0, s0, s4
	s_add_i32 s1, s5, s1
	s_lshl_b64 s[4:5], s[16:17], 5
	s_lshl_b64 s[0:1], s[0:1], 3
	v_add_co_u32 v8, s0, v8, s0
	v_mov_b32_e32 v11, v14
	v_add_co_ci_u32_e64 v9, null, s1, v9, s0
	s_mov_b32 s1, exec_lo
	v_lshlrev_b64 v[14:15], 3, v[10:11]
	v_lshlrev_b32_e32 v10, 3, v0
	v_lshlrev_b32_e32 v11, 8, v1
	v_add_co_u32 v8, s0, v8, v14
	v_add_co_ci_u32_e64 v9, null, v9, v15, s0
	v_add_nc_u32_e32 v26, 0xc00, v11
	v_add_co_u32 v14, s0, v8, v10
	v_add_co_ci_u32_e64 v15, null, 0, v9, s0
	v_add_co_u32 v16, s0, v14, s4
	v_add_co_ci_u32_e64 v17, null, s5, v15, s0
	;; [unrolled: 2-line block ×4, first 2 shown]
	s_clause 0x3
	flat_load_dwordx2 v[20:21], v[14:15]
	flat_load_dwordx2 v[22:23], v[16:17]
	;; [unrolled: 1-line block ×4, first 2 shown]
	v_add_nc_u32_e32 v14, 0x400, v11
	v_add_nc_u32_e32 v19, 0x800, v11
	;; [unrolled: 1-line block ×6, first 2 shown]
	s_waitcnt vmcnt(3) lgkmcnt(3)
	ds_write_b64 v16, v[20:21]
	s_waitcnt vmcnt(2) lgkmcnt(3)
	ds_write_b64 v15, v[22:23]
	;; [unrolled: 2-line block ×4, first 2 shown]
	v_cmpx_lt_u32_e32 15, v0
	s_cbranch_execz .LBB168_22
; %bb.21:
	v_add_co_u32 v8, s0, v8, s4
	s_lshl_b64 s[6:7], s[16:17], 2
	v_add_co_ci_u32_e64 v9, null, s5, v9, s0
	s_lshl_b64 s[6:7], s[6:7], 3
	v_add_co_u32 v17, s0, v8, s6
	v_add_co_ci_u32_e64 v18, null, s7, v9, s0
	v_add_co_u32 v19, s0, v17, s4
	v_add_co_ci_u32_e64 v20, null, s5, v18, s0
	;; [unrolled: 2-line block ×3, first 2 shown]
	s_clause 0x3
	flat_load_dwordx2 v[8:9], v[8:9]
	flat_load_dwordx2 v[17:18], v[17:18]
	;; [unrolled: 1-line block ×4, first 2 shown]
	s_waitcnt vmcnt(2) lgkmcnt(2)
	ds_write2st64_b64 v16, v[8:9], v[17:18] offset0:8 offset1:10
	s_waitcnt vmcnt(0) lgkmcnt(1)
	ds_write2st64_b64 v16, v[19:20], v[21:22] offset0:12 offset1:14
.LBB168_22:
	s_or_b32 exec_lo, exec_lo, s1
	v_cmp_ge_u32_e64 s0, v0, v1
	v_lshlrev_b32_e32 v17, 8, v0
	s_waitcnt lgkmcnt(0)
	s_waitcnt_vscnt null, 0x0
	s_barrier
	buffer_gl0_inv
	s_and_saveexec_b32 s1, s0
	s_xor_b32 s0, exec_lo, s1
; %bb.23:
	v_lshlrev_b32_e32 v17, 8, v0
; %bb.24:
	s_or_saveexec_b32 s0, s0
	v_lshlrev_b32_e32 v8, 5, v1
	v_lshlrev_b32_e32 v9, 3, v1
	s_xor_b32 exec_lo, exec_lo, s0
	s_cbranch_execz .LBB168_26
; %bb.25:
	v_mul_u32_u24_e32 v18, 0xf8, v0
	v_lshl_add_u32 v20, v8, 3, v10
	v_add3_u32 v18, v10, v18, v9
	ds_read_b64 v[18:19], v18
	s_waitcnt lgkmcnt(0)
	ds_write_b64 v20, v[18:19]
.LBB168_26:
	s_or_b32 exec_lo, exec_lo, s0
	v_sub_nc_u32_e32 v18, v0, v1
	v_lshl_add_u32 v17, v1, 3, v17
	s_mov_b32 s1, exec_lo
	v_sub_nc_u32_e32 v19, 0, v18
	v_max_i32_e32 v18, v18, v19
	v_cmpx_gt_u32_e32 4, v18
	s_cbranch_execz .LBB168_28
; %bb.27:
	ds_read_b64 v[19:20], v17 offset:32
	s_waitcnt lgkmcnt(0)
	ds_write_b64 v15, v[19:20]
.LBB168_28:
	s_or_b32 exec_lo, exec_lo, s1
	s_mov_b32 s1, exec_lo
	v_cmpx_gt_u32_e32 8, v18
	s_cbranch_execz .LBB168_30
; %bb.29:
	ds_read_b64 v[19:20], v17 offset:64
	s_waitcnt lgkmcnt(0)
	ds_write_b64 v14, v[19:20]
.LBB168_30:
	s_or_b32 exec_lo, exec_lo, s1
	s_mov_b32 s1, exec_lo
	;; [unrolled: 9-line block ×3, first 2 shown]
	v_cmpx_gt_u32_e32 16, v18
	s_cbranch_execz .LBB168_34
; %bb.33:
	ds_read_b64 v[19:20], v17 offset:128
	s_waitcnt lgkmcnt(0)
	ds_write_b64 v16, v[19:20] offset:4096
.LBB168_34:
	s_or_b32 exec_lo, exec_lo, s1
	s_mov_b32 s1, exec_lo
	v_cmpx_gt_u32_e32 20, v18
	s_cbranch_execz .LBB168_36
; %bb.35:
	ds_read_b64 v[19:20], v17 offset:160
	s_waitcnt lgkmcnt(0)
	ds_write_b64 v16, v[19:20] offset:5120
.LBB168_36:
	s_or_b32 exec_lo, exec_lo, s1
	s_mov_b32 s1, exec_lo
	v_cmpx_gt_u32_e32 24, v18
	s_cbranch_execz .LBB168_38
; %bb.37:
	ds_read_b64 v[19:20], v17 offset:192
	s_waitcnt lgkmcnt(0)
	ds_write_b64 v16, v[19:20] offset:6144
.LBB168_38:
	s_or_b32 exec_lo, exec_lo, s1
	v_cmp_lt_u32_e64 s0, 27, v18
	v_add_nc_u32_e32 v18, 28, v1
                                        ; implicit-def: $vgpr19
	s_and_saveexec_b32 s1, s0
	s_xor_b32 s0, exec_lo, s1
; %bb.39:
	v_add_nc_u32_e32 v18, 28, v1
                                        ; implicit-def: $vgpr17
	v_lshlrev_b32_e32 v19, 8, v18
; %bb.40:
	s_andn2_saveexec_b32 s0, s0
	s_cbranch_execz .LBB168_42
; %bb.41:
	ds_read_b64 v[20:21], v17 offset:224
	v_lshlrev_b32_e32 v19, 8, v18
	v_add_nc_u32_e32 v17, v10, v19
	s_waitcnt lgkmcnt(0)
	ds_write_b64 v17, v[20:21]
.LBB168_42:
	s_or_b32 exec_lo, exec_lo, s0
	v_add_nc_u32_e32 v30, 0x2800, v9
	s_waitcnt lgkmcnt(0)
	s_barrier
	buffer_gl0_inv
	v_lshl_add_u32 v1, v1, 8, v10
	ds_read2_b64 v[20:23], v30 offset1:4
	ds_read_b64 v[16:17], v16
	ds_read_b64 v[24:25], v15
	;; [unrolled: 1-line block ×4, first 2 shown]
	s_waitcnt lgkmcnt(3)
	v_fma_f64 v[14:15], v[16:17], v[20:21], 0
	s_waitcnt lgkmcnt(2)
	v_fma_f64 v[20:21], v[24:25], v[22:23], v[14:15]
	ds_read2_b64 v[14:17], v30 offset0:8 offset1:12
	s_waitcnt lgkmcnt(0)
	v_fma_f64 v[14:15], v[26:27], v[14:15], v[20:21]
	v_fma_f64 v[24:25], v[28:29], v[16:17], v[14:15]
	ds_read2st64_b64 v[14:17], v1 offset0:8 offset1:10
	ds_read2_b64 v[20:23], v30 offset0:16 offset1:20
	s_waitcnt lgkmcnt(0)
	v_fma_f64 v[14:15], v[14:15], v[20:21], v[24:25]
	v_fma_f64 v[14:15], v[16:17], v[22:23], v[14:15]
	ds_read_b64 v[16:17], v9 offset:10432
	ds_read_b64 v[20:21], v1 offset:6144
	v_add_nc_u32_e32 v1, v10, v19
	v_lshlrev_b32_e32 v9, 3, v18
	ds_read_b64 v[18:19], v1
	ds_read_b64 v[22:23], v9 offset:10240
	v_add_lshl_u32 v1, v8, v0, 3
	s_waitcnt lgkmcnt(2)
	v_fma_f64 v[14:15], v[20:21], v[16:17], v[14:15]
	s_waitcnt lgkmcnt(0)
	v_fma_f64 v[14:15], v[18:19], v[22:23], v[14:15]
	ds_write_b64 v1, v[14:15] offset:8192
	s_waitcnt lgkmcnt(0)
	s_barrier
	buffer_gl0_inv
	s_and_saveexec_b32 s0, vcc_lo
	s_cbranch_execz .LBB168_44
; %bb.43:
	v_add_nc_u32_e32 v1, 0x2000, v10
	v_cmp_neq_f64_e32 vcc_lo, 0, v[4:5]
	ds_read2_b64 v[8:11], v1 offset1:32
	s_waitcnt lgkmcnt(0)
	v_add_f64 v[8:9], v[8:9], 0
	v_add_f64 v[14:15], v[8:9], v[10:11]
	ds_read2_b64 v[8:11], v1 offset0:64 offset1:96
	s_waitcnt lgkmcnt(0)
	v_add_f64 v[8:9], v[14:15], v[8:9]
	v_add_f64 v[8:9], v[8:9], v[10:11]
	v_mad_u64_u32 v[10:11], null, s2, v0, 0
	v_mov_b32_e32 v1, v11
	v_mul_f64 v[14:15], v[2:3], v[8:9]
	v_fma_f64 v[2:3], v[2:3], v[8:9], v[6:7]
	v_mad_u64_u32 v[0:1], null, s3, v0, v[1:2]
	v_cndmask_b32_e32 v3, v15, v3, vcc_lo
	v_cndmask_b32_e32 v2, v14, v2, vcc_lo
	v_mov_b32_e32 v11, v0
	v_lshlrev_b64 v[0:1], 3, v[10:11]
	v_add_co_u32 v0, vcc_lo, v12, v0
	v_add_co_ci_u32_e64 v1, null, v13, v1, vcc_lo
	flat_store_dwordx2 v[0:1], v[2:3]
.LBB168_44:
	s_endpgm
	.section	.rodata,"a",@progbits
	.p2align	6, 0x0
	.amdhsa_kernel _ZL50rocblas_symv_kernel_lower_double_buffered_diagonalILi32ELi4E24rocblas_internal_val_ptrIdEPKPKdPKPdEvbiT1_lT2_lllSA_lllS9_lT3_llli
		.amdhsa_group_segment_fixed_size 10496
		.amdhsa_private_segment_fixed_size 0
		.amdhsa_kernarg_size 140
		.amdhsa_user_sgpr_count 6
		.amdhsa_user_sgpr_private_segment_buffer 1
		.amdhsa_user_sgpr_dispatch_ptr 0
		.amdhsa_user_sgpr_queue_ptr 0
		.amdhsa_user_sgpr_kernarg_segment_ptr 1
		.amdhsa_user_sgpr_dispatch_id 0
		.amdhsa_user_sgpr_flat_scratch_init 0
		.amdhsa_user_sgpr_private_segment_size 0
		.amdhsa_wavefront_size32 1
		.amdhsa_uses_dynamic_stack 0
		.amdhsa_system_sgpr_private_segment_wavefront_offset 0
		.amdhsa_system_sgpr_workgroup_id_x 1
		.amdhsa_system_sgpr_workgroup_id_y 0
		.amdhsa_system_sgpr_workgroup_id_z 1
		.amdhsa_system_sgpr_workgroup_info 0
		.amdhsa_system_vgpr_workitem_id 1
		.amdhsa_next_free_vgpr 65
		.amdhsa_next_free_sgpr 20
		.amdhsa_reserve_vcc 1
		.amdhsa_reserve_flat_scratch 1
		.amdhsa_float_round_mode_32 0
		.amdhsa_float_round_mode_16_64 0
		.amdhsa_float_denorm_mode_32 3
		.amdhsa_float_denorm_mode_16_64 3
		.amdhsa_dx10_clamp 1
		.amdhsa_ieee_mode 1
		.amdhsa_fp16_overflow 0
		.amdhsa_workgroup_processor_mode 1
		.amdhsa_memory_ordered 1
		.amdhsa_forward_progress 1
		.amdhsa_shared_vgpr_count 0
		.amdhsa_exception_fp_ieee_invalid_op 0
		.amdhsa_exception_fp_denorm_src 0
		.amdhsa_exception_fp_ieee_div_zero 0
		.amdhsa_exception_fp_ieee_overflow 0
		.amdhsa_exception_fp_ieee_underflow 0
		.amdhsa_exception_fp_ieee_inexact 0
		.amdhsa_exception_int_div_zero 0
	.end_amdhsa_kernel
	.section	.text._ZL50rocblas_symv_kernel_lower_double_buffered_diagonalILi32ELi4E24rocblas_internal_val_ptrIdEPKPKdPKPdEvbiT1_lT2_lllSA_lllS9_lT3_llli,"axG",@progbits,_ZL50rocblas_symv_kernel_lower_double_buffered_diagonalILi32ELi4E24rocblas_internal_val_ptrIdEPKPKdPKPdEvbiT1_lT2_lllSA_lllS9_lT3_llli,comdat
.Lfunc_end168:
	.size	_ZL50rocblas_symv_kernel_lower_double_buffered_diagonalILi32ELi4E24rocblas_internal_val_ptrIdEPKPKdPKPdEvbiT1_lT2_lllSA_lllS9_lT3_llli, .Lfunc_end168-_ZL50rocblas_symv_kernel_lower_double_buffered_diagonalILi32ELi4E24rocblas_internal_val_ptrIdEPKPKdPKPdEvbiT1_lT2_lllSA_lllS9_lT3_llli
                                        ; -- End function
	.set _ZL50rocblas_symv_kernel_lower_double_buffered_diagonalILi32ELi4E24rocblas_internal_val_ptrIdEPKPKdPKPdEvbiT1_lT2_lllSA_lllS9_lT3_llli.num_vgpr, 31
	.set _ZL50rocblas_symv_kernel_lower_double_buffered_diagonalILi32ELi4E24rocblas_internal_val_ptrIdEPKPKdPKPdEvbiT1_lT2_lllSA_lllS9_lT3_llli.num_agpr, 0
	.set _ZL50rocblas_symv_kernel_lower_double_buffered_diagonalILi32ELi4E24rocblas_internal_val_ptrIdEPKPKdPKPdEvbiT1_lT2_lllSA_lllS9_lT3_llli.numbered_sgpr, 20
	.set _ZL50rocblas_symv_kernel_lower_double_buffered_diagonalILi32ELi4E24rocblas_internal_val_ptrIdEPKPKdPKPdEvbiT1_lT2_lllSA_lllS9_lT3_llli.num_named_barrier, 0
	.set _ZL50rocblas_symv_kernel_lower_double_buffered_diagonalILi32ELi4E24rocblas_internal_val_ptrIdEPKPKdPKPdEvbiT1_lT2_lllSA_lllS9_lT3_llli.private_seg_size, 0
	.set _ZL50rocblas_symv_kernel_lower_double_buffered_diagonalILi32ELi4E24rocblas_internal_val_ptrIdEPKPKdPKPdEvbiT1_lT2_lllSA_lllS9_lT3_llli.uses_vcc, 1
	.set _ZL50rocblas_symv_kernel_lower_double_buffered_diagonalILi32ELi4E24rocblas_internal_val_ptrIdEPKPKdPKPdEvbiT1_lT2_lllSA_lllS9_lT3_llli.uses_flat_scratch, 1
	.set _ZL50rocblas_symv_kernel_lower_double_buffered_diagonalILi32ELi4E24rocblas_internal_val_ptrIdEPKPKdPKPdEvbiT1_lT2_lllSA_lllS9_lT3_llli.has_dyn_sized_stack, 0
	.set _ZL50rocblas_symv_kernel_lower_double_buffered_diagonalILi32ELi4E24rocblas_internal_val_ptrIdEPKPKdPKPdEvbiT1_lT2_lllSA_lllS9_lT3_llli.has_recursion, 0
	.set _ZL50rocblas_symv_kernel_lower_double_buffered_diagonalILi32ELi4E24rocblas_internal_val_ptrIdEPKPKdPKPdEvbiT1_lT2_lllSA_lllS9_lT3_llli.has_indirect_call, 0
	.section	.AMDGPU.csdata,"",@progbits
; Kernel info:
; codeLenInByte = 2136
; TotalNumSgprs: 22
; NumVgprs: 31
; ScratchSize: 0
; MemoryBound: 0
; FloatMode: 240
; IeeeMode: 1
; LDSByteSize: 10496 bytes/workgroup (compile time only)
; SGPRBlocks: 0
; VGPRBlocks: 8
; NumSGPRsForWavesPerEU: 22
; NumVGPRsForWavesPerEU: 65
; Occupancy: 12
; WaveLimiterHint : 1
; COMPUTE_PGM_RSRC2:SCRATCH_EN: 0
; COMPUTE_PGM_RSRC2:USER_SGPR: 6
; COMPUTE_PGM_RSRC2:TRAP_HANDLER: 0
; COMPUTE_PGM_RSRC2:TGID_X_EN: 1
; COMPUTE_PGM_RSRC2:TGID_Y_EN: 0
; COMPUTE_PGM_RSRC2:TGID_Z_EN: 1
; COMPUTE_PGM_RSRC2:TIDIG_COMP_CNT: 1
	.section	.text._ZL54rocblas_symv_kernel_lower_double_buffered_non_diagonalILi32ELi4ELi4E24rocblas_internal_val_ptrIdEPKPKdPKPdEvbiT2_lT3_lllSA_lllT4_llli,"axG",@progbits,_ZL54rocblas_symv_kernel_lower_double_buffered_non_diagonalILi32ELi4ELi4E24rocblas_internal_val_ptrIdEPKPKdPKPdEvbiT2_lT3_lllSA_lllT4_llli,comdat
	.globl	_ZL54rocblas_symv_kernel_lower_double_buffered_non_diagonalILi32ELi4ELi4E24rocblas_internal_val_ptrIdEPKPKdPKPdEvbiT2_lT3_lllSA_lllT4_llli ; -- Begin function _ZL54rocblas_symv_kernel_lower_double_buffered_non_diagonalILi32ELi4ELi4E24rocblas_internal_val_ptrIdEPKPKdPKPdEvbiT2_lT3_lllSA_lllT4_llli
	.p2align	8
	.type	_ZL54rocblas_symv_kernel_lower_double_buffered_non_diagonalILi32ELi4ELi4E24rocblas_internal_val_ptrIdEPKPKdPKPdEvbiT2_lT3_lllSA_lllT4_llli,@function
_ZL54rocblas_symv_kernel_lower_double_buffered_non_diagonalILi32ELi4ELi4E24rocblas_internal_val_ptrIdEPKPKdPKPdEvbiT2_lT3_lllSA_lllT4_llli: ; @_ZL54rocblas_symv_kernel_lower_double_buffered_non_diagonalILi32ELi4ELi4E24rocblas_internal_val_ptrIdEPKPKdPKPdEvbiT2_lT3_lllSA_lllT4_llli
; %bb.0:
	s_clause 0x2
	s_load_dword s0, s[4:5], 0x0
	s_load_dwordx8 s[12:19], s[4:5], 0x8
	s_load_dwordx2 s[20:21], s[4:5], 0x28
	s_waitcnt lgkmcnt(0)
	s_bitcmp1_b32 s0, 0
	v_mov_b32_e32 v5, s12
	v_mov_b32_e32 v6, s13
	s_cselect_b32 s0, -1, 0
	s_and_b32 vcc_lo, exec_lo, s0
	s_cbranch_vccnz .LBB169_2
; %bb.1:
	s_mul_i32 s0, s15, s8
	s_mul_hi_u32 s1, s14, s8
	s_add_i32 s1, s1, s0
	s_mul_i32 s0, s14, s8
	s_lshl_b64 s[0:1], s[0:1], 3
	s_add_u32 s0, s12, s0
	s_addc_u32 s1, s13, s1
	v_mov_b32_e32 v3, s1
	v_mov_b32_e32 v2, s0
	flat_load_dwordx2 v[5:6], v[2:3]
.LBB169_2:
	s_mov_b32 s0, exec_lo
	s_waitcnt vmcnt(0) lgkmcnt(0)
	v_cmpx_neq_f64_e32 0, v[5:6]
	s_cbranch_execz .LBB169_27
; %bb.3:
	s_load_dwordx2 s[0:1], s[4:5], 0x80
	s_waitcnt lgkmcnt(0)
	v_cvt_f32_u32_e32 v2, s1
	s_add_i32 s2, s0, -1
	s_cmp_eq_u32 s6, s2
	v_rcp_iflag_f32_e32 v2, v2
	v_mul_f32_e32 v2, 0x4f7ffffe, v2
	v_cvt_u32_f32_e32 v2, v2
	v_readfirstlane_b32 s3, v2
	s_cbranch_scc1 .LBB169_27
; %bb.4:
	s_clause 0x1
	s_load_dwordx4 s[24:27], s[4:5], 0x38
	s_load_dwordx2 s[10:11], s[4:5], 0x58
	s_sub_i32 s14, 0, s1
	s_not_b32 s2, s6
	s_mul_i32 s14, s14, s3
	s_mov_b32 s9, 0
	s_add_i32 s2, s0, s2
	s_mul_hi_u32 s0, s3, s14
	s_lshl_b64 s[14:15], s[8:9], 3
	s_add_i32 s3, s3, s0
	s_add_u32 s8, s16, s14
	s_addc_u32 s9, s17, s15
	s_load_dwordx2 s[12:13], s[4:5], 0x48
	v_cmp_eq_u32_e32 vcc_lo, 0, v1
	s_mul_hi_u32 s3, s2, s3
	s_waitcnt lgkmcnt(0)
	s_add_u32 s16, s24, s14
	s_addc_u32 s17, s25, s15
	s_add_u32 s10, s10, s14
	s_load_dwordx2 s[16:17], s[16:17], 0x0
	s_addc_u32 s11, s11, s15
	s_lshl_b64 s[14:15], s[26:27], 3
	s_waitcnt lgkmcnt(0)
	s_add_u32 s0, s16, s14
	s_addc_u32 s16, s17, s15
	s_lshl_b32 s6, s6, 5
	s_ashr_i32 s23, s6, 31
	s_mul_hi_u32 s14, s12, s6
	s_mul_i32 s15, s12, s23
	s_mul_i32 s17, s13, s6
	s_add_i32 s15, s14, s15
	s_mul_i32 s14, s12, s6
	s_add_i32 s15, s15, s17
	s_lshl_b64 s[14:15], s[14:15], 3
	s_add_u32 s17, s0, s14
	s_addc_u32 s16, s16, s15
	s_and_saveexec_b32 s14, vcc_lo
	s_cbranch_execz .LBB169_6
; %bb.5:
	v_mad_u64_u32 v[2:3], null, s12, v0, 0
	v_mad_u64_u32 v[3:4], null, s13, v0, v[3:4]
	v_lshlrev_b32_e32 v4, 3, v0
	v_lshlrev_b64 v[2:3], 3, v[2:3]
	v_add_co_u32 v2, s0, s17, v2
	v_add_co_ci_u32_e64 v3, null, s16, v3, s0
	flat_load_dwordx2 v[2:3], v[2:3]
	s_waitcnt vmcnt(0) lgkmcnt(0)
	ds_write_b64 v4, v[2:3] offset:6144
.LBB169_6:
	s_or_b32 exec_lo, exec_lo, s14
	s_mul_i32 s0, s3, s1
	s_add_i32 s14, s3, 1
	s_sub_i32 s0, s2, s0
	s_sub_i32 s15, s0, s1
	s_cmp_ge_u32 s0, s1
	s_cselect_b32 s3, s14, s3
	s_cselect_b32 s0, s15, s0
	s_add_i32 s14, s3, 1
	s_cmp_ge_u32 s0, s1
	s_cselect_b32 s24, s14, s3
	s_add_i32 s0, s1, -1
	s_mov_b32 s22, s24
	s_cmp_lg_u32 s7, s0
	s_cbranch_scc1 .LBB169_8
; %bb.7:
	s_mul_i32 s0, s24, s1
	s_sub_i32 s0, s2, s0
	s_add_i32 s22, s0, s24
.LBB169_8:
	s_cmp_eq_u32 s22, 0
	s_cbranch_scc1 .LBB169_27
; %bb.9:
	s_load_dwordx4 s[0:3], s[4:5], 0x60
	s_load_dwordx2 s[4:5], s[10:11], 0x0
	v_lshl_add_u32 v1, v1, 5, v0
	v_and_b32_e32 v7, 15, v0
	s_waitcnt lgkmcnt(0)
	s_barrier
	buffer_gl0_inv
	v_lshrrev_b32_e32 v58, 4, v1
	s_lshl_b64 s[0:1], s[0:1], 3
	s_mul_i32 s10, s2, s23
	s_mul_hi_u32 s11, s2, s6
	s_add_u32 s4, s4, s0
	s_mul_i32 s14, s3, s6
	s_addc_u32 s5, s5, s1
	s_add_i32 s1, s11, s10
	s_mul_i32 s0, s2, s6
	s_add_i32 s1, s1, s14
	s_lshl_b64 s[0:1], s[0:1], 3
	s_add_u32 s14, s4, s0
	s_addc_u32 s15, s5, s1
	s_cmp_lt_i32 s22, 1
	s_cbranch_scc1 .LBB169_18
; %bb.10:
	s_load_dwordx2 s[0:1], s[8:9], 0x0
	v_lshlrev_b32_e32 v3, 2, v58
	v_mov_b32_e32 v8, 0
	s_mul_i32 s7, s7, s24
	s_lshl_b64 s[4:5], s[18:19], 3
	s_lshl_b32 s8, s7, 5
	v_or_b32_e32 v14, 16, v7
	v_mad_u64_u32 v[1:2], null, s20, v3, v[7:8]
	s_ashr_i32 s9, s8, 31
	s_mul_hi_u32 s18, s12, s8
	v_lshl_or_b32 v18, v7, 3, 0x1000
	v_lshlrev_b32_e32 v19, 8, v58
	v_lshl_add_u32 v61, v58, 5, 0x1800
	v_lshl_or_b32 v59, v0, 3, 0x1000
	v_mad_u64_u32 v[2:3], null, s21, v3, v[2:3]
	v_add_nc_u32_e32 v60, v18, v19
	s_waitcnt lgkmcnt(0)
	s_add_u32 s4, s0, s4
	s_addc_u32 s5, s1, s5
	s_add_u32 s0, s20, 1
	s_addc_u32 s1, s21, 0
	s_mul_i32 s7, s0, s23
	s_mul_hi_u32 s10, s0, s6
	s_mul_i32 s1, s1, s6
	s_add_i32 s7, s10, s7
	s_mul_i32 s0, s0, s6
	s_add_i32 s1, s7, s1
	v_lshlrev_b64 v[8:9], 3, v[1:2]
	s_lshl_b64 s[0:1], s[0:1], 3
	s_add_u32 s4, s4, s0
	s_addc_u32 s5, s5, s1
	s_lshl_b64 s[0:1], s[8:9], 3
	s_add_u32 s6, s4, s0
	s_addc_u32 s7, s5, s1
	v_add_co_u32 v1, s0, s6, v8
	v_add_co_ci_u32_e64 v2, null, s7, v9, s0
	s_lshl_b64 s[4:5], s[20:21], 3
	s_mul_hi_u32 s1, s2, s8
	v_add_co_u32 v3, s0, v1, s4
	v_add_co_ci_u32_e64 v4, null, s5, v2, s0
	s_lshl_b64 s[10:11], s[12:13], 8
	v_add_co_u32 v10, s0, v3, s4
	v_add_co_ci_u32_e64 v11, null, s5, v4, s0
	v_add_co_u32 v12, s0, v10, s4
	v_add_co_ci_u32_e64 v13, null, s5, v11, s0
	s_clause 0x3
	flat_load_dwordx2 v[26:27], v[1:2] offset:256
	flat_load_dwordx2 v[28:29], v[3:4] offset:256
	;; [unrolled: 1-line block ×4, first 2 shown]
	v_mad_u64_u32 v[1:2], null, s12, v7, 0
	v_mad_u64_u32 v[3:4], null, s12, v14, 0
	;; [unrolled: 1-line block ×3, first 2 shown]
	s_mul_i32 s0, s2, s9
	s_mul_i32 s9, s12, s9
	s_add_i32 s0, s1, s0
	s_mul_i32 s1, s3, s8
	v_mad_u64_u32 v[12:13], null, s13, v7, v[2:3]
	v_mov_b32_e32 v2, v11
	v_mad_u64_u32 v[13:14], null, s13, v14, v[4:5]
	s_add_i32 s1, s0, s1
	s_mul_i32 s0, s2, s8
	v_mad_u64_u32 v[14:15], null, s3, v0, v[2:3]
	s_lshl_b64 s[0:1], s[0:1], 3
	v_mov_b32_e32 v2, v12
	s_add_u32 s0, s14, s0
	v_mov_b32_e32 v4, v13
	s_addc_u32 s1, s15, s1
	s_add_i32 s9, s18, s9
	v_mov_b32_e32 v11, v14
	s_mul_i32 s18, s13, s8
	s_mul_i32 s8, s12, s8
	s_add_i32 s9, s9, s18
	v_mov_b32_e32 v14, 0
	s_lshl_b64 s[8:9], s[8:9], 3
	v_lshlrev_b64 v[20:21], 3, v[1:2]
	v_lshlrev_b64 v[16:17], 3, v[3:4]
	;; [unrolled: 1-line block ×3, first 2 shown]
	v_mov_b32_e32 v15, 0
	s_add_u32 s12, s17, s8
	s_addc_u32 s13, s16, s9
	s_lshl_b64 s[8:9], s[2:3], 8
	s_cmp_eq_u32 s22, 1
	s_cbranch_scc1 .LBB169_19
; %bb.11:
	s_add_u32 s6, s6, 0x100
	v_mov_b32_e32 v18, 0
	v_mov_b32_e32 v24, 0
	;; [unrolled: 1-line block ×5, first 2 shown]
	s_addc_u32 s7, s7, 0
	s_lshl_b64 s[18:19], s[20:21], 4
	v_mov_b32_e32 v19, 0
	v_mov_b32_e32 v25, 0
	;; [unrolled: 1-line block ×5, first 2 shown]
	s_add_i32 s16, s22, -2
	s_sub_u32 s17, 0, s18
	s_subb_u32 s18, 0, s19
	s_mov_b32 s19, 0
.LBB169_12:                             ; =>This Loop Header: Depth=1
                                        ;     Child Loop BB169_14 Depth 2
	v_add_co_u32 v1, s0, s6, v8
	v_add_co_ci_u32_e64 v2, null, s7, v9, s0
	s_add_u32 s12, s12, s10
	v_add_co_u32 v3, s0, v1, s4
	flat_load_dwordx2 v[42:43], v[1:2] offset:128
	v_add_co_ci_u32_e64 v4, null, s5, v2, s0
	s_addc_u32 s13, s13, s11
	flat_load_dwordx2 v[44:45], v[3:4] offset:128
	v_add_co_u32 v3, s0, v3, s4
	v_add_co_ci_u32_e64 v4, null, s5, v4, s0
	flat_load_dwordx2 v[46:47], v[3:4] offset:128
	v_add_co_u32 v3, s0, v3, s4
	v_add_co_ci_u32_e64 v4, null, s5, v4, s0
	;; [unrolled: 3-line block ×3, first 2 shown]
	v_add_co_u32 v34, s0, s12, v20
	v_add_co_ci_u32_e64 v35, null, s13, v21, s0
	v_add_co_u32 v36, s0, v3, s4
	v_add_co_ci_u32_e64 v37, null, s5, v4, s0
	;; [unrolled: 2-line block ×4, first 2 shown]
	s_clause 0x1
	flat_load_dwordx2 v[52:53], v[34:35]
	flat_load_dwordx2 v[50:51], v[38:39]
	s_clause 0x3
	flat_load_dwordx2 v[40:41], v[1:2] offset:256
	flat_load_dwordx2 v[38:39], v[3:4] offset:256
	flat_load_dwordx2 v[36:37], v[36:37] offset:256
	flat_load_dwordx2 v[34:35], v[54:55] offset:256
	ds_read_b128 v[1:4], v61
	ds_read_b128 v[54:57], v61 offset:16
	s_waitcnt vmcnt(0) lgkmcnt(0)
	s_barrier
	buffer_gl0_inv
	v_fma_f64 v[62:63], v[26:27], v[1:2], 0
	v_fma_f64 v[62:63], v[28:29], v[3:4], v[62:63]
	;; [unrolled: 1-line block ×8, first 2 shown]
	ds_write2_b64 v60, v[3:4], v[1:2] offset1:16
	s_waitcnt lgkmcnt(0)
	s_barrier
	buffer_gl0_inv
	s_and_saveexec_b32 s1, vcc_lo
	s_cbranch_execz .LBB169_16
; %bb.13:                               ;   in Loop: Header=BB169_12 Depth=1
	v_add_co_u32 v12, s0, v12, s8
	v_add_co_ci_u32_e64 v13, null, s9, v13, s0
	ds_read2_b64 v[62:65], v59 offset1:32
	v_add_co_u32 v54, s0, v12, v10
	v_add_co_ci_u32_e64 v55, null, v13, v11, s0
	s_mov_b32 s20, 0
	flat_load_dwordx2 v[3:4], v[54:55]
	s_waitcnt lgkmcnt(1)
	v_add_f64 v[1:2], v[62:63], 0
	v_add_f64 v[1:2], v[1:2], v[64:65]
	ds_read2_b64 v[62:65], v59 offset0:64 offset1:96
	s_waitcnt lgkmcnt(0)
	v_add_f64 v[1:2], v[1:2], v[62:63]
	v_add_f64 v[1:2], v[1:2], v[64:65]
	ds_read2_b64 v[62:65], v59 offset0:128 offset1:160
	s_waitcnt lgkmcnt(0)
	v_add_f64 v[1:2], v[1:2], v[62:63]
	v_add_f64 v[1:2], v[1:2], v[64:65]
	ds_read2_b64 v[62:65], v59 offset0:192 offset1:224
	s_waitcnt lgkmcnt(0)
	v_add_f64 v[1:2], v[1:2], v[62:63]
	v_add_f64 v[1:2], v[1:2], v[64:65]
	v_mul_f64 v[56:57], v[5:6], v[1:2]
.LBB169_14:                             ;   Parent Loop BB169_12 Depth=1
                                        ; =>  This Inner Loop Header: Depth=2
	s_waitcnt vmcnt(0)
	v_add_f64 v[1:2], v[3:4], v[56:57]
	flat_atomic_cmpswap_x2 v[1:2], v[54:55], v[1:4] glc
	s_waitcnt vmcnt(0) lgkmcnt(0)
	v_cmp_eq_u64_e64 s0, v[1:2], v[3:4]
	v_mov_b32_e32 v4, v2
	v_mov_b32_e32 v3, v1
	s_or_b32 s20, s0, s20
	s_andn2_b32 exec_lo, exec_lo, s20
	s_cbranch_execnz .LBB169_14
; %bb.15:                               ;   in Loop: Header=BB169_12 Depth=1
	s_or_b32 exec_lo, exec_lo, s20
.LBB169_16:                             ;   in Loop: Header=BB169_12 Depth=1
	s_or_b32 exec_lo, exec_lo, s1
	v_fma_f64 v[1:2], v[52:53], v[26:27], v[18:19]
	v_fma_f64 v[3:4], v[52:53], v[28:29], v[24:25]
	;; [unrolled: 1-line block ×4, first 2 shown]
	s_add_u32 s0, s6, 0x100
	s_addc_u32 s1, s7, 0
	s_add_i32 s20, s19, 1
	s_cmp_eq_u32 s19, s16
	v_fma_f64 v[18:19], v[50:51], v[42:43], v[1:2]
	v_fma_f64 v[24:25], v[50:51], v[44:45], v[3:4]
	;; [unrolled: 1-line block ×4, first 2 shown]
	s_cbranch_scc1 .LBB169_20
; %bb.17:                               ;   in Loop: Header=BB169_12 Depth=1
	v_mov_b32_e32 v26, v40
	v_mov_b32_e32 v28, v38
	;; [unrolled: 1-line block ×8, first 2 shown]
	s_mov_b32 s19, s20
	s_mov_b64 s[6:7], s[0:1]
	s_branch .LBB169_12
.LBB169_18:
	v_mov_b32_e32 v1, 0
	v_mov_b32_e32 v3, 0
	;; [unrolled: 1-line block ×8, first 2 shown]
	s_branch .LBB169_24
.LBB169_19:
	v_mov_b32_e32 v13, s1
	s_waitcnt vmcnt(0) lgkmcnt(0)
	v_mov_b32_e32 v35, v33
	v_mov_b32_e32 v37, v31
	;; [unrolled: 1-line block ×15, first 2 shown]
.LBB169_20:
	v_add_co_u32 v1, s0, s6, v8
	v_add_co_ci_u32_e64 v2, null, s7, v9, s0
	s_add_u32 s1, s12, s10
	s_addc_u32 s6, s13, s11
	flat_load_dwordx2 v[8:9], v[1:2] offset:384
	v_add_co_u32 v1, s0, v1, s4
	v_add_co_ci_u32_e64 v2, null, s5, v2, s0
	flat_load_dwordx2 v[26:27], v[1:2] offset:384
	v_add_co_u32 v1, s0, v1, s4
	v_add_co_ci_u32_e64 v2, null, s5, v2, s0
	;; [unrolled: 3-line block ×3, first 2 shown]
	v_add_co_u32 v3, s0, s1, v20
	v_add_co_ci_u32_e64 v4, null, s6, v21, s0
	flat_load_dwordx2 v[20:21], v[1:2] offset:384
	flat_load_dwordx2 v[42:43], v[3:4]
	v_add_co_u32 v1, s0, s1, v16
	v_add_co_ci_u32_e64 v2, null, s6, v17, s0
	flat_load_dwordx2 v[16:17], v[1:2]
	ds_read_b128 v[1:4], v61
	ds_read_b128 v[30:33], v61 offset:16
	s_waitcnt vmcnt(0) lgkmcnt(0)
	s_barrier
	buffer_gl0_inv
	v_fma_f64 v[44:45], v[40:41], v[1:2], 0
	v_fma_f64 v[44:45], v[38:39], v[3:4], v[44:45]
	;; [unrolled: 1-line block ×12, first 2 shown]
	ds_write2_b64 v60, v[3:4], v[1:2] offset1:16
	s_waitcnt lgkmcnt(0)
	s_barrier
	buffer_gl0_inv
	s_and_saveexec_b32 s1, vcc_lo
	s_cbranch_execz .LBB169_23
; %bb.21:
	v_add_co_u32 v1, s0, v12, s8
	v_add_co_ci_u32_e64 v2, null, s9, v13, s0
	ds_read2_b64 v[30:33], v59 offset1:32
	v_add_co_u32 v10, s0, v1, v10
	v_add_co_ci_u32_e64 v11, null, v2, v11, s0
	s_mov_b32 s4, 0
	flat_load_dwordx2 v[3:4], v[10:11]
	s_waitcnt lgkmcnt(1)
	v_add_f64 v[1:2], v[30:31], 0
	v_add_f64 v[1:2], v[1:2], v[32:33]
	ds_read2_b64 v[30:33], v59 offset0:64 offset1:96
	s_waitcnt lgkmcnt(0)
	v_add_f64 v[1:2], v[1:2], v[30:31]
	v_add_f64 v[1:2], v[1:2], v[32:33]
	ds_read2_b64 v[30:33], v59 offset0:128 offset1:160
	;; [unrolled: 4-line block ×3, first 2 shown]
	s_waitcnt lgkmcnt(0)
	v_add_f64 v[1:2], v[1:2], v[30:31]
	v_add_f64 v[1:2], v[1:2], v[32:33]
	v_mul_f64 v[12:13], v[5:6], v[1:2]
.LBB169_22:                             ; =>This Inner Loop Header: Depth=1
	s_waitcnt vmcnt(0)
	v_add_f64 v[1:2], v[3:4], v[12:13]
	flat_atomic_cmpswap_x2 v[1:2], v[10:11], v[1:4] glc
	s_waitcnt vmcnt(0) lgkmcnt(0)
	v_cmp_eq_u64_e64 s0, v[1:2], v[3:4]
	v_mov_b32_e32 v4, v2
	v_mov_b32_e32 v3, v1
	s_or_b32 s4, s0, s4
	s_andn2_b32 exec_lo, exec_lo, s4
	s_cbranch_execnz .LBB169_22
.LBB169_23:
	s_or_b32 exec_lo, exec_lo, s1
	v_fma_f64 v[10:11], v[16:17], v[8:9], v[18:19]
	v_fma_f64 v[8:9], v[16:17], v[26:27], v[24:25]
	;; [unrolled: 1-line block ×4, first 2 shown]
.LBB169_24:
	v_lshlrev_b32_e32 v12, 9, v58
	v_lshl_or_b32 v12, v7, 3, v12
	ds_write2_b64 v12, v[10:11], v[8:9] offset1:16
	ds_write2_b64 v12, v[3:4], v[1:2] offset0:32 offset1:48
	s_waitcnt lgkmcnt(0)
	s_barrier
	buffer_gl0_inv
	s_and_b32 exec_lo, exec_lo, vcc_lo
	s_cbranch_execz .LBB169_27
; %bb.25:
	v_lshlrev_b32_e32 v20, 7, v0
	v_add_nc_u32_e32 v3, 1, v0
	v_add_nc_u32_e32 v4, 2, v0
	v_add_nc_u32_e32 v8, 3, v0
	v_mad_u64_u32 v[12:13], null, s2, v0, 0
	v_lshl_or_b32 v1, v7, 3, v20
	v_and_b32_e32 v3, 15, v3
	v_and_b32_e32 v4, 15, v4
	;; [unrolled: 1-line block ×3, first 2 shown]
	v_add_nc_u32_e32 v14, 7, v0
	ds_read_b64 v[1:2], v1
	v_lshl_or_b32 v3, v3, 3, v20
	v_lshl_or_b32 v9, v4, 3, v20
	v_lshl_or_b32 v10, v8, 3, v20
	ds_read_b64 v[3:4], v3
	ds_read_b64 v[8:9], v9
	ds_read_b64 v[10:11], v10
	v_and_b32_e32 v14, 15, v14
	s_mov_b32 s0, 0
	v_lshl_or_b32 v18, v14, 3, v20
	s_waitcnt lgkmcnt(3)
	v_add_f64 v[1:2], v[1:2], 0
	s_waitcnt lgkmcnt(2)
	v_add_f64 v[1:2], v[1:2], v[3:4]
	v_mov_b32_e32 v3, v13
	v_mad_u64_u32 v[3:4], null, s3, v0, v[3:4]
	v_mov_b32_e32 v13, v3
	v_lshlrev_b64 v[3:4], 3, v[12:13]
	s_waitcnt lgkmcnt(1)
	v_add_f64 v[12:13], v[1:2], v[8:9]
	v_add_nc_u32_e32 v1, 4, v0
	v_add_co_u32 v8, vcc_lo, s14, v3
	v_add_co_ci_u32_e64 v9, null, s15, v4, vcc_lo
	v_and_b32_e32 v1, 15, v1
	v_add_nc_u32_e32 v4, 6, v0
	flat_load_dwordx2 v[2:3], v[8:9]
	v_lshl_or_b32 v1, v1, 3, v20
	v_and_b32_e32 v4, 15, v4
	v_lshl_or_b32 v4, v4, 3, v20
	s_waitcnt lgkmcnt(1)
	v_add_f64 v[10:11], v[12:13], v[10:11]
	ds_read_b64 v[12:13], v1
	v_add_nc_u32_e32 v1, 5, v0
	v_and_b32_e32 v1, 15, v1
	v_lshl_or_b32 v1, v1, 3, v20
	ds_read_b64 v[14:15], v1
	ds_read_b64 v[16:17], v4
	;; [unrolled: 1-line block ×3, first 2 shown]
	v_xor_b32_e32 v1, 8, v7
	v_add_nc_u32_e32 v4, 10, v0
	v_add_nc_u32_e32 v7, 11, v0
	s_waitcnt lgkmcnt(3)
	v_add_f64 v[10:11], v[10:11], v[12:13]
	v_lshl_or_b32 v1, v1, 3, v20
	v_and_b32_e32 v4, 15, v4
	v_and_b32_e32 v7, 15, v7
	ds_read_b64 v[12:13], v1
	v_add_nc_u32_e32 v1, 9, v0
	v_lshl_or_b32 v4, v4, 3, v20
	v_lshl_or_b32 v7, v7, 3, v20
	v_and_b32_e32 v1, 15, v1
	v_lshl_or_b32 v1, v1, 3, v20
	s_waitcnt lgkmcnt(3)
	v_add_f64 v[10:11], v[10:11], v[14:15]
	s_waitcnt lgkmcnt(2)
	v_add_f64 v[10:11], v[10:11], v[16:17]
	;; [unrolled: 2-line block ×3, first 2 shown]
	ds_read_b64 v[14:15], v1
	ds_read_b64 v[16:17], v4
	;; [unrolled: 1-line block ×3, first 2 shown]
	v_add_nc_u32_e32 v1, 12, v0
	v_add_nc_u32_e32 v4, 14, v0
	v_and_b32_e32 v1, 15, v1
	v_and_b32_e32 v4, 15, v4
	v_lshl_or_b32 v1, v1, 3, v20
	v_lshl_or_b32 v4, v4, 3, v20
	s_waitcnt lgkmcnt(3)
	v_add_f64 v[10:11], v[10:11], v[12:13]
	ds_read_b64 v[12:13], v1
	v_add_nc_u32_e32 v1, 13, v0
	v_add_nc_u32_e32 v0, -1, v0
	v_and_b32_e32 v1, 15, v1
	v_and_b32_e32 v0, 15, v0
	v_lshl_or_b32 v1, v1, 3, v20
	v_lshl_or_b32 v7, v0, 3, v20
	s_waitcnt lgkmcnt(3)
	v_add_f64 v[10:11], v[10:11], v[14:15]
	s_waitcnt lgkmcnt(2)
	v_add_f64 v[10:11], v[10:11], v[16:17]
	ds_read_b64 v[0:1], v1
	ds_read_b64 v[14:15], v4
	;; [unrolled: 1-line block ×3, first 2 shown]
	s_waitcnt lgkmcnt(4)
	v_add_f64 v[10:11], v[10:11], v[18:19]
	s_waitcnt lgkmcnt(3)
	v_add_f64 v[10:11], v[10:11], v[12:13]
	;; [unrolled: 2-line block ×5, first 2 shown]
	v_mul_f64 v[4:5], v[5:6], v[0:1]
.LBB169_26:                             ; =>This Inner Loop Header: Depth=1
	s_waitcnt vmcnt(0)
	v_add_f64 v[0:1], v[2:3], v[4:5]
	flat_atomic_cmpswap_x2 v[0:1], v[8:9], v[0:3] glc
	s_waitcnt vmcnt(0) lgkmcnt(0)
	v_cmp_eq_u64_e32 vcc_lo, v[0:1], v[2:3]
	v_mov_b32_e32 v3, v1
	v_mov_b32_e32 v2, v0
	s_or_b32 s0, vcc_lo, s0
	s_andn2_b32 exec_lo, exec_lo, s0
	s_cbranch_execnz .LBB169_26
.LBB169_27:
	s_endpgm
	.section	.rodata,"a",@progbits
	.p2align	6, 0x0
	.amdhsa_kernel _ZL54rocblas_symv_kernel_lower_double_buffered_non_diagonalILi32ELi4ELi4E24rocblas_internal_val_ptrIdEPKPKdPKPdEvbiT2_lT3_lllSA_lllT4_llli
		.amdhsa_group_segment_fixed_size 6400
		.amdhsa_private_segment_fixed_size 0
		.amdhsa_kernarg_size 384
		.amdhsa_user_sgpr_count 6
		.amdhsa_user_sgpr_private_segment_buffer 1
		.amdhsa_user_sgpr_dispatch_ptr 0
		.amdhsa_user_sgpr_queue_ptr 0
		.amdhsa_user_sgpr_kernarg_segment_ptr 1
		.amdhsa_user_sgpr_dispatch_id 0
		.amdhsa_user_sgpr_flat_scratch_init 0
		.amdhsa_user_sgpr_private_segment_size 0
		.amdhsa_wavefront_size32 1
		.amdhsa_uses_dynamic_stack 0
		.amdhsa_system_sgpr_private_segment_wavefront_offset 0
		.amdhsa_system_sgpr_workgroup_id_x 1
		.amdhsa_system_sgpr_workgroup_id_y 1
		.amdhsa_system_sgpr_workgroup_id_z 1
		.amdhsa_system_sgpr_workgroup_info 0
		.amdhsa_system_vgpr_workitem_id 1
		.amdhsa_next_free_vgpr 66
		.amdhsa_next_free_sgpr 28
		.amdhsa_reserve_vcc 1
		.amdhsa_reserve_flat_scratch 1
		.amdhsa_float_round_mode_32 0
		.amdhsa_float_round_mode_16_64 0
		.amdhsa_float_denorm_mode_32 3
		.amdhsa_float_denorm_mode_16_64 3
		.amdhsa_dx10_clamp 1
		.amdhsa_ieee_mode 1
		.amdhsa_fp16_overflow 0
		.amdhsa_workgroup_processor_mode 1
		.amdhsa_memory_ordered 1
		.amdhsa_forward_progress 1
		.amdhsa_shared_vgpr_count 0
		.amdhsa_exception_fp_ieee_invalid_op 0
		.amdhsa_exception_fp_denorm_src 0
		.amdhsa_exception_fp_ieee_div_zero 0
		.amdhsa_exception_fp_ieee_overflow 0
		.amdhsa_exception_fp_ieee_underflow 0
		.amdhsa_exception_fp_ieee_inexact 0
		.amdhsa_exception_int_div_zero 0
	.end_amdhsa_kernel
	.section	.text._ZL54rocblas_symv_kernel_lower_double_buffered_non_diagonalILi32ELi4ELi4E24rocblas_internal_val_ptrIdEPKPKdPKPdEvbiT2_lT3_lllSA_lllT4_llli,"axG",@progbits,_ZL54rocblas_symv_kernel_lower_double_buffered_non_diagonalILi32ELi4ELi4E24rocblas_internal_val_ptrIdEPKPKdPKPdEvbiT2_lT3_lllSA_lllT4_llli,comdat
.Lfunc_end169:
	.size	_ZL54rocblas_symv_kernel_lower_double_buffered_non_diagonalILi32ELi4ELi4E24rocblas_internal_val_ptrIdEPKPKdPKPdEvbiT2_lT3_lllSA_lllT4_llli, .Lfunc_end169-_ZL54rocblas_symv_kernel_lower_double_buffered_non_diagonalILi32ELi4ELi4E24rocblas_internal_val_ptrIdEPKPKdPKPdEvbiT2_lT3_lllSA_lllT4_llli
                                        ; -- End function
	.set _ZL54rocblas_symv_kernel_lower_double_buffered_non_diagonalILi32ELi4ELi4E24rocblas_internal_val_ptrIdEPKPKdPKPdEvbiT2_lT3_lllSA_lllT4_llli.num_vgpr, 66
	.set _ZL54rocblas_symv_kernel_lower_double_buffered_non_diagonalILi32ELi4ELi4E24rocblas_internal_val_ptrIdEPKPKdPKPdEvbiT2_lT3_lllSA_lllT4_llli.num_agpr, 0
	.set _ZL54rocblas_symv_kernel_lower_double_buffered_non_diagonalILi32ELi4ELi4E24rocblas_internal_val_ptrIdEPKPKdPKPdEvbiT2_lT3_lllSA_lllT4_llli.numbered_sgpr, 28
	.set _ZL54rocblas_symv_kernel_lower_double_buffered_non_diagonalILi32ELi4ELi4E24rocblas_internal_val_ptrIdEPKPKdPKPdEvbiT2_lT3_lllSA_lllT4_llli.num_named_barrier, 0
	.set _ZL54rocblas_symv_kernel_lower_double_buffered_non_diagonalILi32ELi4ELi4E24rocblas_internal_val_ptrIdEPKPKdPKPdEvbiT2_lT3_lllSA_lllT4_llli.private_seg_size, 0
	.set _ZL54rocblas_symv_kernel_lower_double_buffered_non_diagonalILi32ELi4ELi4E24rocblas_internal_val_ptrIdEPKPKdPKPdEvbiT2_lT3_lllSA_lllT4_llli.uses_vcc, 1
	.set _ZL54rocblas_symv_kernel_lower_double_buffered_non_diagonalILi32ELi4ELi4E24rocblas_internal_val_ptrIdEPKPKdPKPdEvbiT2_lT3_lllSA_lllT4_llli.uses_flat_scratch, 1
	.set _ZL54rocblas_symv_kernel_lower_double_buffered_non_diagonalILi32ELi4ELi4E24rocblas_internal_val_ptrIdEPKPKdPKPdEvbiT2_lT3_lllSA_lllT4_llli.has_dyn_sized_stack, 0
	.set _ZL54rocblas_symv_kernel_lower_double_buffered_non_diagonalILi32ELi4ELi4E24rocblas_internal_val_ptrIdEPKPKdPKPdEvbiT2_lT3_lllSA_lllT4_llli.has_recursion, 0
	.set _ZL54rocblas_symv_kernel_lower_double_buffered_non_diagonalILi32ELi4ELi4E24rocblas_internal_val_ptrIdEPKPKdPKPdEvbiT2_lT3_lllSA_lllT4_llli.has_indirect_call, 0
	.section	.AMDGPU.csdata,"",@progbits
; Kernel info:
; codeLenInByte = 3248
; TotalNumSgprs: 30
; NumVgprs: 66
; ScratchSize: 0
; MemoryBound: 0
; FloatMode: 240
; IeeeMode: 1
; LDSByteSize: 6400 bytes/workgroup (compile time only)
; SGPRBlocks: 0
; VGPRBlocks: 8
; NumSGPRsForWavesPerEU: 30
; NumVGPRsForWavesPerEU: 66
; Occupancy: 12
; WaveLimiterHint : 1
; COMPUTE_PGM_RSRC2:SCRATCH_EN: 0
; COMPUTE_PGM_RSRC2:USER_SGPR: 6
; COMPUTE_PGM_RSRC2:TRAP_HANDLER: 0
; COMPUTE_PGM_RSRC2:TGID_X_EN: 1
; COMPUTE_PGM_RSRC2:TGID_Y_EN: 1
; COMPUTE_PGM_RSRC2:TGID_Z_EN: 1
; COMPUTE_PGM_RSRC2:TIDIG_COMP_CNT: 1
	.section	.text._ZL58rocblas_symv_kernel_lower_double_buffered_diagonal_genericILi32ELi4E24rocblas_internal_val_ptrIdEPKPKdPKPdEvbiT1_lT2_lllSA_lllS9_lT3_lllii,"axG",@progbits,_ZL58rocblas_symv_kernel_lower_double_buffered_diagonal_genericILi32ELi4E24rocblas_internal_val_ptrIdEPKPKdPKPdEvbiT1_lT2_lllSA_lllS9_lT3_lllii,comdat
	.globl	_ZL58rocblas_symv_kernel_lower_double_buffered_diagonal_genericILi32ELi4E24rocblas_internal_val_ptrIdEPKPKdPKPdEvbiT1_lT2_lllSA_lllS9_lT3_lllii ; -- Begin function _ZL58rocblas_symv_kernel_lower_double_buffered_diagonal_genericILi32ELi4E24rocblas_internal_val_ptrIdEPKPKdPKPdEvbiT1_lT2_lllSA_lllS9_lT3_lllii
	.p2align	8
	.type	_ZL58rocblas_symv_kernel_lower_double_buffered_diagonal_genericILi32ELi4E24rocblas_internal_val_ptrIdEPKPKdPKPdEvbiT1_lT2_lllSA_lllS9_lT3_lllii,@function
_ZL58rocblas_symv_kernel_lower_double_buffered_diagonal_genericILi32ELi4E24rocblas_internal_val_ptrIdEPKPKdPKPdEvbiT1_lT2_lllSA_lllS9_lT3_lllii: ; @_ZL58rocblas_symv_kernel_lower_double_buffered_diagonal_genericILi32ELi4E24rocblas_internal_val_ptrIdEPKPKdPKPdEvbiT1_lT2_lllSA_lllS9_lT3_lllii
; %bb.0:
	s_mov_b32 s18, s7
	s_clause 0x3
	s_load_dword s7, s[4:5], 0x0
	s_load_dwordx8 s[8:15], s[4:5], 0x8
	s_load_dwordx2 s[16:17], s[4:5], 0x28
	s_load_dwordx4 s[0:3], s[4:5], 0x58
	s_waitcnt lgkmcnt(0)
	s_bitcmp1_b32 s7, 0
	v_mov_b32_e32 v4, s8
	v_mov_b32_e32 v5, s9
	s_cselect_b32 s7, -1, 0
	s_and_b32 vcc_lo, exec_lo, s7
	s_xor_b32 s7, s7, -1
	s_cbranch_vccnz .LBB170_2
; %bb.1:
	s_mul_i32 s11, s11, s18
	s_mul_hi_u32 s19, s10, s18
	s_mul_i32 s10, s10, s18
	s_add_i32 s11, s19, s11
	s_lshl_b64 s[10:11], s[10:11], 3
	s_add_u32 s8, s8, s10
	s_addc_u32 s9, s9, s11
	v_mov_b32_e32 v2, s8
	v_mov_b32_e32 v3, s9
	flat_load_dwordx2 v[4:5], v[2:3]
.LBB170_2:
	v_mov_b32_e32 v3, s1
	v_mov_b32_e32 v2, s0
	s_andn2_b32 vcc_lo, exec_lo, s7
	s_cbranch_vccnz .LBB170_4
; %bb.3:
	s_mul_i32 s3, s3, s18
	s_mul_hi_u32 s7, s2, s18
	s_mul_i32 s2, s2, s18
	s_add_i32 s3, s7, s3
	s_lshl_b64 s[2:3], s[2:3], 3
	s_add_u32 s0, s0, s2
	s_addc_u32 s1, s1, s3
	v_mov_b32_e32 v3, s1
	v_mov_b32_e32 v2, s0
	flat_load_dwordx2 v[2:3], v[2:3]
.LBB170_4:
	s_waitcnt vmcnt(0) lgkmcnt(0)
	v_cmp_neq_f64_e32 vcc_lo, 0, v[4:5]
	v_cmp_neq_f64_e64 s0, 1.0, v[2:3]
	s_or_b32 s0, vcc_lo, s0
	s_and_saveexec_b32 s1, s0
	s_cbranch_execz .LBB170_71
; %bb.5:
	v_cmp_neq_f64_e64 s0, 0, v[4:5]
	v_cmp_eq_f64_e32 vcc_lo, 0, v[4:5]
	s_mov_b32 s19, 0
	v_mov_b32_e32 v10, s18
	v_mov_b32_e32 v11, s19
	s_and_saveexec_b32 s1, vcc_lo
	s_xor_b32 s1, exec_lo, s1
; %bb.6:
	v_mov_b32_e32 v10, s18
	v_mov_b32_e32 v11, s19
; %bb.7:
	s_or_saveexec_b32 s1, s1
	s_load_dwordx2 s[2:3], s[4:5], 0x68
	v_mov_b32_e32 v6, 0
	v_mov_b32_e32 v8, 0
	;; [unrolled: 1-line block ×4, first 2 shown]
	s_xor_b32 exec_lo, exec_lo, s1
	s_cbranch_execz .LBB170_9
; %bb.8:
	s_lshl_b64 s[8:9], s[18:19], 3
	s_add_u32 s8, s12, s8
	s_addc_u32 s9, s13, s9
	s_lshl_b64 s[10:11], s[14:15], 3
	s_load_dwordx2 s[8:9], s[8:9], 0x0
	s_waitcnt lgkmcnt(0)
	s_add_u32 s8, s8, s10
	s_addc_u32 s9, s9, s11
	v_mov_b32_e32 v8, s8
	v_mov_b32_e32 v9, s9
.LBB170_9:
	s_or_b32 exec_lo, exec_lo, s1
	s_clause 0x1
	s_load_dwordx4 s[8:11], s[4:5], 0x38
	s_load_dwordx2 s[12:13], s[4:5], 0x48
	v_lshlrev_b64 v[10:11], 3, v[10:11]
	s_and_saveexec_b32 s1, s0
	s_cbranch_execz .LBB170_11
; %bb.10:
	s_waitcnt lgkmcnt(0)
	v_add_co_u32 v6, s0, s8, v10
	v_add_co_ci_u32_e64 v7, null, s9, v11, s0
	s_lshl_b64 s[8:9], s[10:11], 3
	global_load_dwordx2 v[6:7], v[6:7], off
	s_waitcnt vmcnt(0)
	v_add_co_u32 v6, s0, v6, s8
	v_add_co_ci_u32_e64 v7, null, s9, v7, s0
.LBB170_11:
	s_or_b32 exec_lo, exec_lo, s1
	s_waitcnt lgkmcnt(0)
	v_add_co_u32 v10, s0, s2, v10
	v_add_co_ci_u32_e64 v11, null, s3, v11, s0
	s_clause 0x1
	s_load_dwordx4 s[0:3], s[4:5], 0x70
	s_load_dword s8, s[4:5], 0x88
	s_lshl_b32 s7, s6, 5
	global_load_dwordx2 v[10:11], v[10:11], off
	s_ashr_i32 s9, s7, 31
	s_waitcnt lgkmcnt(0)
	s_mul_i32 s10, s2, s9
	s_mul_hi_u32 s11, s2, s7
	s_lshl_b64 s[0:1], s[0:1], 3
	s_mul_i32 s14, s3, s7
	s_add_i32 s11, s11, s10
	s_mul_i32 s10, s2, s7
	s_add_i32 s11, s11, s14
	s_waitcnt vmcnt(0)
	v_add_co_u32 v10, s0, v10, s0
	v_add_co_ci_u32_e64 v11, null, s1, v11, s0
	s_lshl_b64 s[0:1], s[10:11], 3
	v_add_co_u32 v14, s0, v10, s0
	v_add_co_ci_u32_e64 v15, null, s1, v11, s0
	s_and_saveexec_b32 s0, vcc_lo
	s_xor_b32 s0, exec_lo, s0
	s_cbranch_execz .LBB170_18
; %bb.12:
	s_mov_b32 s1, exec_lo
	v_cmpx_eq_u32_e32 0, v1
	s_cbranch_execz .LBB170_17
; %bb.13:
	v_cmp_gt_i32_e64 s10, s8, v0
	s_mov_b32 s11, exec_lo
	v_cmpx_le_i32_e64 s8, v0
	s_cbranch_execz .LBB170_15
; %bb.14:
	s_load_dword s14, s[4:5], 0x90
	s_waitcnt lgkmcnt(0)
	s_add_i32 s14, s14, -1
	s_cmp_lt_u32 s6, s14
	s_cselect_b32 s14, -1, 0
	s_andn2_b32 s10, s10, exec_lo
	s_and_b32 s14, s14, exec_lo
	s_or_b32 s10, s10, s14
.LBB170_15:
	s_or_b32 exec_lo, exec_lo, s11
	s_and_b32 exec_lo, exec_lo, s10
	s_cbranch_execz .LBB170_17
; %bb.16:
	v_mad_u64_u32 v[4:5], null, s2, v0, 0
	v_mov_b32_e32 v1, v5
	v_mad_u64_u32 v[0:1], null, s3, v0, v[1:2]
	v_mov_b32_e32 v5, v0
	v_lshlrev_b64 v[0:1], 3, v[4:5]
	v_add_co_u32 v0, vcc_lo, v14, v0
	v_add_co_ci_u32_e64 v1, null, v15, v1, vcc_lo
	flat_load_dwordx2 v[4:5], v[0:1]
	s_waitcnt vmcnt(0) lgkmcnt(0)
	v_mul_f64 v[2:3], v[2:3], v[4:5]
	flat_store_dwordx2 v[0:1], v[2:3]
.LBB170_17:
	s_or_b32 exec_lo, exec_lo, s1
                                        ; implicit-def: $vgpr1
                                        ; implicit-def: $vgpr4_vgpr5
                                        ; implicit-def: $vgpr2_vgpr3
                                        ; implicit-def: $vgpr0
                                        ; implicit-def: $vgpr14
                                        ; implicit-def: $vgpr15
                                        ; implicit-def: $vgpr8_vgpr9
                                        ; implicit-def: $vgpr6_vgpr7
.LBB170_18:
	s_andn2_saveexec_b32 s0, s0
	s_cbranch_execz .LBB170_71
; %bb.19:
	s_load_dword s4, s[4:5], 0x90
	s_mul_i32 s0, s12, s9
	s_mul_hi_u32 s1, s12, s7
	s_mul_i32 s5, s13, s7
	s_add_i32 s1, s1, s0
	s_mul_i32 s0, s12, s7
	s_add_i32 s1, s1, s5
	s_lshl_b64 s[0:1], s[0:1], 3
	v_add_co_u32 v10, vcc_lo, v6, s0
	v_add_co_ci_u32_e64 v11, null, s1, v7, vcc_lo
	v_cmp_eq_u32_e64 s0, 0, v1
                                        ; implicit-def: $vgpr6_vgpr7
	s_waitcnt lgkmcnt(0)
	s_add_i32 s4, s4, -1
	s_cmp_lg_u32 s6, s4
	s_mov_b32 s4, -1
	s_cselect_b32 s1, -1, 0
	s_and_b32 vcc_lo, exec_lo, s1
	s_cbranch_vccz .LBB170_25
; %bb.20:
	v_mov_b32_e32 v6, 0
	v_mov_b32_e32 v7, 0
	s_and_saveexec_b32 s4, s0
	s_cbranch_execz .LBB170_24
; %bb.21:
	v_mad_u64_u32 v[6:7], null, s12, v0, 0
	v_lshlrev_b32_e32 v16, 3, v0
	s_mov_b32 s5, exec_lo
	v_mad_u64_u32 v[12:13], null, s13, v0, v[7:8]
	v_mov_b32_e32 v7, v12
	v_lshlrev_b64 v[6:7], 3, v[6:7]
	v_add_co_u32 v6, vcc_lo, v10, v6
	v_add_co_ci_u32_e64 v7, null, v11, v7, vcc_lo
	flat_load_dwordx2 v[12:13], v[6:7]
	v_mov_b32_e32 v6, 0
	v_mov_b32_e32 v7, 0
	s_waitcnt vmcnt(0) lgkmcnt(0)
	ds_write_b64 v16, v[12:13] offset:10240
	v_cmpx_neq_f64_e32 0, v[2:3]
	s_cbranch_execz .LBB170_23
; %bb.22:
	v_mad_u64_u32 v[6:7], null, s2, v0, 0
	v_mad_u64_u32 v[12:13], null, s3, v0, v[7:8]
	v_mov_b32_e32 v7, v12
	v_lshlrev_b64 v[6:7], 3, v[6:7]
	v_add_co_u32 v6, vcc_lo, v14, v6
	v_add_co_ci_u32_e64 v7, null, v15, v7, vcc_lo
	flat_load_dwordx2 v[6:7], v[6:7]
	s_waitcnt vmcnt(0) lgkmcnt(0)
	v_mul_f64 v[6:7], v[2:3], v[6:7]
.LBB170_23:
	s_or_b32 exec_lo, exec_lo, s5
.LBB170_24:
	s_or_b32 exec_lo, exec_lo, s4
	s_mov_b32 s4, 0
.LBB170_25:
	s_andn2_b32 vcc_lo, exec_lo, s4
	s_cbranch_vccnz .LBB170_35
; %bb.26:
	v_mov_b32_e32 v6, 0
	v_mov_b32_e32 v7, 0
	s_and_saveexec_b32 s4, s0
	s_cbranch_execz .LBB170_34
; %bb.27:
	s_mov_b32 s5, exec_lo
	v_cmpx_le_i32_e64 s8, v0
	s_xor_b32 s5, exec_lo, s5
	s_cbranch_execz .LBB170_29
; %bb.28:
	v_mov_b32_e32 v6, 0
	v_lshlrev_b32_e32 v10, 3, v0
                                        ; implicit-def: $vgpr11
	v_mov_b32_e32 v7, v6
	ds_write_b64 v10, v[6:7] offset:10240
                                        ; implicit-def: $vgpr10
.LBB170_29:
	s_or_saveexec_b32 s5, s5
	v_mov_b32_e32 v6, 0
	v_mov_b32_e32 v7, 0
	s_xor_b32 exec_lo, exec_lo, s5
	s_cbranch_execz .LBB170_33
; %bb.30:
	v_mad_u64_u32 v[6:7], null, s12, v0, 0
	s_mov_b32 s6, exec_lo
	v_mad_u64_u32 v[12:13], null, s13, v0, v[7:8]
	v_mov_b32_e32 v7, v12
	v_lshlrev_b32_e32 v12, 3, v0
	v_lshlrev_b64 v[6:7], 3, v[6:7]
	v_add_co_u32 v6, vcc_lo, v10, v6
	v_add_co_ci_u32_e64 v7, null, v11, v7, vcc_lo
	flat_load_dwordx2 v[10:11], v[6:7]
	v_mov_b32_e32 v6, 0
	v_mov_b32_e32 v7, 0
	s_waitcnt vmcnt(0) lgkmcnt(0)
	ds_write_b64 v12, v[10:11] offset:10240
	v_cmpx_neq_f64_e32 0, v[2:3]
	s_cbranch_execz .LBB170_32
; %bb.31:
	v_mad_u64_u32 v[6:7], null, s2, v0, 0
	v_mad_u64_u32 v[10:11], null, s3, v0, v[7:8]
	v_mov_b32_e32 v7, v10
	v_lshlrev_b64 v[6:7], 3, v[6:7]
	v_add_co_u32 v6, vcc_lo, v14, v6
	v_add_co_ci_u32_e64 v7, null, v15, v7, vcc_lo
	flat_load_dwordx2 v[6:7], v[6:7]
	s_waitcnt vmcnt(0) lgkmcnt(0)
	v_mul_f64 v[6:7], v[2:3], v[6:7]
.LBB170_32:
	s_or_b32 exec_lo, exec_lo, s6
.LBB170_33:
	s_or_b32 exec_lo, exec_lo, s5
.LBB170_34:
	s_or_b32 exec_lo, exec_lo, s4
.LBB170_35:
	v_mad_u64_u32 v[10:11], null, s16, v1, 0
	s_add_u32 s4, s16, 1
	s_addc_u32 s5, s17, 0
	s_mul_i32 s6, s4, s9
	s_mul_hi_u32 s9, s4, s7
	s_mul_i32 s5, s5, s7
	s_add_i32 s6, s9, s6
	v_mad_u64_u32 v[11:12], null, s17, v1, v[11:12]
	s_mul_i32 s4, s4, s7
	s_add_i32 s5, s6, s5
	v_lshlrev_b32_e32 v16, 3, v0
	s_lshl_b64 s[4:5], s[4:5], 3
	v_lshlrev_b32_e32 v17, 8, v1
	v_lshlrev_b32_e32 v19, 5, v1
	v_lshlrev_b64 v[12:13], 3, v[10:11]
	v_add_co_u32 v10, vcc_lo, v8, s4
	v_add_co_ci_u32_e64 v11, null, s5, v9, vcc_lo
	v_add_nc_u32_e32 v17, v16, v17
	v_add_co_u32 v10, vcc_lo, v10, v12
	v_add_co_ci_u32_e64 v11, null, v11, v13, vcc_lo
	s_mov_b32 s6, -1
	v_add_co_u32 v10, vcc_lo, v10, v16
	v_add_co_ci_u32_e64 v11, null, 0, v11, vcc_lo
	s_andn2_b32 vcc_lo, exec_lo, s1
	s_cbranch_vccnz .LBB170_37
; %bb.36:
	s_lshl_b64 s[6:7], s[16:17], 5
	v_add_co_u32 v20, vcc_lo, v10, s6
	v_add_co_ci_u32_e64 v21, null, s7, v11, vcc_lo
	v_add_co_u32 v22, vcc_lo, v20, s6
	v_add_co_ci_u32_e64 v23, null, s7, v21, vcc_lo
	;; [unrolled: 2-line block ×7, first 2 shown]
	s_clause 0x7
	flat_load_dwordx2 v[34:35], v[10:11]
	flat_load_dwordx2 v[20:21], v[20:21]
	;; [unrolled: 1-line block ×8, first 2 shown]
	s_mov_b32 s6, 0
	s_waitcnt vmcnt(6) lgkmcnt(6)
	ds_write2st64_b64 v17, v[34:35], v[20:21] offset1:2
	s_waitcnt vmcnt(4) lgkmcnt(5)
	ds_write2st64_b64 v17, v[22:23], v[24:25] offset0:4 offset1:6
	s_waitcnt vmcnt(2) lgkmcnt(4)
	ds_write2st64_b64 v17, v[26:27], v[28:29] offset0:8 offset1:10
	;; [unrolled: 2-line block ×3, first 2 shown]
.LBB170_37:
	v_add_nc_u32_e32 v18, v19, v0
	s_andn2_b32 vcc_lo, exec_lo, s6
	s_cbranch_vccnz .LBB170_45
; %bb.38:
	s_mov_b32 s6, 0
	s_mov_b32 s7, s6
	v_mov_b32_e32 v21, s7
	v_mov_b32_e32 v20, s6
	s_mov_b32 s7, exec_lo
	ds_write2st64_b64 v17, v[20:21], v[20:21] offset1:2
	ds_write2st64_b64 v17, v[20:21], v[20:21] offset0:4 offset1:6
	ds_write2st64_b64 v17, v[20:21], v[20:21] offset0:8 offset1:10
	;; [unrolled: 1-line block ×3, first 2 shown]
	v_cmpx_gt_i32_e64 s8, v0
	s_cbranch_execz .LBB170_44
; %bb.39:
	s_cmp_lt_u32 s8, 4
	s_cbranch_scc1 .LBB170_42
; %bb.40:
	v_add_co_u32 v12, vcc_lo, s4, v12
	v_add_co_ci_u32_e64 v13, null, s5, v13, vcc_lo
	s_lshr_b32 s6, s8, 2
	v_add_co_u32 v20, vcc_lo, v12, v16
	v_add_co_ci_u32_e64 v13, null, 0, v13, vcc_lo
	v_lshl_add_u32 v12, v19, 3, v16
	v_add_co_u32 v8, vcc_lo, v8, v20
	v_add_co_ci_u32_e64 v9, null, v9, v13, vcc_lo
	s_lshl_b64 s[4:5], s[16:17], 5
	s_mov_b32 s9, s6
.LBB170_41:                             ; =>This Inner Loop Header: Depth=1
	flat_load_dwordx2 v[20:21], v[8:9]
	v_add_co_u32 v8, vcc_lo, v8, s4
	v_add_co_ci_u32_e64 v9, null, s5, v9, vcc_lo
	s_add_i32 s9, s9, -1
	s_cmp_lg_u32 s9, 0
	s_waitcnt vmcnt(0) lgkmcnt(0)
	ds_write_b64 v12, v[20:21]
	v_add_nc_u32_e32 v12, 0x400, v12
	s_cbranch_scc1 .LBB170_41
.LBB170_42:
	s_and_b32 s4, s8, 3
	v_cmp_gt_u32_e32 vcc_lo, s4, v1
	s_and_b32 exec_lo, exec_lo, vcc_lo
	s_cbranch_execz .LBB170_44
; %bb.43:
	s_lshl_b32 s4, s6, 2
	s_mul_i32 s5, s17, s4
	s_mul_hi_u32 s9, s16, s4
	s_mul_i32 s4, s16, s4
	s_add_i32 s5, s9, s5
	s_lshl_b64 s[4:5], s[4:5], 3
	v_add_co_u32 v8, vcc_lo, v10, s4
	v_add_co_ci_u32_e64 v9, null, s5, v11, vcc_lo
	v_lshlrev_b32_e32 v10, 3, v18
	flat_load_dwordx2 v[8:9], v[8:9]
	v_lshl_add_u32 v10, s6, 10, v10
	s_waitcnt vmcnt(0) lgkmcnt(0)
	ds_write_b64 v10, v[8:9]
.LBB170_44:
	s_or_b32 exec_lo, exec_lo, s7
.LBB170_45:
	v_lshlrev_b32_e32 v9, 8, v0
	s_mov_b32 s4, exec_lo
	s_waitcnt lgkmcnt(0)
	s_waitcnt_vscnt null, 0x0
	s_barrier
	buffer_gl0_inv
	v_cmpx_ge_u32_e64 v0, v1
	s_xor_b32 s4, exec_lo, s4
; %bb.46:
	v_lshlrev_b32_e32 v9, 8, v0
                                        ; implicit-def: $vgpr19
; %bb.47:
	s_or_saveexec_b32 s4, s4
	v_lshlrev_b32_e32 v8, 3, v1
	s_xor_b32 exec_lo, exec_lo, s4
	s_cbranch_execz .LBB170_49
; %bb.48:
	v_mul_u32_u24_e32 v10, 0xf8, v0
	v_lshl_add_u32 v12, v19, 3, v16
	v_add3_u32 v10, v16, v10, v8
	ds_read_b64 v[10:11], v10
	s_waitcnt lgkmcnt(0)
	ds_write_b64 v12, v[10:11]
.LBB170_49:
	s_or_b32 exec_lo, exec_lo, s4
	v_sub_nc_u32_e32 v10, v0, v1
	s_mov_b32 s4, exec_lo
	v_sub_nc_u32_e32 v11, 0, v10
	v_max_i32_e32 v11, v10, v11
	v_lshl_add_u32 v10, v1, 3, v9
	v_lshl_add_u32 v9, v1, 8, v16
	v_cmpx_gt_u32_e32 4, v11
	s_cbranch_execz .LBB170_51
; %bb.50:
	ds_read_b64 v[12:13], v10 offset:32
	s_waitcnt lgkmcnt(0)
	ds_write_b64 v9, v[12:13] offset:1024
.LBB170_51:
	s_or_b32 exec_lo, exec_lo, s4
	s_mov_b32 s4, exec_lo
	v_cmpx_gt_u32_e32 8, v11
	s_cbranch_execz .LBB170_53
; %bb.52:
	ds_read_b64 v[12:13], v10 offset:64
	s_waitcnt lgkmcnt(0)
	ds_write_b64 v9, v[12:13] offset:2048
.LBB170_53:
	s_or_b32 exec_lo, exec_lo, s4
	s_mov_b32 s4, exec_lo
	v_cmpx_gt_u32_e32 12, v11
	s_cbranch_execz .LBB170_55
; %bb.54:
	ds_read_b64 v[12:13], v10 offset:96
	s_waitcnt lgkmcnt(0)
	ds_write_b64 v9, v[12:13] offset:3072
.LBB170_55:
	s_or_b32 exec_lo, exec_lo, s4
	s_mov_b32 s4, exec_lo
	v_cmpx_gt_u32_e32 16, v11
	s_cbranch_execz .LBB170_57
; %bb.56:
	ds_read_b64 v[12:13], v10 offset:128
	s_waitcnt lgkmcnt(0)
	ds_write_b64 v17, v[12:13] offset:4096
.LBB170_57:
	s_or_b32 exec_lo, exec_lo, s4
	s_mov_b32 s4, exec_lo
	v_cmpx_gt_u32_e32 20, v11
	s_cbranch_execz .LBB170_59
; %bb.58:
	ds_read_b64 v[12:13], v10 offset:160
	s_waitcnt lgkmcnt(0)
	ds_write_b64 v17, v[12:13] offset:5120
.LBB170_59:
	s_or_b32 exec_lo, exec_lo, s4
	s_mov_b32 s4, exec_lo
	v_cmpx_gt_u32_e32 24, v11
	s_cbranch_execz .LBB170_61
; %bb.60:
	ds_read_b64 v[12:13], v10 offset:192
	s_waitcnt lgkmcnt(0)
	ds_write_b64 v17, v[12:13] offset:6144
.LBB170_61:
	s_or_b32 exec_lo, exec_lo, s4
	v_cmp_lt_u32_e32 vcc_lo, 27, v11
	v_add_nc_u32_e32 v12, 28, v1
                                        ; implicit-def: $vgpr11
	s_and_saveexec_b32 s4, vcc_lo
	s_xor_b32 s4, exec_lo, s4
; %bb.62:
	v_add_nc_u32_e32 v12, 28, v1
                                        ; implicit-def: $vgpr10
	v_lshlrev_b32_e32 v11, 8, v12
; %bb.63:
	s_andn2_saveexec_b32 s4, s4
	s_cbranch_execz .LBB170_65
; %bb.64:
	ds_read_b64 v[19:20], v10 offset:224
	v_lshlrev_b32_e32 v11, 8, v12
	v_add_nc_u32_e32 v1, v16, v11
	s_waitcnt lgkmcnt(0)
	ds_write_b64 v1, v[19:20]
.LBB170_65:
	s_or_b32 exec_lo, exec_lo, s4
	v_add_nc_u32_e32 v1, 0x2800, v8
	s_waitcnt lgkmcnt(0)
	s_barrier
	buffer_gl0_inv
	ds_read_b64 v[23:24], v17
	ds_read2_b64 v[19:22], v1 offset1:4
	v_lshlrev_b32_e32 v10, 3, v12
	ds_read_b64 v[12:13], v8 offset:10432
	ds_read_b64 v[27:28], v10 offset:10240
	s_waitcnt lgkmcnt(2)
	v_fma_f64 v[19:20], v[23:24], v[19:20], 0
	ds_read2st64_b64 v[23:26], v9 offset0:2 offset1:4
	s_waitcnt lgkmcnt(0)
	v_fma_f64 v[23:24], v[23:24], v[21:22], v[19:20]
	ds_read2_b64 v[19:22], v1 offset0:8 offset1:12
	s_waitcnt lgkmcnt(0)
	v_fma_f64 v[19:20], v[25:26], v[19:20], v[23:24]
	ds_read2st64_b64 v[23:26], v9 offset0:6 offset1:8
	s_waitcnt lgkmcnt(0)
	v_fma_f64 v[23:24], v[23:24], v[21:22], v[19:20]
	ds_read2_b64 v[19:22], v1 offset0:16 offset1:20
	v_add_nc_u32_e32 v1, v16, v11
	ds_read_b64 v[10:11], v1
	v_lshlrev_b32_e32 v1, 3, v18
	s_waitcnt lgkmcnt(1)
	v_fma_f64 v[19:20], v[25:26], v[19:20], v[23:24]
	ds_read2st64_b64 v[23:26], v9 offset0:10 offset1:12
	s_waitcnt lgkmcnt(0)
	v_fma_f64 v[8:9], v[23:24], v[21:22], v[19:20]
	v_fma_f64 v[8:9], v[25:26], v[12:13], v[8:9]
	;; [unrolled: 1-line block ×3, first 2 shown]
	ds_write_b64 v1, v[8:9] offset:8192
	s_waitcnt lgkmcnt(0)
	s_barrier
	buffer_gl0_inv
	s_and_saveexec_b32 s4, s0
	s_cbranch_execz .LBB170_71
; %bb.66:
	v_add_nc_u32_e32 v1, 0x2000, v16
	v_cmp_neq_f64_e32 vcc_lo, 0, v[2:3]
	s_mov_b32 s0, -1
	ds_read2_b64 v[8:11], v1 offset1:32
	s_waitcnt lgkmcnt(0)
	v_add_f64 v[8:9], v[8:9], 0
	v_add_f64 v[12:13], v[8:9], v[10:11]
	ds_read2_b64 v[8:11], v1 offset0:64 offset1:96
	s_waitcnt lgkmcnt(0)
	v_add_f64 v[8:9], v[12:13], v[8:9]
	v_add_f64 v[8:9], v[8:9], v[10:11]
	v_mul_f64 v[10:11], v[4:5], v[8:9]
	v_fma_f64 v[4:5], v[4:5], v[8:9], v[6:7]
	v_cndmask_b32_e32 v2, v11, v5, vcc_lo
	v_cndmask_b32_e32 v1, v10, v4, vcc_lo
	s_and_b32 vcc_lo, exec_lo, s1
	s_cbranch_vccz .LBB170_68
; %bb.67:
	v_mad_u64_u32 v[3:4], null, s2, v0, 0
	s_mov_b32 s0, 0
	v_mad_u64_u32 v[4:5], null, s3, v0, v[4:5]
	v_lshlrev_b64 v[3:4], 3, v[3:4]
	v_add_co_u32 v3, vcc_lo, v14, v3
	v_add_co_ci_u32_e64 v4, null, v15, v4, vcc_lo
	flat_store_dwordx2 v[3:4], v[1:2]
.LBB170_68:
	s_andn2_b32 vcc_lo, exec_lo, s0
	s_cbranch_vccnz .LBB170_71
; %bb.69:
	v_cmp_gt_i32_e32 vcc_lo, s8, v0
	s_and_b32 exec_lo, exec_lo, vcc_lo
	s_cbranch_execz .LBB170_71
; %bb.70:
	v_mad_u64_u32 v[3:4], null, s2, v0, 0
	v_mad_u64_u32 v[4:5], null, s3, v0, v[4:5]
	v_lshlrev_b64 v[3:4], 3, v[3:4]
	v_add_co_u32 v3, vcc_lo, v14, v3
	v_add_co_ci_u32_e64 v4, null, v15, v4, vcc_lo
	flat_store_dwordx2 v[3:4], v[1:2]
.LBB170_71:
	s_endpgm
	.section	.rodata,"a",@progbits
	.p2align	6, 0x0
	.amdhsa_kernel _ZL58rocblas_symv_kernel_lower_double_buffered_diagonal_genericILi32ELi4E24rocblas_internal_val_ptrIdEPKPKdPKPdEvbiT1_lT2_lllSA_lllS9_lT3_lllii
		.amdhsa_group_segment_fixed_size 10496
		.amdhsa_private_segment_fixed_size 0
		.amdhsa_kernarg_size 400
		.amdhsa_user_sgpr_count 6
		.amdhsa_user_sgpr_private_segment_buffer 1
		.amdhsa_user_sgpr_dispatch_ptr 0
		.amdhsa_user_sgpr_queue_ptr 0
		.amdhsa_user_sgpr_kernarg_segment_ptr 1
		.amdhsa_user_sgpr_dispatch_id 0
		.amdhsa_user_sgpr_flat_scratch_init 0
		.amdhsa_user_sgpr_private_segment_size 0
		.amdhsa_wavefront_size32 1
		.amdhsa_uses_dynamic_stack 0
		.amdhsa_system_sgpr_private_segment_wavefront_offset 0
		.amdhsa_system_sgpr_workgroup_id_x 1
		.amdhsa_system_sgpr_workgroup_id_y 0
		.amdhsa_system_sgpr_workgroup_id_z 1
		.amdhsa_system_sgpr_workgroup_info 0
		.amdhsa_system_vgpr_workitem_id 1
		.amdhsa_next_free_vgpr 65
		.amdhsa_next_free_sgpr 20
		.amdhsa_reserve_vcc 1
		.amdhsa_reserve_flat_scratch 1
		.amdhsa_float_round_mode_32 0
		.amdhsa_float_round_mode_16_64 0
		.amdhsa_float_denorm_mode_32 3
		.amdhsa_float_denorm_mode_16_64 3
		.amdhsa_dx10_clamp 1
		.amdhsa_ieee_mode 1
		.amdhsa_fp16_overflow 0
		.amdhsa_workgroup_processor_mode 1
		.amdhsa_memory_ordered 1
		.amdhsa_forward_progress 1
		.amdhsa_shared_vgpr_count 0
		.amdhsa_exception_fp_ieee_invalid_op 0
		.amdhsa_exception_fp_denorm_src 0
		.amdhsa_exception_fp_ieee_div_zero 0
		.amdhsa_exception_fp_ieee_overflow 0
		.amdhsa_exception_fp_ieee_underflow 0
		.amdhsa_exception_fp_ieee_inexact 0
		.amdhsa_exception_int_div_zero 0
	.end_amdhsa_kernel
	.section	.text._ZL58rocblas_symv_kernel_lower_double_buffered_diagonal_genericILi32ELi4E24rocblas_internal_val_ptrIdEPKPKdPKPdEvbiT1_lT2_lllSA_lllS9_lT3_lllii,"axG",@progbits,_ZL58rocblas_symv_kernel_lower_double_buffered_diagonal_genericILi32ELi4E24rocblas_internal_val_ptrIdEPKPKdPKPdEvbiT1_lT2_lllSA_lllS9_lT3_lllii,comdat
.Lfunc_end170:
	.size	_ZL58rocblas_symv_kernel_lower_double_buffered_diagonal_genericILi32ELi4E24rocblas_internal_val_ptrIdEPKPKdPKPdEvbiT1_lT2_lllSA_lllS9_lT3_lllii, .Lfunc_end170-_ZL58rocblas_symv_kernel_lower_double_buffered_diagonal_genericILi32ELi4E24rocblas_internal_val_ptrIdEPKPKdPKPdEvbiT1_lT2_lllSA_lllS9_lT3_lllii
                                        ; -- End function
	.set _ZL58rocblas_symv_kernel_lower_double_buffered_diagonal_genericILi32ELi4E24rocblas_internal_val_ptrIdEPKPKdPKPdEvbiT1_lT2_lllSA_lllS9_lT3_lllii.num_vgpr, 36
	.set _ZL58rocblas_symv_kernel_lower_double_buffered_diagonal_genericILi32ELi4E24rocblas_internal_val_ptrIdEPKPKdPKPdEvbiT1_lT2_lllSA_lllS9_lT3_lllii.num_agpr, 0
	.set _ZL58rocblas_symv_kernel_lower_double_buffered_diagonal_genericILi32ELi4E24rocblas_internal_val_ptrIdEPKPKdPKPdEvbiT1_lT2_lllSA_lllS9_lT3_lllii.numbered_sgpr, 20
	.set _ZL58rocblas_symv_kernel_lower_double_buffered_diagonal_genericILi32ELi4E24rocblas_internal_val_ptrIdEPKPKdPKPdEvbiT1_lT2_lllSA_lllS9_lT3_lllii.num_named_barrier, 0
	.set _ZL58rocblas_symv_kernel_lower_double_buffered_diagonal_genericILi32ELi4E24rocblas_internal_val_ptrIdEPKPKdPKPdEvbiT1_lT2_lllSA_lllS9_lT3_lllii.private_seg_size, 0
	.set _ZL58rocblas_symv_kernel_lower_double_buffered_diagonal_genericILi32ELi4E24rocblas_internal_val_ptrIdEPKPKdPKPdEvbiT1_lT2_lllSA_lllS9_lT3_lllii.uses_vcc, 1
	.set _ZL58rocblas_symv_kernel_lower_double_buffered_diagonal_genericILi32ELi4E24rocblas_internal_val_ptrIdEPKPKdPKPdEvbiT1_lT2_lllSA_lllS9_lT3_lllii.uses_flat_scratch, 1
	.set _ZL58rocblas_symv_kernel_lower_double_buffered_diagonal_genericILi32ELi4E24rocblas_internal_val_ptrIdEPKPKdPKPdEvbiT1_lT2_lllSA_lllS9_lT3_lllii.has_dyn_sized_stack, 0
	.set _ZL58rocblas_symv_kernel_lower_double_buffered_diagonal_genericILi32ELi4E24rocblas_internal_val_ptrIdEPKPKdPKPdEvbiT1_lT2_lllSA_lllS9_lT3_lllii.has_recursion, 0
	.set _ZL58rocblas_symv_kernel_lower_double_buffered_diagonal_genericILi32ELi4E24rocblas_internal_val_ptrIdEPKPKdPKPdEvbiT1_lT2_lllSA_lllS9_lT3_lllii.has_indirect_call, 0
	.section	.AMDGPU.csdata,"",@progbits
; Kernel info:
; codeLenInByte = 2800
; TotalNumSgprs: 22
; NumVgprs: 36
; ScratchSize: 0
; MemoryBound: 0
; FloatMode: 240
; IeeeMode: 1
; LDSByteSize: 10496 bytes/workgroup (compile time only)
; SGPRBlocks: 0
; VGPRBlocks: 8
; NumSGPRsForWavesPerEU: 22
; NumVGPRsForWavesPerEU: 65
; Occupancy: 12
; WaveLimiterHint : 1
; COMPUTE_PGM_RSRC2:SCRATCH_EN: 0
; COMPUTE_PGM_RSRC2:USER_SGPR: 6
; COMPUTE_PGM_RSRC2:TRAP_HANDLER: 0
; COMPUTE_PGM_RSRC2:TGID_X_EN: 1
; COMPUTE_PGM_RSRC2:TGID_Y_EN: 0
; COMPUTE_PGM_RSRC2:TGID_Z_EN: 1
; COMPUTE_PGM_RSRC2:TIDIG_COMP_CNT: 1
	.section	.text._ZL62rocblas_symv_kernel_lower_double_buffered_non_diagonal_genericILi32ELi4ELi4E24rocblas_internal_val_ptrIdEPKPKdPKPdEvbiT2_lT3_lllSA_lllT4_lllii,"axG",@progbits,_ZL62rocblas_symv_kernel_lower_double_buffered_non_diagonal_genericILi32ELi4ELi4E24rocblas_internal_val_ptrIdEPKPKdPKPdEvbiT2_lT3_lllSA_lllT4_lllii,comdat
	.globl	_ZL62rocblas_symv_kernel_lower_double_buffered_non_diagonal_genericILi32ELi4ELi4E24rocblas_internal_val_ptrIdEPKPKdPKPdEvbiT2_lT3_lllSA_lllT4_lllii ; -- Begin function _ZL62rocblas_symv_kernel_lower_double_buffered_non_diagonal_genericILi32ELi4ELi4E24rocblas_internal_val_ptrIdEPKPKdPKPdEvbiT2_lT3_lllSA_lllT4_lllii
	.p2align	8
	.type	_ZL62rocblas_symv_kernel_lower_double_buffered_non_diagonal_genericILi32ELi4ELi4E24rocblas_internal_val_ptrIdEPKPKdPKPdEvbiT2_lT3_lllSA_lllT4_lllii,@function
_ZL62rocblas_symv_kernel_lower_double_buffered_non_diagonal_genericILi32ELi4ELi4E24rocblas_internal_val_ptrIdEPKPKdPKPdEvbiT2_lT3_lllSA_lllT4_lllii: ; @_ZL62rocblas_symv_kernel_lower_double_buffered_non_diagonal_genericILi32ELi4ELi4E24rocblas_internal_val_ptrIdEPKPKdPKPdEvbiT2_lT3_lllSA_lllT4_lllii
; %bb.0:
	s_clause 0x2
	s_load_dword s0, s[4:5], 0x0
	s_load_dwordx8 s[12:19], s[4:5], 0x8
	s_load_dwordx2 s[2:3], s[4:5], 0x28
	s_waitcnt lgkmcnt(0)
	s_bitcmp1_b32 s0, 0
	v_mov_b32_e32 v5, s12
	v_mov_b32_e32 v6, s13
	s_cselect_b32 s0, -1, 0
	s_and_b32 vcc_lo, exec_lo, s0
	s_cbranch_vccnz .LBB171_2
; %bb.1:
	s_mul_i32 s0, s15, s8
	s_mul_hi_u32 s1, s14, s8
	s_add_i32 s1, s1, s0
	s_mul_i32 s0, s14, s8
	s_lshl_b64 s[0:1], s[0:1], 3
	s_add_u32 s0, s12, s0
	s_addc_u32 s1, s13, s1
	v_mov_b32_e32 v3, s1
	v_mov_b32_e32 v2, s0
	flat_load_dwordx2 v[5:6], v[2:3]
.LBB171_2:
	s_mov_b32 s0, exec_lo
	s_waitcnt vmcnt(0) lgkmcnt(0)
	v_cmpx_neq_f64_e32 0, v[5:6]
	s_cbranch_execz .LBB171_41
; %bb.3:
	s_load_dwordx2 s[10:11], s[4:5], 0x80
	s_waitcnt lgkmcnt(0)
	v_cvt_f32_u32_e32 v2, s11
	s_add_i32 s20, s10, -1
	s_cmp_eq_u32 s6, s20
	v_rcp_iflag_f32_e32 v2, v2
	v_mul_f32_e32 v2, 0x4f7ffffe, v2
	v_cvt_u32_f32_e32 v2, v2
	v_readfirstlane_b32 s0, v2
	s_cbranch_scc1 .LBB171_41
; %bb.4:
	s_clause 0x1
	s_load_dwordx4 s[24:27], s[4:5], 0x38
	s_load_dwordx2 s[22:23], s[4:5], 0x58
	s_sub_i32 s14, 0, s11
	s_not_b32 s1, s6
	s_mul_i32 s14, s14, s0
	s_mov_b32 s9, 0
	s_add_i32 s20, s20, s1
	s_mul_hi_u32 s1, s0, s14
	s_lshl_b64 s[8:9], s[8:9], 3
	s_add_i32 s21, s0, s1
	s_add_u32 s14, s16, s8
	s_addc_u32 s15, s17, s9
	s_load_dwordx2 s[12:13], s[4:5], 0x48
	s_mul_hi_u32 s21, s20, s21
	s_waitcnt lgkmcnt(0)
	s_add_u32 s0, s24, s8
	s_addc_u32 s1, s25, s9
	s_add_u32 s8, s22, s8
	s_load_dwordx2 s[0:1], s[0:1], 0x0
	s_addc_u32 s9, s23, s9
	s_lshl_b64 s[16:17], s[26:27], 3
	s_waitcnt lgkmcnt(0)
	s_add_u32 s22, s0, s16
	s_addc_u32 s23, s1, s17
	s_lshl_b32 s1, s6, 5
	s_ashr_i32 s25, s1, 31
	s_mul_hi_u32 s0, s12, s1
	s_mul_i32 s16, s12, s25
	s_mul_i32 s17, s13, s1
	s_add_i32 s0, s0, s16
	s_mul_i32 s16, s12, s1
	s_add_i32 s17, s0, s17
	v_cmp_eq_u32_e64 s0, 0, v1
	s_lshl_b64 s[16:17], s[16:17], 3
	s_add_u32 s16, s22, s16
	s_addc_u32 s17, s23, s17
	s_and_saveexec_b32 s22, s0
	s_cbranch_execz .LBB171_6
; %bb.5:
	v_mad_u64_u32 v[2:3], null, s12, v0, 0
	v_mad_u64_u32 v[3:4], null, s13, v0, v[3:4]
	v_lshlrev_b32_e32 v4, 3, v0
	v_lshlrev_b64 v[2:3], 3, v[2:3]
	v_add_co_u32 v2, vcc_lo, s16, v2
	v_add_co_ci_u32_e64 v3, null, s17, v3, vcc_lo
	flat_load_dwordx2 v[2:3], v[2:3]
	s_waitcnt vmcnt(0) lgkmcnt(0)
	ds_write_b64 v4, v[2:3] offset:6144
.LBB171_6:
	s_or_b32 exec_lo, exec_lo, s22
	s_mul_i32 s22, s21, s11
	s_add_i32 s23, s21, 1
	s_sub_i32 s22, s20, s22
	s_sub_i32 s24, s22, s11
	s_cmp_ge_u32 s22, s11
	s_cselect_b32 s21, s23, s21
	s_cselect_b32 s22, s24, s22
	s_add_i32 s23, s21, 1
	s_cmp_ge_u32 s22, s11
	s_cselect_b32 s21, s23, s21
	s_add_i32 s22, s11, -1
	s_mov_b32 s24, s21
	s_cmp_eq_u32 s7, s22
	s_cselect_b32 s29, -1, 0
	s_cmp_lg_u32 s7, s22
	s_cbranch_scc1 .LBB171_8
; %bb.7:
	s_mul_i32 s11, s21, s11
	s_sub_i32 s11, s20, s11
	s_add_i32 s24, s11, s21
.LBB171_8:
	s_cmp_lg_u32 s7, s22
	s_cselect_b32 s11, -1, 0
	s_cmp_eq_u32 s24, 0
	s_cselect_b32 s20, -1, 0
	s_and_b32 s11, s11, s20
	s_and_b32 vcc_lo, exec_lo, s11
	s_cbranch_vccnz .LBB171_41
; %bb.9:
	s_load_dwordx2 s[14:15], s[14:15], 0x0
	v_lshl_add_u32 v1, v1, 5, v0
	s_mul_i32 s7, s7, s21
	v_and_b32_e32 v7, 15, v0
	v_mov_b32_e32 v8, 0
	s_lshl_b32 s20, s7, 5
	v_lshrrev_b32_e32 v72, 4, v1
	s_load_dwordx2 s[22:23], s[8:9], 0x0
	s_lshl_b64 s[8:9], s[18:19], 3
	s_ashr_i32 s21, s20, 31
	s_mul_hi_u32 s7, s12, s20
	v_lshlrev_b32_e32 v73, 2, v72
	s_mul_i32 s11, s13, s20
	v_mov_b32_e32 v24, 0
	v_mov_b32_e32 v16, 0
	;; [unrolled: 1-line block ×3, first 2 shown]
	v_mad_u64_u32 v[8:9], null, s2, v73, v[7:8]
	v_mov_b32_e32 v20, 0
	v_mov_b32_e32 v22, 0
	s_waitcnt lgkmcnt(0)
	s_add_u32 s14, s14, s8
	s_addc_u32 s15, s15, s9
	s_add_u32 s8, s2, 1
	s_addc_u32 s9, s3, 0
	s_mul_i32 s18, s8, s25
	s_mul_hi_u32 s19, s8, s1
	s_mul_i32 s9, s9, s1
	s_add_i32 s18, s19, s18
	s_mul_i32 s8, s8, s1
	s_add_i32 s9, s18, s9
	v_mov_b32_e32 v1, v9
	s_lshl_b64 s[8:9], s[8:9], 3
	s_mul_i32 s18, s12, s21
	s_add_u32 s14, s14, s8
	s_addc_u32 s15, s15, s9
	s_lshl_b64 s[8:9], s[20:21], 3
	v_mad_u64_u32 v[3:4], null, s3, v73, v[1:2]
	s_add_u32 s14, s14, s8
	s_addc_u32 s15, s15, s9
	s_add_i32 s7, s7, s18
	s_mul_i32 s8, s12, s20
	s_add_i32 s9, s7, s11
	v_mov_b32_e32 v1, 0
	s_lshl_b64 s[8:9], s[8:9], 3
	v_mov_b32_e32 v2, 0
	v_mov_b32_e32 v9, v3
	s_add_u32 s18, s16, s8
	v_mov_b32_e32 v25, 0
	v_mov_b32_e32 v17, 0
	;; [unrolled: 1-line block ×5, first 2 shown]
	s_addc_u32 s19, s17, s9
	s_add_i32 s7, s10, -2
	s_lshl_b64 s[16:17], s[12:13], 5
	s_cmp_ge_u32 s6, s7
	s_barrier
	buffer_gl0_inv
	s_cbranch_scc1 .LBB171_11
; %bb.10:
	v_lshlrev_b64 v[3:4], 3, v[8:9]
	v_mad_u64_u32 v[10:11], null, s12, v7, 0
	s_lshl_b64 s[6:7], s[16:17], 3
	s_add_u32 s10, s18, s6
	v_add_co_u32 v3, vcc_lo, s14, v3
	v_add_co_ci_u32_e64 v4, null, s15, v4, vcc_lo
	s_addc_u32 s11, s19, s7
	s_lshl_b64 s[6:7], s[2:3], 3
	s_lshl_b64 s[8:9], s[2:3], 4
	v_mad_u64_u32 v[12:13], null, s2, 24, v[3:4]
	v_mad_u64_u32 v[14:15], null, s13, v7, v[11:12]
	v_mov_b32_e32 v11, v14
	v_mad_u64_u32 v[13:14], null, s3, 24, v[13:14]
	v_add_co_u32 v14, vcc_lo, v3, s6
	v_lshlrev_b64 v[10:11], 3, v[10:11]
	v_add_co_ci_u32_e64 v15, null, s7, v4, vcc_lo
	v_add_co_u32 v20, vcc_lo, v3, s8
	v_add_co_ci_u32_e64 v21, null, s9, v4, vcc_lo
	v_add_co_u32 v10, vcc_lo, s10, v10
	v_add_co_ci_u32_e64 v11, null, s11, v11, vcc_lo
	s_clause 0x3
	flat_load_dwordx2 v[16:17], v[3:4] offset:256
	flat_load_dwordx2 v[18:19], v[14:15] offset:256
	;; [unrolled: 1-line block ×4, first 2 shown]
	flat_load_dwordx2 v[24:25], v[10:11]
.LBB171_11:
	s_load_dwordx4 s[8:11], s[4:5], 0x60
	v_or_b32_e32 v74, 16, v7
	s_waitcnt lgkmcnt(0)
	s_lshl_b64 s[6:7], s[8:9], 3
	s_mul_i32 s9, s10, s25
	s_mul_hi_u32 s25, s10, s1
	s_mul_i32 s26, s11, s1
	s_mul_i32 s8, s10, s1
	s_add_u32 s1, s22, s6
	s_addc_u32 s22, s23, s7
	s_add_i32 s6, s25, s9
	s_mul_i32 s21, s10, s21
	s_add_i32 s9, s6, s26
	s_mul_hi_u32 s23, s10, s20
	s_lshl_b64 s[6:7], s[8:9], 3
	s_mul_i32 s8, s11, s20
	s_add_u32 s1, s1, s6
	s_addc_u32 s28, s22, s7
	s_add_i32 s7, s23, s21
	s_mul_i32 s6, s10, s20
	s_add_i32 s7, s7, s8
	s_lshl_b64 s[6:7], s[6:7], 3
	s_add_u32 s8, s1, s6
	s_addc_u32 s9, s28, s7
	s_cmp_lt_i32 s24, 1
	s_cbranch_scc1 .LBB171_20
; %bb.12:
	v_mad_u64_u32 v[1:2], null, s12, v74, 0
	v_mad_u64_u32 v[3:4], null, s10, v0, 0
	v_lshl_add_u32 v77, v73, 3, 0x1800
	v_lshl_or_b32 v75, v0, 3, 0x1000
	s_lshl_b64 s[6:7], s[10:11], 8
	s_cmp_lg_u32 s24, 1
	v_mad_u64_u32 v[10:11], null, s13, v74, v[2:3]
	v_mad_u64_u32 v[11:12], null, s11, v0, v[4:5]
	v_lshl_or_b32 v12, v7, 3, 0x1000
	v_mov_b32_e32 v2, v10
	v_lshlrev_b32_e32 v10, 8, v72
	v_mov_b32_e32 v4, v11
	v_lshlrev_b64 v[26:27], 3, v[1:2]
	v_add_nc_u32_e32 v76, v12, v10
	v_lshlrev_b64 v[14:15], 3, v[3:4]
	s_cbranch_scc0 .LBB171_21
; %bb.13:
	v_mad_u64_u32 v[1:2], null, s12, v7, 0
	v_mov_b32_e32 v28, 0
	v_mov_b32_e32 v11, s9
	v_lshlrev_b64 v[44:45], 3, v[8:9]
	s_waitcnt vmcnt(0)
	v_mov_b32_e32 v49, v25
	v_mov_b32_e32 v30, 0
	;; [unrolled: 1-line block ×3, first 2 shown]
	v_mad_u64_u32 v[2:3], null, s13, v7, v[2:3]
	v_mov_b32_e32 v34, 0
	v_mov_b32_e32 v51, v17
	v_mov_b32_e32 v53, v19
	v_mov_b32_e32 v55, v21
	v_mov_b32_e32 v57, v23
	s_lshl_b64 s[20:21], s[2:3], 4
	v_lshlrev_b64 v[46:47], 3, v[1:2]
	v_mov_b32_e32 v29, 0
	v_mov_b32_e32 v10, s8
	;; [unrolled: 1-line block ×10, first 2 shown]
	s_add_i32 s30, s24, -2
	s_lshl_b64 s[22:23], s[2:3], 3
	s_sub_u32 s33, 0, s20
	s_mov_b32 s31, 0
	s_subb_u32 s34, 0, s21
	s_lshl_b64 s[26:27], s[16:17], 3
	s_mov_b64 s[20:21], s[14:15]
	s_mov_b64 s[24:25], s[18:19]
.LBB171_14:                             ; =>This Loop Header: Depth=1
                                        ;     Child Loop BB171_16 Depth 2
	v_add_co_u32 v1, vcc_lo, s20, v44
	v_add_co_ci_u32_e64 v2, null, s21, v45, vcc_lo
	s_add_u32 s24, s24, s26
	v_add_co_u32 v3, vcc_lo, v1, s22
	flat_load_dwordx2 v[58:59], v[1:2] offset:384
	v_add_co_ci_u32_e64 v4, null, s23, v2, vcc_lo
	s_addc_u32 s25, s25, s27
	s_add_u32 s35, s24, s26
	s_addc_u32 s36, s25, s27
	flat_load_dwordx2 v[60:61], v[3:4] offset:384
	v_add_co_u32 v3, vcc_lo, v3, s22
	v_add_co_ci_u32_e64 v4, null, s23, v4, vcc_lo
	flat_load_dwordx2 v[62:63], v[3:4] offset:384
	v_add_co_u32 v3, vcc_lo, v3, s22
	v_add_co_ci_u32_e64 v4, null, s23, v4, vcc_lo
	v_add_co_u32 v12, vcc_lo, s24, v26
	v_add_co_ci_u32_e64 v13, null, s25, v27, vcc_lo
	flat_load_dwordx2 v[64:65], v[3:4] offset:384
	v_add_co_u32 v3, vcc_lo, v3, s33
	v_add_co_ci_u32_e64 v4, null, s34, v4, vcc_lo
	v_add_co_u32 v36, vcc_lo, s35, v46
	v_add_co_ci_u32_e64 v37, null, s36, v47, vcc_lo
	;; [unrolled: 2-line block ×3, first 2 shown]
	flat_load_dwordx2 v[66:67], v[12:13]
	v_add_co_u32 v42, vcc_lo, v40, s22
	v_add_co_ci_u32_e64 v43, null, s23, v41, vcc_lo
	flat_load_dwordx2 v[12:13], v[36:37]
	s_clause 0x3
	flat_load_dwordx2 v[36:37], v[1:2] offset:512
	flat_load_dwordx2 v[38:39], v[3:4] offset:512
	;; [unrolled: 1-line block ×4, first 2 shown]
	ds_read_b128 v[1:4], v77
	ds_read_b128 v[68:71], v77 offset:16
	s_waitcnt vmcnt(0) lgkmcnt(0)
	s_barrier
	buffer_gl0_inv
	v_fma_f64 v[78:79], v[50:51], v[1:2], 0
	v_fma_f64 v[78:79], v[52:53], v[3:4], v[78:79]
	;; [unrolled: 1-line block ×8, first 2 shown]
	ds_write2_b64 v76, v[3:4], v[1:2] offset1:16
	s_waitcnt lgkmcnt(0)
	s_barrier
	buffer_gl0_inv
	s_and_saveexec_b32 s35, s0
	s_cbranch_execz .LBB171_18
; %bb.15:                               ;   in Loop: Header=BB171_14 Depth=1
	v_add_co_u32 v10, vcc_lo, v10, s6
	v_add_co_ci_u32_e64 v11, null, s7, v11, vcc_lo
	ds_read2_b64 v[78:81], v75 offset1:32
	v_add_co_u32 v68, vcc_lo, v10, v14
	v_add_co_ci_u32_e64 v69, null, v11, v15, vcc_lo
	s_mov_b32 s36, 0
	flat_load_dwordx2 v[3:4], v[68:69]
	s_waitcnt lgkmcnt(1)
	v_add_f64 v[1:2], v[78:79], 0
	v_add_f64 v[1:2], v[1:2], v[80:81]
	ds_read2_b64 v[78:81], v75 offset0:64 offset1:96
	s_waitcnt lgkmcnt(0)
	v_add_f64 v[1:2], v[1:2], v[78:79]
	v_add_f64 v[1:2], v[1:2], v[80:81]
	ds_read2_b64 v[78:81], v75 offset0:128 offset1:160
	;; [unrolled: 4-line block ×3, first 2 shown]
	s_waitcnt lgkmcnt(0)
	v_add_f64 v[1:2], v[1:2], v[78:79]
	v_add_f64 v[1:2], v[1:2], v[80:81]
	v_mul_f64 v[70:71], v[5:6], v[1:2]
.LBB171_16:                             ;   Parent Loop BB171_14 Depth=1
                                        ; =>  This Inner Loop Header: Depth=2
	s_waitcnt vmcnt(0)
	v_add_f64 v[1:2], v[3:4], v[70:71]
	flat_atomic_cmpswap_x2 v[1:2], v[68:69], v[1:4] glc
	s_waitcnt vmcnt(0) lgkmcnt(0)
	v_cmp_eq_u64_e32 vcc_lo, v[1:2], v[3:4]
	v_mov_b32_e32 v4, v2
	v_mov_b32_e32 v3, v1
	s_or_b32 s36, vcc_lo, s36
	s_andn2_b32 exec_lo, exec_lo, s36
	s_cbranch_execnz .LBB171_16
; %bb.17:                               ;   in Loop: Header=BB171_14 Depth=1
	s_or_b32 exec_lo, exec_lo, s36
.LBB171_18:                             ;   in Loop: Header=BB171_14 Depth=1
	s_or_b32 exec_lo, exec_lo, s35
	v_fma_f64 v[1:2], v[48:49], v[50:51], v[28:29]
	v_fma_f64 v[3:4], v[48:49], v[52:53], v[30:31]
	v_fma_f64 v[32:33], v[48:49], v[54:55], v[32:33]
	v_fma_f64 v[34:35], v[48:49], v[56:57], v[34:35]
	s_add_u32 s20, s20, 0x100
	s_addc_u32 s21, s21, 0
	s_add_i32 s35, s31, 1
	s_cmp_eq_u32 s31, s30
	v_fma_f64 v[28:29], v[66:67], v[58:59], v[1:2]
	v_fma_f64 v[30:31], v[66:67], v[60:61], v[3:4]
	;; [unrolled: 1-line block ×4, first 2 shown]
	s_cbranch_scc1 .LBB171_22
; %bb.19:                               ;   in Loop: Header=BB171_14 Depth=1
	v_mov_b32_e32 v49, v13
	v_mov_b32_e32 v51, v37
	v_mov_b32_e32 v53, v39
	v_mov_b32_e32 v55, v41
	v_mov_b32_e32 v57, v43
	v_mov_b32_e32 v48, v12
	v_mov_b32_e32 v50, v36
	v_mov_b32_e32 v52, v38
	v_mov_b32_e32 v54, v40
	v_mov_b32_e32 v56, v42
	s_mov_b32 s31, s35
	s_branch .LBB171_14
.LBB171_20:
	v_mov_b32_e32 v11, s9
	v_mov_b32_e32 v3, 0
	;; [unrolled: 1-line block ×3, first 2 shown]
	s_waitcnt vmcnt(3)
	v_mov_b32_e32 v18, 0
	v_mov_b32_e32 v16, 0
	s_waitcnt vmcnt(0)
	v_mov_b32_e32 v12, v24
	v_mov_b32_e32 v10, s8
	;; [unrolled: 1-line block ×7, first 2 shown]
	s_and_b32 vcc_lo, exec_lo, s29
	s_cbranch_vccnz .LBB171_30
	s_branch .LBB171_38
.LBB171_21:
	s_mov_b32 s26, -1
                                        ; implicit-def: $vgpr42_vgpr43
                                        ; implicit-def: $vgpr40_vgpr41
                                        ; implicit-def: $vgpr38_vgpr39
                                        ; implicit-def: $vgpr36_vgpr37
                                        ; implicit-def: $vgpr34_vgpr35
                                        ; implicit-def: $vgpr32_vgpr33
                                        ; implicit-def: $vgpr30_vgpr31
                                        ; implicit-def: $vgpr28_vgpr29
                                        ; implicit-def: $sgpr24_sgpr25
                                        ; implicit-def: $vgpr10_vgpr11
                                        ; implicit-def: $vgpr12_vgpr13
                                        ; implicit-def: $sgpr20_sgpr21
                                        ; implicit-def: $sgpr22_sgpr23
	s_branch .LBB171_23
.LBB171_22:
	s_mov_b32 s26, 0
.LBB171_23:
	s_and_b32 vcc_lo, exec_lo, s26
	s_cbranch_vccz .LBB171_25
; %bb.24:
	v_mov_b32_e32 v28, 0
	v_mov_b32_e32 v11, s9
	s_waitcnt vmcnt(0)
	v_mov_b32_e32 v12, v24
	v_mov_b32_e32 v30, 0
	;; [unrolled: 1-line block ×18, first 2 shown]
	s_lshl_b64 s[22:23], s[2:3], 3
	s_mov_b64 s[20:21], s[14:15]
	s_mov_b64 s[24:25], s[18:19]
.LBB171_25:
	v_lshlrev_b64 v[1:2], 3, v[8:9]
	s_lshl_b64 s[8:9], s[16:17], 3
	v_fma_f64 v[32:33], v[12:13], v[40:41], v[32:33]
	s_add_u32 s18, s24, s8
	s_addc_u32 s19, s25, s9
	s_sub_u32 s8, 0, s22
	v_add_co_u32 v1, vcc_lo, s20, v1
	v_add_co_ci_u32_e64 v2, null, s21, v2, vcc_lo
	s_subb_u32 s9, 0, s23
	v_fma_f64 v[30:31], v[12:13], v[38:39], v[30:31]
	v_fma_f64 v[28:29], v[12:13], v[36:37], v[28:29]
	v_mad_u64_u32 v[3:4], null, s2, 24, v[1:2]
	s_add_u32 s14, s20, 0x100
	s_addc_u32 s15, s21, 0
	s_waitcnt vmcnt(4)
	v_mad_u64_u32 v[16:17], null, s3, 24, v[4:5]
	s_waitcnt vmcnt(1)
	v_add_co_u32 v22, vcc_lo, v3, s8
	v_add_co_ci_u32_e64 v23, null, s9, v16, vcc_lo
	v_add_co_u32 v17, vcc_lo, v22, s8
	v_mov_b32_e32 v4, v16
	v_add_co_ci_u32_e64 v18, null, s9, v23, vcc_lo
	s_clause 0x2
	flat_load_dwordx2 v[20:21], v[17:18] offset:384
	flat_load_dwordx2 v[18:19], v[1:2] offset:384
	;; [unrolled: 1-line block ×3, first 2 shown]
	s_waitcnt vmcnt(3)
	flat_load_dwordx2 v[24:25], v[3:4] offset:384
	v_add_co_u32 v1, vcc_lo, s18, v26
	v_add_co_ci_u32_e64 v2, null, s19, v27, vcc_lo
	flat_load_dwordx2 v[16:17], v[1:2]
	ds_read_b128 v[1:4], v77
	ds_read_b128 v[44:47], v77 offset:16
	s_waitcnt vmcnt(0) lgkmcnt(0)
	s_barrier
	buffer_gl0_inv
	v_fma_f64 v[26:27], v[36:37], v[1:2], 0
	v_fma_f64 v[26:27], v[38:39], v[3:4], v[26:27]
	;; [unrolled: 1-line block ×9, first 2 shown]
	ds_write2_b64 v76, v[3:4], v[1:2] offset1:16
	s_waitcnt lgkmcnt(0)
	s_barrier
	buffer_gl0_inv
	s_and_saveexec_b32 s8, s0
	s_cbranch_execz .LBB171_29
; %bb.26:
	v_add_co_u32 v10, vcc_lo, v10, s6
	v_add_co_ci_u32_e64 v11, null, s7, v11, vcc_lo
	ds_read2_b64 v[34:37], v75 offset1:32
	v_add_co_u32 v14, vcc_lo, v10, v14
	v_add_co_ci_u32_e64 v15, null, v11, v15, vcc_lo
	s_mov_b32 s6, 0
	flat_load_dwordx2 v[3:4], v[14:15]
	s_waitcnt lgkmcnt(1)
	v_add_f64 v[1:2], v[34:35], 0
	v_add_f64 v[1:2], v[1:2], v[36:37]
	ds_read2_b64 v[34:37], v75 offset0:64 offset1:96
	s_waitcnt lgkmcnt(0)
	v_add_f64 v[1:2], v[1:2], v[34:35]
	v_add_f64 v[1:2], v[1:2], v[36:37]
	ds_read2_b64 v[34:37], v75 offset0:128 offset1:160
	;; [unrolled: 4-line block ×3, first 2 shown]
	s_waitcnt lgkmcnt(0)
	v_add_f64 v[1:2], v[1:2], v[34:35]
	v_add_f64 v[1:2], v[1:2], v[36:37]
	v_mul_f64 v[34:35], v[5:6], v[1:2]
.LBB171_27:                             ; =>This Inner Loop Header: Depth=1
	s_waitcnt vmcnt(0)
	v_add_f64 v[1:2], v[3:4], v[34:35]
	flat_atomic_cmpswap_x2 v[1:2], v[14:15], v[1:4] glc
	s_waitcnt vmcnt(0) lgkmcnt(0)
	v_cmp_eq_u64_e32 vcc_lo, v[1:2], v[3:4]
	v_mov_b32_e32 v4, v2
	v_mov_b32_e32 v3, v1
	s_or_b32 s6, vcc_lo, s6
	s_andn2_b32 exec_lo, exec_lo, s6
	s_cbranch_execnz .LBB171_27
; %bb.28:
	s_or_b32 exec_lo, exec_lo, s6
.LBB171_29:
	s_or_b32 exec_lo, exec_lo, s8
	v_fma_f64 v[18:19], v[16:17], v[18:19], v[28:29]
	v_fma_f64 v[14:15], v[16:17], v[20:21], v[30:31]
	;; [unrolled: 1-line block ×4, first 2 shown]
	s_and_b32 vcc_lo, exec_lo, s29
	s_cbranch_vccz .LBB171_38
.LBB171_30:
	s_load_dword s4, s[4:5], 0x78
	v_mov_b32_e32 v20, 0
	v_mov_b32_e32 v28, 0
	;; [unrolled: 1-line block ×5, first 2 shown]
	s_lshl_b64 s[6:7], s[16:17], 3
	v_mov_b32_e32 v21, 0
	v_mov_b32_e32 v29, 0
	;; [unrolled: 1-line block ×5, first 2 shown]
	s_add_u32 s5, s18, s6
	s_addc_u32 s6, s19, s7
	s_mov_b32 s7, exec_lo
	s_waitcnt lgkmcnt(0)
	v_cmpx_gt_i32_e64 s4, v7
	s_cbranch_execz .LBB171_32
; %bb.31:
	v_lshlrev_b64 v[12:13], 3, v[8:9]
	v_mad_u64_u32 v[22:23], null, s12, v7, 0
	s_lshl_b64 s[8:9], s[2:3], 3
	s_lshl_b64 s[16:17], s[2:3], 4
	v_add_co_u32 v12, vcc_lo, s14, v12
	v_add_co_ci_u32_e64 v13, null, s15, v13, vcc_lo
	v_mad_u64_u32 v[24:25], null, s2, 24, v[12:13]
	v_mad_u64_u32 v[26:27], null, s13, v7, v[23:24]
	v_mov_b32_e32 v23, v26
	v_mad_u64_u32 v[25:26], null, s3, 24, v[25:26]
	v_add_co_u32 v26, vcc_lo, v12, s8
	v_lshlrev_b64 v[22:23], 3, v[22:23]
	v_add_co_ci_u32_e64 v27, null, s9, v13, vcc_lo
	v_add_co_u32 v32, vcc_lo, v12, s16
	v_add_co_ci_u32_e64 v33, null, s17, v13, vcc_lo
	v_add_co_u32 v22, vcc_lo, s5, v22
	v_add_co_ci_u32_e64 v23, null, s6, v23, vcc_lo
	s_clause 0x3
	flat_load_dwordx2 v[28:29], v[12:13] offset:256
	flat_load_dwordx2 v[30:31], v[26:27] offset:256
	;; [unrolled: 1-line block ×4, first 2 shown]
	flat_load_dwordx2 v[12:13], v[22:23]
.LBB171_32:
	s_or_b32 exec_lo, exec_lo, s7
	v_mov_b32_e32 v22, 0
	v_mov_b32_e32 v24, 0
	v_mov_b32_e32 v26, 0
	v_mov_b32_e32 v23, 0
	v_mov_b32_e32 v25, 0
	v_mov_b32_e32 v27, 0
	s_mov_b32 s7, exec_lo
	v_cmpx_gt_i32_e64 s4, v74
	s_cbranch_execz .LBB171_34
; %bb.33:
	v_lshlrev_b64 v[8:9], 3, v[8:9]
	v_mad_u64_u32 v[16:17], null, s12, v74, 0
	s_lshl_b64 s[8:9], s[2:3], 3
	v_add_co_u32 v8, vcc_lo, s14, v8
	v_add_co_ci_u32_e64 v9, null, s15, v9, vcc_lo
	v_mad_u64_u32 v[20:21], null, s13, v74, v[17:18]
	s_lshl_b64 s[12:13], s[2:3], 4
	v_mad_u64_u32 v[26:27], null, s2, 24, v[8:9]
	v_mov_b32_e32 v17, v20
	v_mov_b32_e32 v21, v27
	v_lshlrev_b64 v[16:17], 3, v[16:17]
	v_mad_u64_u32 v[20:21], null, s3, 24, v[21:22]
	v_add_co_u32 v22, vcc_lo, v8, s8
	v_add_co_ci_u32_e64 v23, null, s9, v9, vcc_lo
	v_add_co_u32 v24, vcc_lo, v8, s12
	v_add_co_ci_u32_e64 v25, null, s13, v9, vcc_lo
	v_add_co_u32 v16, vcc_lo, s5, v16
	v_mov_b32_e32 v27, v20
	v_add_co_ci_u32_e64 v17, null, s6, v17, vcc_lo
	s_clause 0x3
	flat_load_dwordx2 v[20:21], v[8:9] offset:384
	flat_load_dwordx2 v[22:23], v[22:23] offset:384
	;; [unrolled: 1-line block ×4, first 2 shown]
	flat_load_dwordx2 v[16:17], v[16:17]
.LBB171_34:
	s_or_b32 exec_lo, exec_lo, s7
	v_lshlrev_b32_e32 v8, 3, v73
	s_waitcnt vmcnt(0) lgkmcnt(0)
	v_fma_f64 v[14:15], v[12:13], v[30:31], v[14:15]
	v_cmp_gt_i32_e32 vcc_lo, s4, v0
	ds_read_b128 v[36:39], v8 offset:6144
	ds_read_b128 v[40:43], v8 offset:6160
	s_waitcnt lgkmcnt(0)
	s_and_b32 s3, s0, vcc_lo
	s_barrier
	buffer_gl0_inv
	v_fma_f64 v[8:9], v[20:21], v[36:37], 0
	v_fma_f64 v[36:37], v[28:29], v[36:37], 0
	;; [unrolled: 1-line block ×11, first 2 shown]
	v_lshlrev_b32_e32 v1, 3, v7
	v_lshl_or_b32 v1, v72, 8, v1
	v_add_nc_u32_e32 v1, 0x1000, v1
	ds_write2_b64 v1, v[36:37], v[38:39] offset1:16
	s_waitcnt lgkmcnt(0)
	s_barrier
	buffer_gl0_inv
	s_and_saveexec_b32 s2, s3
	s_cbranch_execz .LBB171_37
; %bb.35:
	v_mad_u64_u32 v[1:2], null, s10, v0, 0
	s_lshl_b64 s[4:5], s[10:11], 8
	s_mov_b32 s3, 0
	v_mad_u64_u32 v[2:3], null, s11, v0, v[2:3]
	v_add_co_u32 v3, vcc_lo, v10, s4
	v_add_co_ci_u32_e64 v4, null, s5, v11, vcc_lo
	v_lshlrev_b64 v[1:2], 3, v[1:2]
	v_add_co_u32 v10, vcc_lo, v3, v1
	v_add_co_ci_u32_e64 v11, null, v4, v2, vcc_lo
	v_lshlrev_b32_e32 v1, 3, v0
	flat_load_dwordx2 v[3:4], v[10:11]
	v_add_nc_u32_e32 v18, 0x1000, v1
	ds_read2_b64 v[30:33], v18 offset1:32
	s_waitcnt lgkmcnt(0)
	v_add_f64 v[1:2], v[30:31], 0
	v_add_f64 v[1:2], v[1:2], v[32:33]
	ds_read2_b64 v[30:33], v18 offset0:64 offset1:96
	s_waitcnt lgkmcnt(0)
	v_add_f64 v[1:2], v[1:2], v[30:31]
	v_add_f64 v[1:2], v[1:2], v[32:33]
	ds_read2_b64 v[30:33], v18 offset0:128 offset1:160
	;; [unrolled: 4-line block ×3, first 2 shown]
	s_waitcnt lgkmcnt(0)
	v_add_f64 v[1:2], v[1:2], v[30:31]
	v_add_f64 v[1:2], v[1:2], v[32:33]
	v_mul_f64 v[18:19], v[5:6], v[1:2]
.LBB171_36:                             ; =>This Inner Loop Header: Depth=1
	s_waitcnt vmcnt(0)
	v_add_f64 v[1:2], v[3:4], v[18:19]
	flat_atomic_cmpswap_x2 v[1:2], v[10:11], v[1:4] glc
	s_waitcnt vmcnt(0) lgkmcnt(0)
	v_cmp_eq_u64_e32 vcc_lo, v[1:2], v[3:4]
	v_mov_b32_e32 v4, v2
	v_mov_b32_e32 v3, v1
	s_or_b32 s3, vcc_lo, s3
	s_andn2_b32 exec_lo, exec_lo, s3
	s_cbranch_execnz .LBB171_36
.LBB171_37:
	s_or_b32 exec_lo, exec_lo, s2
	v_fma_f64 v[18:19], v[16:17], v[20:21], v[8:9]
	v_fma_f64 v[14:15], v[16:17], v[22:23], v[14:15]
	;; [unrolled: 1-line block ×4, first 2 shown]
.LBB171_38:
	v_lshlrev_b32_e32 v8, 9, v72
	v_lshl_or_b32 v8, v7, 3, v8
	ds_write2_b64 v8, v[18:19], v[14:15] offset1:16
	ds_write2_b64 v8, v[3:4], v[1:2] offset0:32 offset1:48
	s_waitcnt lgkmcnt(0)
	s_barrier
	buffer_gl0_inv
	s_and_b32 exec_lo, exec_lo, s0
	s_cbranch_execz .LBB171_41
; %bb.39:
	v_lshlrev_b32_e32 v20, 7, v0
	v_add_nc_u32_e32 v3, 1, v0
	v_add_nc_u32_e32 v4, 2, v0
	;; [unrolled: 1-line block ×3, first 2 shown]
	v_mad_u64_u32 v[12:13], null, s10, v0, 0
	v_lshl_or_b32 v1, v7, 3, v20
	v_and_b32_e32 v3, 15, v3
	v_and_b32_e32 v4, 15, v4
	;; [unrolled: 1-line block ×3, first 2 shown]
	v_add_nc_u32_e32 v14, 7, v0
	ds_read_b64 v[1:2], v1
	v_lshl_or_b32 v3, v3, 3, v20
	v_lshl_or_b32 v9, v4, 3, v20
	;; [unrolled: 1-line block ×3, first 2 shown]
	ds_read_b64 v[3:4], v3
	ds_read_b64 v[8:9], v9
	;; [unrolled: 1-line block ×3, first 2 shown]
	v_and_b32_e32 v14, 15, v14
	s_mov_b32 s0, 0
	v_lshl_or_b32 v18, v14, 3, v20
	s_waitcnt lgkmcnt(3)
	v_add_f64 v[1:2], v[1:2], 0
	s_waitcnt lgkmcnt(2)
	v_add_f64 v[1:2], v[1:2], v[3:4]
	v_mov_b32_e32 v3, v13
	v_mad_u64_u32 v[3:4], null, s11, v0, v[3:4]
	v_mov_b32_e32 v13, v3
	v_lshlrev_b64 v[3:4], 3, v[12:13]
	s_waitcnt lgkmcnt(1)
	v_add_f64 v[12:13], v[1:2], v[8:9]
	v_add_nc_u32_e32 v1, 4, v0
	v_add_co_u32 v8, vcc_lo, s1, v3
	v_add_co_ci_u32_e64 v9, null, s28, v4, vcc_lo
	v_and_b32_e32 v1, 15, v1
	v_add_nc_u32_e32 v4, 6, v0
	flat_load_dwordx2 v[2:3], v[8:9]
	v_lshl_or_b32 v1, v1, 3, v20
	v_and_b32_e32 v4, 15, v4
	v_lshl_or_b32 v4, v4, 3, v20
	s_waitcnt lgkmcnt(1)
	v_add_f64 v[10:11], v[12:13], v[10:11]
	ds_read_b64 v[12:13], v1
	v_add_nc_u32_e32 v1, 5, v0
	v_and_b32_e32 v1, 15, v1
	v_lshl_or_b32 v1, v1, 3, v20
	ds_read_b64 v[14:15], v1
	ds_read_b64 v[16:17], v4
	;; [unrolled: 1-line block ×3, first 2 shown]
	v_xor_b32_e32 v1, 8, v7
	v_add_nc_u32_e32 v4, 10, v0
	v_add_nc_u32_e32 v7, 11, v0
	s_waitcnt lgkmcnt(3)
	v_add_f64 v[10:11], v[10:11], v[12:13]
	v_lshl_or_b32 v1, v1, 3, v20
	v_and_b32_e32 v4, 15, v4
	v_and_b32_e32 v7, 15, v7
	ds_read_b64 v[12:13], v1
	v_add_nc_u32_e32 v1, 9, v0
	v_lshl_or_b32 v4, v4, 3, v20
	v_lshl_or_b32 v7, v7, 3, v20
	v_and_b32_e32 v1, 15, v1
	v_lshl_or_b32 v1, v1, 3, v20
	s_waitcnt lgkmcnt(3)
	v_add_f64 v[10:11], v[10:11], v[14:15]
	s_waitcnt lgkmcnt(2)
	v_add_f64 v[10:11], v[10:11], v[16:17]
	;; [unrolled: 2-line block ×3, first 2 shown]
	ds_read_b64 v[14:15], v1
	ds_read_b64 v[16:17], v4
	;; [unrolled: 1-line block ×3, first 2 shown]
	v_add_nc_u32_e32 v1, 12, v0
	v_add_nc_u32_e32 v4, 14, v0
	v_and_b32_e32 v1, 15, v1
	v_and_b32_e32 v4, 15, v4
	v_lshl_or_b32 v1, v1, 3, v20
	v_lshl_or_b32 v4, v4, 3, v20
	s_waitcnt lgkmcnt(3)
	v_add_f64 v[10:11], v[10:11], v[12:13]
	ds_read_b64 v[12:13], v1
	v_add_nc_u32_e32 v1, 13, v0
	v_add_nc_u32_e32 v0, -1, v0
	v_and_b32_e32 v1, 15, v1
	v_and_b32_e32 v0, 15, v0
	v_lshl_or_b32 v1, v1, 3, v20
	v_lshl_or_b32 v7, v0, 3, v20
	s_waitcnt lgkmcnt(3)
	v_add_f64 v[10:11], v[10:11], v[14:15]
	s_waitcnt lgkmcnt(2)
	v_add_f64 v[10:11], v[10:11], v[16:17]
	ds_read_b64 v[0:1], v1
	ds_read_b64 v[14:15], v4
	;; [unrolled: 1-line block ×3, first 2 shown]
	s_waitcnt lgkmcnt(4)
	v_add_f64 v[10:11], v[10:11], v[18:19]
	s_waitcnt lgkmcnt(3)
	v_add_f64 v[10:11], v[10:11], v[12:13]
	;; [unrolled: 2-line block ×5, first 2 shown]
	v_mul_f64 v[4:5], v[5:6], v[0:1]
.LBB171_40:                             ; =>This Inner Loop Header: Depth=1
	s_waitcnt vmcnt(0)
	v_add_f64 v[0:1], v[2:3], v[4:5]
	flat_atomic_cmpswap_x2 v[0:1], v[8:9], v[0:3] glc
	s_waitcnt vmcnt(0) lgkmcnt(0)
	v_cmp_eq_u64_e32 vcc_lo, v[0:1], v[2:3]
	v_mov_b32_e32 v3, v1
	v_mov_b32_e32 v2, v0
	s_or_b32 s0, vcc_lo, s0
	s_andn2_b32 exec_lo, exec_lo, s0
	s_cbranch_execnz .LBB171_40
.LBB171_41:
	s_endpgm
	.section	.rodata,"a",@progbits
	.p2align	6, 0x0
	.amdhsa_kernel _ZL62rocblas_symv_kernel_lower_double_buffered_non_diagonal_genericILi32ELi4ELi4E24rocblas_internal_val_ptrIdEPKPKdPKPdEvbiT2_lT3_lllSA_lllT4_lllii
		.amdhsa_group_segment_fixed_size 6400
		.amdhsa_private_segment_fixed_size 0
		.amdhsa_kernarg_size 384
		.amdhsa_user_sgpr_count 6
		.amdhsa_user_sgpr_private_segment_buffer 1
		.amdhsa_user_sgpr_dispatch_ptr 0
		.amdhsa_user_sgpr_queue_ptr 0
		.amdhsa_user_sgpr_kernarg_segment_ptr 1
		.amdhsa_user_sgpr_dispatch_id 0
		.amdhsa_user_sgpr_flat_scratch_init 0
		.amdhsa_user_sgpr_private_segment_size 0
		.amdhsa_wavefront_size32 1
		.amdhsa_uses_dynamic_stack 0
		.amdhsa_system_sgpr_private_segment_wavefront_offset 0
		.amdhsa_system_sgpr_workgroup_id_x 1
		.amdhsa_system_sgpr_workgroup_id_y 1
		.amdhsa_system_sgpr_workgroup_id_z 1
		.amdhsa_system_sgpr_workgroup_info 0
		.amdhsa_system_vgpr_workitem_id 1
		.amdhsa_next_free_vgpr 82
		.amdhsa_next_free_sgpr 37
		.amdhsa_reserve_vcc 1
		.amdhsa_reserve_flat_scratch 1
		.amdhsa_float_round_mode_32 0
		.amdhsa_float_round_mode_16_64 0
		.amdhsa_float_denorm_mode_32 3
		.amdhsa_float_denorm_mode_16_64 3
		.amdhsa_dx10_clamp 1
		.amdhsa_ieee_mode 1
		.amdhsa_fp16_overflow 0
		.amdhsa_workgroup_processor_mode 1
		.amdhsa_memory_ordered 1
		.amdhsa_forward_progress 1
		.amdhsa_shared_vgpr_count 0
		.amdhsa_exception_fp_ieee_invalid_op 0
		.amdhsa_exception_fp_denorm_src 0
		.amdhsa_exception_fp_ieee_div_zero 0
		.amdhsa_exception_fp_ieee_overflow 0
		.amdhsa_exception_fp_ieee_underflow 0
		.amdhsa_exception_fp_ieee_inexact 0
		.amdhsa_exception_int_div_zero 0
	.end_amdhsa_kernel
	.section	.text._ZL62rocblas_symv_kernel_lower_double_buffered_non_diagonal_genericILi32ELi4ELi4E24rocblas_internal_val_ptrIdEPKPKdPKPdEvbiT2_lT3_lllSA_lllT4_lllii,"axG",@progbits,_ZL62rocblas_symv_kernel_lower_double_buffered_non_diagonal_genericILi32ELi4ELi4E24rocblas_internal_val_ptrIdEPKPKdPKPdEvbiT2_lT3_lllSA_lllT4_lllii,comdat
.Lfunc_end171:
	.size	_ZL62rocblas_symv_kernel_lower_double_buffered_non_diagonal_genericILi32ELi4ELi4E24rocblas_internal_val_ptrIdEPKPKdPKPdEvbiT2_lT3_lllSA_lllT4_lllii, .Lfunc_end171-_ZL62rocblas_symv_kernel_lower_double_buffered_non_diagonal_genericILi32ELi4ELi4E24rocblas_internal_val_ptrIdEPKPKdPKPdEvbiT2_lT3_lllSA_lllT4_lllii
                                        ; -- End function
	.set _ZL62rocblas_symv_kernel_lower_double_buffered_non_diagonal_genericILi32ELi4ELi4E24rocblas_internal_val_ptrIdEPKPKdPKPdEvbiT2_lT3_lllSA_lllT4_lllii.num_vgpr, 82
	.set _ZL62rocblas_symv_kernel_lower_double_buffered_non_diagonal_genericILi32ELi4ELi4E24rocblas_internal_val_ptrIdEPKPKdPKPdEvbiT2_lT3_lllSA_lllT4_lllii.num_agpr, 0
	.set _ZL62rocblas_symv_kernel_lower_double_buffered_non_diagonal_genericILi32ELi4ELi4E24rocblas_internal_val_ptrIdEPKPKdPKPdEvbiT2_lT3_lllSA_lllT4_lllii.numbered_sgpr, 37
	.set _ZL62rocblas_symv_kernel_lower_double_buffered_non_diagonal_genericILi32ELi4ELi4E24rocblas_internal_val_ptrIdEPKPKdPKPdEvbiT2_lT3_lllSA_lllT4_lllii.num_named_barrier, 0
	.set _ZL62rocblas_symv_kernel_lower_double_buffered_non_diagonal_genericILi32ELi4ELi4E24rocblas_internal_val_ptrIdEPKPKdPKPdEvbiT2_lT3_lllSA_lllT4_lllii.private_seg_size, 0
	.set _ZL62rocblas_symv_kernel_lower_double_buffered_non_diagonal_genericILi32ELi4ELi4E24rocblas_internal_val_ptrIdEPKPKdPKPdEvbiT2_lT3_lllSA_lllT4_lllii.uses_vcc, 1
	.set _ZL62rocblas_symv_kernel_lower_double_buffered_non_diagonal_genericILi32ELi4ELi4E24rocblas_internal_val_ptrIdEPKPKdPKPdEvbiT2_lT3_lllSA_lllT4_lllii.uses_flat_scratch, 1
	.set _ZL62rocblas_symv_kernel_lower_double_buffered_non_diagonal_genericILi32ELi4ELi4E24rocblas_internal_val_ptrIdEPKPKdPKPdEvbiT2_lT3_lllSA_lllT4_lllii.has_dyn_sized_stack, 0
	.set _ZL62rocblas_symv_kernel_lower_double_buffered_non_diagonal_genericILi32ELi4ELi4E24rocblas_internal_val_ptrIdEPKPKdPKPdEvbiT2_lT3_lllSA_lllT4_lllii.has_recursion, 0
	.set _ZL62rocblas_symv_kernel_lower_double_buffered_non_diagonal_genericILi32ELi4ELi4E24rocblas_internal_val_ptrIdEPKPKdPKPdEvbiT2_lT3_lllSA_lllT4_lllii.has_indirect_call, 0
	.section	.AMDGPU.csdata,"",@progbits
; Kernel info:
; codeLenInByte = 4532
; TotalNumSgprs: 39
; NumVgprs: 82
; ScratchSize: 0
; MemoryBound: 0
; FloatMode: 240
; IeeeMode: 1
; LDSByteSize: 6400 bytes/workgroup (compile time only)
; SGPRBlocks: 0
; VGPRBlocks: 10
; NumSGPRsForWavesPerEU: 39
; NumVGPRsForWavesPerEU: 82
; Occupancy: 10
; WaveLimiterHint : 1
; COMPUTE_PGM_RSRC2:SCRATCH_EN: 0
; COMPUTE_PGM_RSRC2:USER_SGPR: 6
; COMPUTE_PGM_RSRC2:TRAP_HANDLER: 0
; COMPUTE_PGM_RSRC2:TGID_X_EN: 1
; COMPUTE_PGM_RSRC2:TGID_Y_EN: 1
; COMPUTE_PGM_RSRC2:TGID_Z_EN: 1
; COMPUTE_PGM_RSRC2:TIDIG_COMP_CNT: 1
	.section	.text._ZL26rocblas_hemvn_kernel_lowerILb0ELi64ELi4ELi33ELi32ELi16ElPKdPKS1_PdEviT6_lT7_lT5_lS6_lS7_lS5_lT8_i,"axG",@progbits,_ZL26rocblas_hemvn_kernel_lowerILb0ELi64ELi4ELi33ELi32ELi16ElPKdPKS1_PdEviT6_lT7_lT5_lS6_lS7_lS5_lT8_i,comdat
	.globl	_ZL26rocblas_hemvn_kernel_lowerILb0ELi64ELi4ELi33ELi32ELi16ElPKdPKS1_PdEviT6_lT7_lT5_lS6_lS7_lS5_lT8_i ; -- Begin function _ZL26rocblas_hemvn_kernel_lowerILb0ELi64ELi4ELi33ELi32ELi16ElPKdPKS1_PdEviT6_lT7_lT5_lS6_lS7_lS5_lT8_i
	.p2align	8
	.type	_ZL26rocblas_hemvn_kernel_lowerILb0ELi64ELi4ELi33ELi32ELi16ElPKdPKS1_PdEviT6_lT7_lT5_lS6_lS7_lS5_lT8_i,@function
_ZL26rocblas_hemvn_kernel_lowerILb0ELi64ELi4ELi33ELi32ELi16ElPKdPKS1_PdEviT6_lT7_lT5_lS6_lS7_lS5_lT8_i: ; @_ZL26rocblas_hemvn_kernel_lowerILb0ELi64ELi4ELi33ELi32ELi16ElPKdPKS1_PdEviT6_lT7_lT5_lS6_lS7_lS5_lT8_i
; %bb.0:
	s_load_dwordx2 s[2:3], s[4:5], 0x84
	s_add_u32 s0, s4, 0x78
	s_mov_b32 s18, s7
	s_addc_u32 s1, s5, 0
	s_waitcnt lgkmcnt(0)
	s_lshr_b32 s7, s2, 16
	s_and_b32 s2, s2, 0xffff
	s_and_b32 s3, s3, 0xffff
	s_mul_i32 s2, s7, s2
	s_mul_i32 s2, s2, s3
	s_cmpk_lg_i32 s2, 0x100
	s_cbranch_scc1 .LBB172_4
; %bb.1:
	s_clause 0x1
	s_load_dwordx8 s[8:15], s[4:5], 0x8
	s_load_dwordx4 s[20:23], s[4:5], 0x58
	s_waitcnt lgkmcnt(0)
	s_mul_i32 s3, s11, s18
	s_mul_hi_u32 s7, s10, s18
	s_mul_i32 s2, s10, s18
	s_add_i32 s3, s7, s3
	s_mul_i32 s7, s23, s18
	s_lshl_b64 s[2:3], s[2:3], 3
	s_mul_hi_u32 s10, s22, s18
	s_add_u32 s2, s8, s2
	s_addc_u32 s3, s9, s3
	s_add_i32 s9, s10, s7
	s_mul_i32 s8, s22, s18
	s_lshl_b64 s[8:9], s[8:9], 3
	s_add_u32 s8, s20, s8
	s_addc_u32 s9, s21, s9
	s_load_dwordx2 s[2:3], s[2:3], 0x0
	s_load_dwordx2 s[8:9], s[8:9], 0x0
	s_waitcnt lgkmcnt(0)
	v_cmp_eq_f64_e64 s2, s[2:3], 0
	v_cmp_eq_f64_e64 s3, s[8:9], 1.0
	s_and_b32 s3, s2, s3
	s_and_b32 vcc_lo, exec_lo, s3
	s_cbranch_vccnz .LBB172_4
; %bb.2:
	s_and_b32 vcc_lo, exec_lo, s2
	s_cbranch_vccz .LBB172_5
; %bb.3:
	s_cbranch_execz .LBB172_6
.LBB172_4:
	s_endpgm
.LBB172_5:
.LBB172_6:
	s_load_dwordx4 s[20:23], s[4:5], 0x38
	s_mov_b32 s19, 0
	s_load_dwordx2 s[10:11], s[4:5], 0x48
	s_lshl_b64 s[2:3], s[18:19], 3
	s_load_dword s19, s[4:5], 0x0
	s_add_u32 s8, s12, s2
	s_addc_u32 s9, s13, s3
	s_load_dword s28, s[0:1], 0x0
	s_waitcnt lgkmcnt(0)
	s_add_u32 s2, s20, s2
	s_addc_u32 s3, s21, s3
	s_lshl_b64 s[12:13], s[22:23], 3
	s_load_dwordx2 s[2:3], s[2:3], 0x0
	s_waitcnt lgkmcnt(0)
	s_add_u32 s7, s2, s12
	s_addc_u32 s12, s3, s13
	s_lshl_b32 s20, s6, 6
	s_clause 0x1
	s_load_dwordx2 s[16:17], s[4:5], 0x28
	s_load_dwordx2 s[24:25], s[4:5], 0x68
	;; [unrolled: 1-line block ×3, first 2 shown]
	v_add_nc_u32_e32 v34, s20, v0
	s_ashr_i32 s29, s19, 31
	s_add_i32 s4, s28, -1
	s_lshr_b32 s0, s29, 26
	v_ashrrev_i32_e32 v35, 31, v34
	v_mul_lo_u32 v4, s11, v34
	v_mad_u64_u32 v[2:3], null, s10, v34, 0
	s_add_i32 s1, s19, s0
	v_mul_lo_u32 v5, s10, v35
	s_andn2_b32 s1, s1, 63
	v_cmp_ne_u32_e64 s0, 0, v1
	s_sub_i32 s5, s19, s1
	v_cmp_eq_u32_e64 s1, 0, v1
	s_cmp_eq_u32 s6, s4
	s_cselect_b32 s22, s5, 0
	v_add3_u32 v3, v3, v5, v4
	v_lshlrev_b64 v[2:3], 3, v[2:3]
	v_add_co_u32 v18, vcc_lo, s7, v2
	v_add_co_ci_u32_e64 v19, null, s12, v3, vcc_lo
	s_and_saveexec_b32 s4, s1
	s_cbranch_execz .LBB172_10
; %bb.7:
	v_cmp_gt_i32_e32 vcc_lo, s22, v0
	s_cmp_eq_u32 s22, 0
	v_mov_b32_e32 v2, 0
	v_mov_b32_e32 v3, 0
	s_cselect_b32 s5, -1, 0
	s_or_b32 s7, s5, vcc_lo
	s_and_saveexec_b32 s5, s7
	s_cbranch_execz .LBB172_9
; %bb.8:
	flat_load_dwordx2 v[2:3], v[18:19]
.LBB172_9:
	s_or_b32 exec_lo, exec_lo, s5
	v_lshlrev_b32_e32 v4, 3, v0
	s_waitcnt vmcnt(0) lgkmcnt(0)
	ds_write_b64 v4, v[2:3] offset:9088
.LBB172_10:
	s_or_b32 exec_lo, exec_lo, s4
	v_lshl_add_u32 v24, v1, 6, v0
	v_and_b32_e32 v2, 31, v0
	v_mov_b32_e32 v3, 0
	s_lshl_b64 s[4:5], s[14:15], 3
	s_waitcnt lgkmcnt(0)
	s_mul_hi_u32 s7, s16, s20
	v_lshrrev_b32_e32 v13, 5, v24
	s_add_u32 s4, s2, s4
	s_addc_u32 s5, s3, s5
	s_ashr_i32 s21, s20, 31
	s_mul_i32 s8, s17, s20
	v_mad_u64_u32 v[3:4], null, s16, v13, v[2:3]
	s_lshl_b64 s[2:3], s[20:21], 3
	s_mul_i32 s9, s16, s21
	s_add_u32 s4, s4, s2
	s_addc_u32 s5, s5, s3
	s_add_i32 s3, s7, s9
	s_mul_i32 s2, s16, s20
	v_mad_u64_u32 v[4:5], null, s17, v13, v[4:5]
	s_add_i32 s3, s3, s8
	s_lshl_b64 s[14:15], s[2:3], 3
	s_cmp_lg_u32 s22, 0
	s_mov_b32 s2, -1
	s_cselect_b32 s30, -1, 0
	v_lshlrev_b64 v[20:21], 3, v[3:4]
	s_cmp_eq_u32 s22, 0
	s_cselect_b32 s8, -1, 0
	v_add_co_u32 v3, vcc_lo, s4, v20
	v_add_co_ci_u32_e64 v4, null, s5, v21, vcc_lo
	v_add_co_u32 v3, vcc_lo, v3, s14
	v_add_co_ci_u32_e64 v4, null, s15, v4, vcc_lo
	s_and_b32 vcc_lo, exec_lo, s30
	s_cbranch_vccnz .LBB172_12
; %bb.11:
	s_lshl_b64 s[2:3], s[16:17], 6
	v_mul_u32_u24_e32 v14, 0x108, v13
	v_add_co_u32 v5, vcc_lo, v3, s2
	v_add_co_ci_u32_e64 v6, null, s3, v4, vcc_lo
	v_lshl_add_u32 v14, v2, 3, v14
	v_add_co_u32 v7, vcc_lo, v5, s2
	v_add_co_ci_u32_e64 v8, null, s3, v6, vcc_lo
	v_add_co_u32 v9, vcc_lo, v7, s2
	v_add_co_ci_u32_e64 v10, null, s3, v8, vcc_lo
	s_clause 0x3
	flat_load_dwordx2 v[11:12], v[3:4]
	flat_load_dwordx2 v[5:6], v[5:6]
	;; [unrolled: 1-line block ×4, first 2 shown]
	s_mov_b32 s2, 0
	s_waitcnt vmcnt(3) lgkmcnt(3)
	ds_write_b64 v14, v[11:12]
	s_waitcnt vmcnt(2) lgkmcnt(3)
	ds_write_b64 v14, v[5:6] offset:2112
	s_waitcnt vmcnt(1) lgkmcnt(3)
	ds_write_b64 v14, v[7:8] offset:4224
	;; [unrolled: 2-line block ×3, first 2 shown]
.LBB172_12:
	s_andn2_b32 vcc_lo, exec_lo, s2
	s_cbranch_vccnz .LBB172_22
; %bb.13:
	v_lshlrev_b32_e32 v14, 3, v2
	s_ashr_i32 s23, s22, 31
	v_mov_b32_e32 v7, 0
	s_lshl_b64 s[4:5], s[22:23], 3
	v_mov_b32_e32 v9, 0
	v_sub_co_u32 v5, vcc_lo, v3, v14
	v_subrev_co_ci_u32_e64 v6, null, 0, v4, vcc_lo
	v_mov_b32_e32 v8, 0
	v_add_co_u32 v5, vcc_lo, v5, s4
	v_add_co_ci_u32_e64 v6, null, s5, v6, vcc_lo
	v_mov_b32_e32 v10, 0
	v_add_co_u32 v5, vcc_lo, v5, -8
	v_add_co_ci_u32_e64 v6, null, -1, v6, vcc_lo
	v_cmp_gt_i32_e32 vcc_lo, s22, v2
	s_mov_b32 s3, exec_lo
	v_cndmask_b32_e32 v6, v6, v4, vcc_lo
	v_cndmask_b32_e32 v5, v5, v3, vcc_lo
	v_cmpx_gt_i32_e64 s22, v13
	s_cbranch_execz .LBB172_15
; %bb.14:
	flat_load_dwordx2 v[9:10], v[5:6]
.LBB172_15:
	s_or_b32 exec_lo, exec_lo, s3
	v_lshlrev_b32_e32 v11, 3, v2
	v_add_nc_u32_e32 v15, 8, v13
	v_mul_u32_u24_e32 v12, 0x108, v13
	s_mov_b32 s3, exec_lo
	v_mad_u32_u24 v16, 0x108, v13, v11
	s_waitcnt vmcnt(0) lgkmcnt(0)
	ds_write_b64 v16, v[9:10]
	v_cmpx_gt_i32_e64 s22, v15
	s_cbranch_execz .LBB172_17
; %bb.16:
	s_lshl_b64 s[12:13], s[16:17], 6
	v_add_co_u32 v7, s2, v5, s12
	v_add_co_ci_u32_e64 v8, null, s13, v6, s2
	flat_load_dwordx2 v[7:8], v[7:8]
.LBB172_17:
	s_or_b32 exec_lo, exec_lo, s3
	v_add_nc_u32_e32 v15, v12, v11
	v_mov_b32_e32 v9, 0
	v_mov_b32_e32 v11, 0
	v_add_nc_u32_e32 v16, 16, v13
	v_mov_b32_e32 v10, 0
	v_mov_b32_e32 v12, 0
	s_mov_b32 s3, exec_lo
	s_waitcnt vmcnt(0) lgkmcnt(0)
	ds_write_b64 v15, v[7:8] offset:2112
	v_cmpx_gt_i32_e64 s22, v16
	s_cbranch_execz .LBB172_19
; %bb.18:
	s_lshl_b64 s[12:13], s[16:17], 7
	v_add_co_u32 v7, s2, v5, s12
	v_add_co_ci_u32_e64 v8, null, s13, v6, s2
	flat_load_dwordx2 v[11:12], v[7:8]
.LBB172_19:
	s_or_b32 exec_lo, exec_lo, s3
	v_add_nc_u32_e32 v7, 24, v13
	s_mov_b32 s3, exec_lo
	s_waitcnt vmcnt(0) lgkmcnt(0)
	ds_write_b64 v15, v[11:12] offset:4224
	v_cmpx_gt_i32_e64 s22, v7
	s_cbranch_execz .LBB172_21
; %bb.20:
	v_mad_u64_u32 v[7:8], null, 0xc0, s16, v[5:6]
	v_mad_u64_u32 v[8:9], null, 0xc0, s17, v[8:9]
	flat_load_dwordx2 v[9:10], v[7:8]
.LBB172_21:
	s_or_b32 exec_lo, exec_lo, s3
	v_add_co_u32 v5, s2, v5, v14
	v_add_co_ci_u32_e64 v6, null, 0, v6, s2
	s_waitcnt vmcnt(0) lgkmcnt(0)
	ds_write_b64 v15, v[9:10] offset:6336
	v_sub_co_u32 v5, s2, v5, s4
	v_subrev_co_ci_u32_e64 v6, null, s5, v6, s2
	v_add_co_u32 v5, s2, v5, 8
	v_add_co_ci_u32_e64 v6, null, 0, v6, s2
	v_cndmask_b32_e32 v3, v5, v3, vcc_lo
	v_cndmask_b32_e32 v4, v6, v4, vcc_lo
.LBB172_22:
	v_lshlrev_b32_e32 v12, 3, v2
	v_lshlrev_b32_e32 v11, 2, v13
	s_waitcnt lgkmcnt(0)
	s_barrier
	buffer_gl0_inv
	v_lshl_or_b32 v7, v2, 8, v12
	v_cmp_lt_u32_e64 s3, v11, v2
	v_mad_u32_u24 v6, 0x420, v13, v12
	s_and_saveexec_b32 s2, s3
	s_cbranch_execz .LBB172_24
; %bb.23:
	ds_read_b64 v[8:9], v6
	v_lshl_add_u32 v5, v11, 3, v7
	s_waitcnt lgkmcnt(0)
	ds_write_b64 v5, v[8:9]
.LBB172_24:
	s_or_b32 exec_lo, exec_lo, s2
	v_or_b32_e32 v15, 1, v11
	v_cmp_lt_u32_e64 s4, v15, v2
	v_mad_u32_u24 v5, 0x108, v15, v12
	s_and_saveexec_b32 s2, s4
	s_cbranch_execz .LBB172_26
; %bb.25:
	ds_read_b64 v[8:9], v5
	v_lshl_add_u32 v10, v11, 3, v7
	s_waitcnt lgkmcnt(0)
	ds_write_b64 v10, v[8:9] offset:8
.LBB172_26:
	s_or_b32 exec_lo, exec_lo, s2
	v_or_b32_e32 v8, 2, v11
	v_cmp_lt_u32_e64 s5, v8, v2
	s_and_saveexec_b32 s2, s5
	s_cbranch_execz .LBB172_28
; %bb.27:
	v_mad_u32_u24 v8, 0x108, v8, v12
	v_lshl_add_u32 v10, v11, 3, v7
	ds_read_b64 v[8:9], v8
	s_waitcnt lgkmcnt(0)
	ds_write_b64 v10, v[8:9] offset:16
.LBB172_28:
	s_or_b32 exec_lo, exec_lo, s2
	v_or_b32_e32 v9, 3, v11
	s_mov_b32 s2, exec_lo
                                        ; implicit-def: $vgpr8
	v_cmp_lt_u32_e64 s7, v9, v2
	v_cmpx_ge_u32_e64 v9, v2
	s_xor_b32 s2, exec_lo, s2
; %bb.29:
	v_mul_u32_u24_e32 v8, 0x108, v9
                                        ; implicit-def: $vgpr7
                                        ; implicit-def: $vgpr9
; %bb.30:
	s_andn2_saveexec_b32 s2, s2
	s_cbranch_execz .LBB172_32
; %bb.31:
	v_mad_u32_u24 v8, 0x108, v9, v12
	v_lshl_add_u32 v7, v11, 3, v7
	ds_read_b64 v[16:17], v8
	v_mul_u32_u24_e32 v8, 0x108, v9
	s_waitcnt lgkmcnt(0)
	ds_write_b64 v7, v[16:17] offset:24
.LBB172_32:
	s_or_b32 exec_lo, exec_lo, s2
	v_lshlrev_b32_e32 v14, 3, v11
	s_waitcnt lgkmcnt(0)
	s_barrier
	buffer_gl0_inv
	ds_read_b64 v[22:23], v6
	ds_read_b128 v[25:28], v14 offset:9088
	v_add_nc_u32_e32 v16, v12, v8
	ds_read_b128 v[6:9], v14 offset:9104
	ds_read_b64 v[36:37], v16
	ds_read2_b64 v[29:32], v5 offset1:33
	v_cmp_gt_u32_e64 s2, 32, v24
	s_waitcnt lgkmcnt(0)
	s_barrier
	buffer_gl0_inv
	v_fma_f64 v[22:23], v[22:23], v[25:26], 0
	v_fma_f64 v[22:23], v[29:30], v[27:28], v[22:23]
	;; [unrolled: 1-line block ×3, first 2 shown]
	v_mul_u32_u24_e32 v7, 33, v2
	v_lshlrev_b32_e32 v25, 3, v7
	v_lshl_add_u32 v26, v13, 3, v25
	v_fma_f64 v[5:6], v[36:37], v[8:9], v[5:6]
	v_mov_b32_e32 v36, 0
	v_mov_b32_e32 v37, 0
	ds_write_b64 v26, v[5:6]
	s_waitcnt lgkmcnt(0)
	s_barrier
	buffer_gl0_inv
	s_and_saveexec_b32 s9, s2
	s_cbranch_execz .LBB172_34
; %bb.33:
	ds_read2_b64 v[5:8], v25 offset1:1
	ds_read2_b64 v[27:30], v25 offset0:2 offset1:3
	s_waitcnt lgkmcnt(1)
	v_add_f64 v[5:6], v[5:6], v[7:8]
	s_waitcnt lgkmcnt(0)
	v_add_f64 v[5:6], v[5:6], v[27:28]
	v_add_f64 v[9:10], v[5:6], v[29:30]
	ds_read2_b64 v[5:8], v25 offset0:4 offset1:5
	ds_read2_b64 v[27:30], v25 offset0:6 offset1:7
	s_waitcnt lgkmcnt(1)
	v_add_f64 v[5:6], v[9:10], v[5:6]
	v_add_f64 v[5:6], v[5:6], v[7:8]
	s_waitcnt lgkmcnt(0)
	v_add_f64 v[5:6], v[5:6], v[27:28]
	v_add_f64 v[36:37], v[5:6], v[29:30]
.LBB172_34:
	s_or_b32 exec_lo, exec_lo, s9
	s_lshl_b64 s[12:13], s[16:17], 8
	v_cndmask_b32_e64 v17, 0, 1, s8
	v_add_co_u32 v3, vcc_lo, v3, s12
	v_add_co_ci_u32_e64 v4, null, s13, v4, vcc_lo
	v_add_co_u32 v22, vcc_lo, 0x100, v3
	v_add_co_ci_u32_e64 v23, null, 0, v4, vcc_lo
	s_andn2_b32 vcc_lo, exec_lo, s8
	s_mov_b32 s8, -1
	s_barrier
	buffer_gl0_inv
	s_cbranch_vccnz .LBB172_36
; %bb.35:
	s_lshl_b64 s[8:9], s[16:17], 6
	v_mad_u32_u24 v29, 0x108, v13, v12
	v_add_co_u32 v5, vcc_lo, v3, s8
	v_add_co_ci_u32_e64 v6, null, s9, v4, vcc_lo
	v_add_co_u32 v7, vcc_lo, v5, s8
	v_add_co_ci_u32_e64 v8, null, s9, v6, vcc_lo
	;; [unrolled: 2-line block ×3, first 2 shown]
	s_clause 0x3
	flat_load_dwordx2 v[27:28], v[3:4] offset:256
	flat_load_dwordx2 v[5:6], v[5:6] offset:256
	flat_load_dwordx2 v[7:8], v[7:8] offset:256
	flat_load_dwordx2 v[9:10], v[9:10] offset:256
	s_mov_b32 s8, 0
	s_waitcnt vmcnt(3) lgkmcnt(3)
	ds_write_b64 v29, v[27:28]
	s_waitcnt vmcnt(2) lgkmcnt(3)
	ds_write_b64 v29, v[5:6] offset:2112
	s_waitcnt vmcnt(1) lgkmcnt(3)
	ds_write_b64 v29, v[7:8] offset:4224
	;; [unrolled: 2-line block ×3, first 2 shown]
.LBB172_36:
	s_andn2_b32 vcc_lo, exec_lo, s8
	s_cbranch_vccnz .LBB172_46
; %bb.37:
	v_lshlrev_b32_e32 v27, 3, v2
	s_ashr_i32 s23, s22, 31
	v_or_b32_e32 v5, 32, v2
	s_lshl_b64 s[26:27], s[22:23], 3
	v_mov_b32_e32 v7, 0
	v_sub_co_u32 v3, vcc_lo, v3, v27
	v_subrev_co_ci_u32_e64 v4, null, 0, v4, vcc_lo
	v_mov_b32_e32 v8, 0
	v_add_co_u32 v3, vcc_lo, v3, s26
	v_add_co_ci_u32_e64 v4, null, s27, v4, vcc_lo
	s_sub_i32 s9, s22, 32
	v_add_co_u32 v3, vcc_lo, v3, -8
	v_add_co_ci_u32_e64 v4, null, -1, v4, vcc_lo
	v_cmp_gt_i32_e32 vcc_lo, s22, v5
	v_mov_b32_e32 v5, 0
	v_mov_b32_e32 v6, 0
	s_mov_b32 s23, exec_lo
	v_cndmask_b32_e32 v4, v4, v23, vcc_lo
	v_cndmask_b32_e32 v3, v3, v22, vcc_lo
	v_cmpx_gt_i32_e64 s9, v13
	s_cbranch_execz .LBB172_39
; %bb.38:
	flat_load_dwordx2 v[7:8], v[3:4]
.LBB172_39:
	s_or_b32 exec_lo, exec_lo, s23
	v_add_nc_u32_e32 v10, 8, v13
	v_mul_u32_u24_e32 v9, 0x108, v13
	v_mad_u32_u24 v28, 0x108, v13, v12
	s_mov_b32 s23, exec_lo
	s_waitcnt vmcnt(0) lgkmcnt(0)
	ds_write_b64 v28, v[7:8]
	v_cmpx_gt_i32_e64 s9, v10
	s_cbranch_execz .LBB172_41
; %bb.40:
	s_lshl_b64 s[34:35], s[16:17], 6
	v_add_co_u32 v5, s8, v3, s34
	v_add_co_ci_u32_e64 v6, null, s35, v4, s8
	flat_load_dwordx2 v[5:6], v[5:6]
.LBB172_41:
	s_or_b32 exec_lo, exec_lo, s23
	v_add_nc_u32_e32 v28, v9, v12
	v_mov_b32_e32 v7, 0
	v_mov_b32_e32 v9, 0
	v_add_nc_u32_e32 v29, 16, v13
	v_mov_b32_e32 v8, 0
	v_mov_b32_e32 v10, 0
	s_mov_b32 s23, exec_lo
	s_waitcnt vmcnt(0) lgkmcnt(0)
	ds_write_b64 v28, v[5:6] offset:2112
	v_cmpx_gt_i32_e64 s9, v29
	s_cbranch_execz .LBB172_43
; %bb.42:
	s_lshl_b64 s[34:35], s[16:17], 7
	v_add_co_u32 v5, s8, v3, s34
	v_add_co_ci_u32_e64 v6, null, s35, v4, s8
	flat_load_dwordx2 v[9:10], v[5:6]
.LBB172_43:
	s_or_b32 exec_lo, exec_lo, s23
	v_add_nc_u32_e32 v5, 24, v13
	s_waitcnt vmcnt(0) lgkmcnt(0)
	ds_write_b64 v28, v[9:10] offset:4224
	v_cmp_gt_i32_e64 s8, s9, v5
	s_and_saveexec_b32 s9, s8
	s_cbranch_execz .LBB172_45
; %bb.44:
	v_mad_u64_u32 v[5:6], null, 0xc0, s16, v[3:4]
	v_mad_u64_u32 v[6:7], null, 0xc0, s17, v[6:7]
	flat_load_dwordx2 v[7:8], v[5:6]
.LBB172_45:
	s_or_b32 exec_lo, exec_lo, s9
	v_add_co_u32 v3, s8, v3, v27
	v_add_co_ci_u32_e64 v4, null, 0, v4, s8
	s_waitcnt vmcnt(0) lgkmcnt(0)
	ds_write_b64 v28, v[7:8] offset:6336
	v_sub_co_u32 v3, s8, v3, s26
	v_subrev_co_ci_u32_e64 v4, null, s27, v4, s8
	v_add_co_u32 v3, s8, 0x108, v3
	v_add_co_ci_u32_e64 v4, null, 0, v4, s8
	v_cndmask_b32_e32 v22, v3, v22, vcc_lo
	v_cndmask_b32_e32 v23, v4, v23, vcc_lo
.LBB172_46:
	v_mul_u32_u24_e32 v4, 0x420, v13
	v_add_nc_u32_e32 v14, 0x2380, v14
	v_mul_u32_u24_e32 v3, 0x108, v15
	s_lshl_b64 s[8:9], s[16:17], 5
	s_waitcnt lgkmcnt(0)
	v_add_nc_u32_e32 v4, v12, v4
	s_barrier
	buffer_gl0_inv
	s_and_saveexec_b32 s23, s3
	s_cbranch_execnz .LBB172_55
; %bb.47:
	s_or_b32 exec_lo, exec_lo, s23
	v_add_nc_u32_e32 v3, v12, v3
	s_and_saveexec_b32 s3, s4
	s_cbranch_execnz .LBB172_56
.LBB172_48:
	s_or_b32 exec_lo, exec_lo, s3
	s_and_saveexec_b32 s3, s5
	s_cbranch_execnz .LBB172_57
.LBB172_49:
	s_or_b32 exec_lo, exec_lo, s3
	s_and_saveexec_b32 s3, s7
	s_cbranch_execz .LBB172_51
.LBB172_50:
	ds_read_b64 v[5:6], v16
	v_lshl_add_u32 v7, v11, 3, v25
	s_waitcnt lgkmcnt(0)
	ds_write_b64 v7, v[5:6] offset:24
.LBB172_51:
	s_or_b32 exec_lo, exec_lo, s3
	s_waitcnt lgkmcnt(0)
	s_barrier
	buffer_gl0_inv
	ds_read_b64 v[8:9], v4
	ds_read_b128 v[4:7], v14 offset:256
	ds_read_b128 v[27:30], v14 offset:272
	ds_read_b64 v[15:16], v16
	ds_read2_b64 v[38:41], v3 offset1:33
	v_cmp_eq_u32_e64 s3, 1, v13
	s_waitcnt lgkmcnt(0)
	s_barrier
	buffer_gl0_inv
	v_fma_f64 v[4:5], v[8:9], v[4:5], 0
	v_fma_f64 v[3:4], v[38:39], v[6:7], v[4:5]
	v_fma_f64 v[3:4], v[40:41], v[27:28], v[3:4]
	v_fma_f64 v[3:4], v[15:16], v[29:30], v[3:4]
	ds_write_b64 v26, v[3:4]
	s_waitcnt lgkmcnt(0)
	s_barrier
	buffer_gl0_inv
	s_and_saveexec_b32 s4, s3
	s_cbranch_execz .LBB172_53
; %bb.52:
	ds_read2_b64 v[3:6], v25 offset1:1
	ds_read2_b64 v[7:10], v25 offset0:2 offset1:3
	s_waitcnt lgkmcnt(1)
	v_add_f64 v[3:4], v[3:4], v[5:6]
	s_waitcnt lgkmcnt(0)
	v_add_f64 v[3:4], v[3:4], v[7:8]
	v_add_f64 v[15:16], v[3:4], v[9:10]
	ds_read2_b64 v[3:6], v25 offset0:4 offset1:5
	ds_read2_b64 v[7:10], v25 offset0:6 offset1:7
	s_waitcnt lgkmcnt(1)
	v_add_f64 v[3:4], v[15:16], v[3:4]
	v_add_f64 v[3:4], v[3:4], v[5:6]
	s_waitcnt lgkmcnt(0)
	v_add_f64 v[3:4], v[3:4], v[7:8]
	v_add_f64 v[36:37], v[3:4], v[9:10]
.LBB172_53:
	s_or_b32 exec_lo, exec_lo, s4
	s_lshl_b64 s[4:5], s[8:9], 3
	v_cmp_ne_u32_e32 vcc_lo, 1, v17
	v_sub_co_u32 v22, s4, v22, s4
	v_subrev_co_ci_u32_e64 v23, null, s5, v23, s4
	s_barrier
	buffer_gl0_inv
	s_cbranch_vccnz .LBB172_58
; %bb.54:
	s_lshl_b64 s[4:5], s[16:17], 6
	flat_load_dwordx2 v[5:6], v[22:23]
	v_add_co_u32 v3, vcc_lo, v22, s4
	v_add_co_ci_u32_e64 v4, null, s5, v23, vcc_lo
	v_mul_u32_u24_e32 v15, 0x108, v13
	v_add_co_u32 v7, vcc_lo, v3, s4
	v_add_co_ci_u32_e64 v8, null, s5, v4, vcc_lo
	v_add_nc_u32_e32 v16, 8, v13
	v_add_co_u32 v9, vcc_lo, v7, s4
	v_add_co_ci_u32_e64 v10, null, s5, v8, vcc_lo
	s_movk_i32 s4, 0x840
	s_clause 0x2
	flat_load_dwordx2 v[28:29], v[3:4]
	flat_load_dwordx2 v[30:31], v[7:8]
	;; [unrolled: 1-line block ×3, first 2 shown]
	v_mad_u32_u24 v3, 0x108, v13, v12
	v_mad_u32_u24 v27, 0x108, v13, s4
	s_movk_i32 s4, 0x18c0
	s_movk_i32 s5, 0x1080
	v_add_nc_u32_e32 v17, 16, v13
	v_mad_u32_u24 v7, 0x108, v13, s5
	v_add_nc_u32_e32 v4, v12, v27
	v_add_nc_u32_e32 v8, 24, v13
	s_waitcnt vmcnt(3) lgkmcnt(3)
	ds_write_b64 v3, v[5:6]
	v_mad_u32_u24 v3, 0x108, v13, s4
	v_add_nc_u32_e32 v5, v12, v7
	s_waitcnt vmcnt(2) lgkmcnt(3)
	ds_write_b64 v4, v[28:29]
	s_waitcnt vmcnt(1) lgkmcnt(3)
	ds_write_b64 v5, v[30:31]
	v_add_nc_u32_e32 v6, v12, v3
	s_waitcnt vmcnt(0) lgkmcnt(3)
	ds_write_b64 v6, v[9:10]
	s_cbranch_execz .LBB172_59
	s_branch .LBB172_68
.LBB172_55:
	ds_read_b64 v[5:6], v4
	v_lshl_add_u32 v7, v11, 3, v25
	s_waitcnt lgkmcnt(0)
	ds_write_b64 v7, v[5:6]
	s_or_b32 exec_lo, exec_lo, s23
	v_add_nc_u32_e32 v3, v12, v3
	s_and_saveexec_b32 s3, s4
	s_cbranch_execz .LBB172_48
.LBB172_56:
	ds_read_b64 v[5:6], v3
	v_lshl_add_u32 v7, v11, 3, v25
	s_waitcnt lgkmcnt(0)
	ds_write_b64 v7, v[5:6] offset:8
	s_or_b32 exec_lo, exec_lo, s3
	s_and_saveexec_b32 s3, s5
	s_cbranch_execz .LBB172_49
.LBB172_57:
	ds_read_b64 v[5:6], v3 offset:264
	v_lshl_add_u32 v7, v11, 3, v25
	s_waitcnt lgkmcnt(0)
	ds_write_b64 v7, v[5:6] offset:16
	s_or_b32 exec_lo, exec_lo, s3
	s_and_saveexec_b32 s3, s7
	s_cbranch_execnz .LBB172_50
	s_branch .LBB172_51
.LBB172_58:
                                        ; implicit-def: $vgpr15
                                        ; implicit-def: $vgpr16
                                        ; implicit-def: $vgpr27
                                        ; implicit-def: $vgpr17
                                        ; implicit-def: $vgpr7
                                        ; implicit-def: $vgpr8
                                        ; implicit-def: $vgpr3
.LBB172_59:
	v_or_b32_e32 v3, 32, v2
	s_ashr_i32 s23, s22, 31
	v_mov_b32_e32 v7, 0
	s_lshl_b64 s[8:9], s[22:23], 3
	v_mov_b32_e32 v8, 0
	v_lshlrev_b32_e32 v4, 3, v3
	s_mov_b32 s5, exec_lo
	v_sub_co_u32 v4, vcc_lo, v22, v4
	v_subrev_co_ci_u32_e64 v5, null, 0, v23, vcc_lo
	v_add_co_u32 v4, vcc_lo, v4, s8
	v_add_co_ci_u32_e64 v5, null, s9, v5, vcc_lo
	v_add_co_u32 v9, vcc_lo, v4, -8
	v_add_co_ci_u32_e64 v4, null, -1, v5, vcc_lo
	v_cmp_gt_i32_e32 vcc_lo, s22, v3
	v_mov_b32_e32 v5, 0
	v_mov_b32_e32 v6, 0
	v_cndmask_b32_e32 v4, v4, v23, vcc_lo
	v_cndmask_b32_e32 v3, v9, v22, vcc_lo
	v_cmpx_gt_i32_e64 s22, v13
	s_cbranch_execz .LBB172_61
; %bb.60:
	flat_load_dwordx2 v[5:6], v[3:4]
.LBB172_61:
	s_or_b32 exec_lo, exec_lo, s5
	v_add_nc_u32_e32 v16, 8, v13
	v_mul_u32_u24_e32 v15, 0x108, v13
	v_mad_u32_u24 v9, 0x108, v13, v12
	s_mov_b32 s5, exec_lo
	s_waitcnt vmcnt(0) lgkmcnt(0)
	ds_write_b64 v9, v[5:6]
	v_cmpx_gt_i32_e64 s22, v16
	s_cbranch_execz .LBB172_63
; %bb.62:
	s_lshl_b64 s[26:27], s[16:17], 6
	v_add_co_u32 v5, s4, v3, s26
	v_add_co_ci_u32_e64 v6, null, s27, v4, s4
	flat_load_dwordx2 v[7:8], v[5:6]
.LBB172_63:
	s_or_b32 exec_lo, exec_lo, s5
	v_add_nc_u32_e32 v27, 0x840, v15
	v_mov_b32_e32 v5, 0
	v_mov_b32_e32 v9, 0
	v_add_nc_u32_e32 v17, 16, v13
	v_mov_b32_e32 v6, 0
	v_add_nc_u32_e32 v28, v12, v27
	v_mov_b32_e32 v10, 0
	s_mov_b32 s5, exec_lo
	s_waitcnt vmcnt(0) lgkmcnt(0)
	ds_write_b64 v28, v[7:8]
	v_cmpx_gt_i32_e64 s22, v17
	s_cbranch_execz .LBB172_65
; %bb.64:
	s_lshl_b64 s[26:27], s[16:17], 7
	v_add_co_u32 v7, s4, v3, s26
	v_add_co_ci_u32_e64 v8, null, s27, v4, s4
	flat_load_dwordx2 v[9:10], v[7:8]
.LBB172_65:
	s_or_b32 exec_lo, exec_lo, s5
	v_add_nc_u32_e32 v7, 0x840, v27
	v_add_nc_u32_e32 v8, 24, v13
	s_mov_b32 s5, exec_lo
	v_add_nc_u32_e32 v28, v12, v7
	s_waitcnt vmcnt(0) lgkmcnt(0)
	ds_write_b64 v28, v[9:10]
	v_cmpx_gt_i32_e64 s22, v8
	s_cbranch_execz .LBB172_67
; %bb.66:
	v_mad_u64_u32 v[5:6], null, 0xc0, s16, v[3:4]
	v_mad_u64_u32 v[9:10], null, 0xc0, s17, v[6:7]
	v_mov_b32_e32 v6, v9
	flat_load_dwordx2 v[5:6], v[5:6]
.LBB172_67:
	s_or_b32 exec_lo, exec_lo, s5
	v_lshlrev_b32_e32 v2, 3, v2
	v_add_co_u32 v2, s4, v3, v2
	v_add_co_ci_u32_e64 v3, null, 0, v4, s4
	v_sub_co_u32 v2, s4, v2, s8
	v_subrev_co_ci_u32_e64 v4, null, s9, v3, s4
	v_add_nc_u32_e32 v3, 0x840, v7
	v_add_co_u32 v2, s4, 0x108, v2
	v_add_co_ci_u32_e64 v4, null, 0, v4, s4
	v_add_nc_u32_e32 v9, v12, v3
	v_cndmask_b32_e32 v22, v2, v22, vcc_lo
	v_cndmask_b32_e32 v23, v4, v23, vcc_lo
	s_waitcnt vmcnt(0) lgkmcnt(0)
	ds_write_b64 v9, v[5:6]
.LBB172_68:
	v_add_nc_u32_e32 v2, v12, v15
	v_lshlrev_b32_e32 v6, 3, v13
	s_waitcnt lgkmcnt(0)
	s_barrier
	buffer_gl0_inv
	ds_read_b64 v[4:5], v2
	ds_read_b64 v[9:10], v6 offset:9088
	v_add_nc_u32_e32 v2, v12, v27
	v_lshlrev_b32_e32 v6, 3, v16
	v_lshlrev_b32_e32 v8, 3, v8
	ds_read_b64 v[15:16], v2
	ds_read_b64 v[27:28], v6 offset:9088
	v_add_nc_u32_e32 v2, v12, v7
	s_waitcnt lgkmcnt(2)
	v_fma_f64 v[4:5], v[4:5], v[9:10], 0
	v_lshlrev_b32_e32 v9, 3, v17
	ds_read_b64 v[6:7], v2
	ds_read_b64 v[9:10], v9 offset:9088
	v_add_nc_u32_e32 v2, v12, v3
	ds_read_b64 v[2:3], v2
	ds_read_b64 v[12:13], v8 offset:9088
	s_waitcnt lgkmcnt(4)
	v_fma_f64 v[4:5], v[15:16], v[27:28], v[4:5]
	s_waitcnt lgkmcnt(2)
	v_fma_f64 v[4:5], v[6:7], v[9:10], v[4:5]
	v_lshl_add_u32 v6, v11, 3, v25
	s_waitcnt lgkmcnt(0)
	v_fma_f64 v[27:28], v[2:3], v[12:13], v[4:5]
	ds_read_b128 v[10:13], v14 offset:256
	ds_read_b128 v[2:5], v14 offset:272
	ds_read2_b64 v[14:17], v6 offset1:1
	ds_read2_b64 v[6:9], v6 offset0:2 offset1:3
	s_waitcnt lgkmcnt(0)
	s_barrier
	buffer_gl0_inv
	ds_write_b64 v26, v[27:28]
	s_waitcnt lgkmcnt(0)
	s_barrier
	buffer_gl0_inv
	s_and_saveexec_b32 s4, s3
	s_cbranch_execz .LBB172_70
; %bb.69:
	ds_read2_b64 v[27:30], v25 offset1:1
	ds_read2_b64 v[38:41], v25 offset0:2 offset1:3
	s_waitcnt lgkmcnt(1)
	v_add_f64 v[27:28], v[36:37], v[27:28]
	v_add_f64 v[27:28], v[27:28], v[29:30]
	s_waitcnt lgkmcnt(0)
	v_add_f64 v[27:28], v[27:28], v[38:39]
	v_add_f64 v[31:32], v[27:28], v[40:41]
	ds_read2_b64 v[27:30], v25 offset0:4 offset1:5
	ds_read2_b64 v[36:39], v25 offset0:6 offset1:7
	s_waitcnt lgkmcnt(1)
	v_add_f64 v[27:28], v[31:32], v[27:28]
	v_add_f64 v[27:28], v[27:28], v[29:30]
	s_waitcnt lgkmcnt(0)
	v_add_f64 v[27:28], v[27:28], v[36:37]
	v_add_f64 v[36:37], v[27:28], v[38:39]
.LBB172_70:
	s_or_b32 exec_lo, exec_lo, s4
	v_fma_f64 v[10:11], v[14:15], v[10:11], 0
	s_barrier
	buffer_gl0_inv
	v_fma_f64 v[10:11], v[16:17], v[12:13], v[10:11]
	v_fma_f64 v[2:3], v[6:7], v[2:3], v[10:11]
	;; [unrolled: 1-line block ×3, first 2 shown]
	ds_write_b64 v26, v[2:3]
	s_waitcnt lgkmcnt(0)
	s_barrier
	buffer_gl0_inv
	s_and_saveexec_b32 s3, s2
	s_cbranch_execz .LBB172_72
; %bb.71:
	ds_read2_b64 v[2:5], v25 offset1:1
	ds_read2_b64 v[6:9], v25 offset0:2 offset1:3
	s_waitcnt lgkmcnt(1)
	v_add_f64 v[2:3], v[36:37], v[2:3]
	v_add_f64 v[2:3], v[2:3], v[4:5]
	s_waitcnt lgkmcnt(0)
	v_add_f64 v[2:3], v[2:3], v[6:7]
	v_add_f64 v[10:11], v[2:3], v[8:9]
	ds_read2_b64 v[2:5], v25 offset0:4 offset1:5
	ds_read2_b64 v[6:9], v25 offset0:6 offset1:7
	s_waitcnt lgkmcnt(1)
	v_add_f64 v[2:3], v[10:11], v[2:3]
	v_add_f64 v[2:3], v[2:3], v[4:5]
	s_waitcnt lgkmcnt(0)
	v_add_f64 v[2:3], v[2:3], v[6:7]
	v_add_f64 v[36:37], v[2:3], v[8:9]
.LBB172_72:
	s_or_b32 exec_lo, exec_lo, s3
	s_mul_hi_u32 s2, s19, s18
	s_mul_i32 s29, s29, s18
	s_mul_i32 s3, s19, s18
	s_add_i32 s2, s2, s29
	s_mul_hi_u32 s5, s3, s28
	s_mul_i32 s4, s2, s28
	s_mul_i32 s2, s3, s28
	s_add_i32 s3, s5, s4
	s_mul_i32 s4, s19, s6
	s_lshl_b64 s[2:3], s[2:3], 3
	v_cmp_le_i32_e32 vcc_lo, s22, v0
	s_add_u32 s7, s24, s2
	s_addc_u32 s8, s25, s3
	s_ashr_i32 s5, s4, 31
	v_lshlrev_b32_e32 v74, 3, v0
	s_lshl_b64 s[2:3], s[4:5], 3
	s_add_u32 s7, s7, s2
	s_addc_u32 s24, s8, s3
	s_and_b32 vcc_lo, s30, vcc_lo
	s_cmp_lt_i32 s6, 1
	s_barrier
	buffer_gl0_inv
	s_cbranch_scc1 .LBB172_79
; %bb.73:
	v_lshlrev_b32_e32 v4, 2, v1
	s_ashr_i32 s23, s22, 31
	s_mul_i32 s3, s10, s21
	s_lshl_b64 s[8:9], s[22:23], 3
	s_mul_hi_u32 s5, s10, s20
	v_mad_u64_u32 v[2:3], null, s16, v4, 0
	s_mul_i32 s18, s11, s20
	s_add_i32 s3, s5, s3
	s_mul_i32 s4, s10, s20
	s_add_i32 s5, s3, s18
	s_mul_i32 s3, s17, 24
	s_mul_hi_u32 s18, s16, 24
	v_mad_u64_u32 v[3:4], null, s17, v4, v[3:4]
	v_sub_co_u32 v4, s2, v22, s14
	v_subrev_co_ci_u32_e64 v7, null, s15, v23, s2
	s_add_i32 s20, s18, s3
	v_add_co_u32 v4, s2, 0xffffff00, v4
	v_add_co_ci_u32_e64 v7, null, -1, v7, s2
	v_lshlrev_b64 v[2:3], 3, v[2:3]
	v_sub_co_u32 v4, s2, v4, v20
	v_sub_co_ci_u32_e64 v7, null, v7, v21, s2
	s_mul_i32 s3, s17, 0x90
	v_add_co_u32 v2, s2, v4, v2
	v_add_co_ci_u32_e64 v3, null, v7, v3, s2
	s_mul_hi_u32 s22, s16, 0x90
	v_add_co_u32 v4, s2, v2, s8
	v_add_co_ci_u32_e64 v7, null, s9, v3, s2
	v_add_co_u32 v2, s2, v2, v74
	v_add_co_ci_u32_e64 v3, null, 0, v3, s2
	v_add_co_u32 v4, s2, v4, -8
	v_lshrrev_b32_e32 v5, 4, v24
	v_add_co_ci_u32_e64 v7, null, -1, v7, s2
	s_add_i32 s22, s22, s3
	s_mul_i32 s3, s17, 0x98
	s_mul_hi_u32 s25, s16, 0x98
	s_mul_hi_u32 s27, s16, 0x110
	s_add_i32 s25, s25, s3
	s_mul_i32 s3, s17, 0x110
	s_mul_hi_u32 s29, s16, 0x118
	s_add_i32 s27, s27, s3
	s_mul_i32 s3, s17, 0x118
	v_and_b32_e32 v6, 15, v0
	v_cndmask_b32_e32 v41, v3, v7, vcc_lo
	v_cndmask_b32_e32 v40, v2, v4, vcc_lo
	v_and_b32_e32 v2, 48, v0
	v_lshlrev_b32_e32 v3, 5, v5
	s_add_i32 s29, s29, s3
	s_mul_i32 s3, s17, 0x180
	s_mul_hi_u32 s31, s16, 0x180
	s_mul_hi_u32 s34, s16, 0x190
	s_add_i32 s31, s31, s3
	s_mul_i32 s3, s17, 0x190
	v_lshlrev_b32_e32 v2, 3, v2
	v_or_b32_e32 v4, 0x78, v74
	v_mad_u32_u24 v81, 0x218, v6, v3
	v_mul_i32_i24_e32 v3, 0xffffffe8, v5
	s_add_i32 s34, s34, s3
	s_mul_i32 s3, s17, 0x198
	s_mul_hi_u32 s36, s16, 0x198
	s_lshl_b64 s[4:5], s[4:5], 3
	s_add_i32 s36, s36, s3
	s_mul_i32 s3, s17, 0x188
	s_mul_hi_u32 s38, s16, 0x188
	v_sub_co_u32 v75, s2, v18, s4
	s_add_i32 s38, s38, s3
	s_mul_i32 s3, s17, 0x108
	s_mul_hi_u32 s40, s16, 0x108
	v_mov_b32_e32 v39, 0
	v_subrev_co_ci_u32_e64 v76, null, s5, v19, s2
	v_add_nc_u32_e32 v77, 0x2180, v74
	v_lshl_add_u32 v78, v1, 5, 0x2180
	v_add_nc_u32_e32 v79, 0x2380, v74
	v_mad_u32_u24 v80, 0x860, v1, v74
	v_cmp_gt_u32_e64 s2, 64, v24
	v_mad_u32_u24 v82, 0x218, v6, v2
	v_mad_u32_u24 v83, 0x218, v6, v4
	v_add_nc_u32_e32 v84, v81, v3
	s_lshl_b64 s[4:5], s[16:17], 3
	s_lshl_b64 s[8:9], s[16:17], 4
	;; [unrolled: 1-line block ×4, first 2 shown]
	s_add_i32 s40, s40, s3
	s_mul_i32 s3, s17, 0x88
	s_mul_hi_u32 s17, s16, 0x88
	s_mul_i32 s21, s16, 24
	s_mul_i32 s23, s16, 0x90
	;; [unrolled: 1-line block ×10, first 2 shown]
	s_add_i32 s17, s17, s3
	s_mulk_i32 s16, 0x88
	s_mov_b32 s42, 0
	s_branch .LBB172_75
.LBB172_74:                             ;   in Loop: Header=BB172_75 Depth=1
	s_or_b32 exec_lo, exec_lo, s43
	v_fma_f64 v[6:7], v[42:43], v[6:7], v[36:37]
	v_add_co_u32 v40, s3, v40, s14
	v_add_co_ci_u32_e64 v41, null, s15, v41, s3
	s_add_i32 s6, s6, -1
	s_add_i32 s42, s42, 64
	s_cmp_eq_u32 s6, 0
	s_waitcnt_vscnt null, 0x0
	s_barrier
	buffer_gl0_inv
	v_fma_f64 v[6:7], v[44:45], v[8:9], v[6:7]
	v_fma_f64 v[2:3], v[46:47], v[2:3], v[6:7]
	;; [unrolled: 1-line block ×15, first 2 shown]
	s_cbranch_scc1 .LBB172_79
.LBB172_75:                             ; =>This Inner Loop Header: Depth=1
	s_and_saveexec_b32 s43, s1
	s_cbranch_execz .LBB172_77
; %bb.76:                               ;   in Loop: Header=BB172_75 Depth=1
	s_mul_i32 s3, s11, s42
	s_mul_hi_u32 s45, s10, s42
	s_mul_i32 s44, s10, s42
	s_add_i32 s45, s45, s3
	s_lshl_b64 s[44:45], s[44:45], 3
	v_add_co_u32 v2, s3, v75, s44
	v_add_co_ci_u32_e64 v3, null, s45, v76, s3
	flat_load_dwordx2 v[2:3], v[2:3]
	s_waitcnt vmcnt(0) lgkmcnt(0)
	ds_write_b64 v77, v[2:3]
.LBB172_77:                             ;   in Loop: Header=BB172_75 Depth=1
	s_or_b32 exec_lo, exec_lo, s43
	v_add_co_u32 v2, s3, v40, s4
	v_add_co_ci_u32_e64 v3, null, s5, v41, s3
	v_add_co_u32 v4, s3, v40, s8
	v_add_co_ci_u32_e64 v5, null, s9, v41, s3
	;; [unrolled: 2-line block ×3, first 2 shown]
	s_waitcnt lgkmcnt(0)
	s_barrier
	buffer_gl0_inv
	s_clause 0x3
	flat_load_dwordx2 v[42:43], v[40:41]
	flat_load_dwordx2 v[44:45], v[2:3]
	;; [unrolled: 1-line block ×4, first 2 shown]
	ds_read_b64 v[2:3], v79
	v_add_co_u32 v18, s3, v40, s18
	v_add_co_ci_u32_e64 v19, null, s19, v41, s3
	v_add_co_u32 v20, s3, v40, s16
	v_add_co_ci_u32_e64 v21, null, s17, v41, s3
	;; [unrolled: 2-line block ×12, first 2 shown]
	s_waitcnt vmcnt(3) lgkmcnt(0)
	v_mul_f64 v[10:11], v[42:43], v[2:3]
	s_waitcnt vmcnt(2)
	v_mul_f64 v[12:13], v[44:45], v[2:3]
	s_waitcnt vmcnt(1)
	;; [unrolled: 2-line block ×3, first 2 shown]
	v_mul_f64 v[16:17], v[48:49], v[2:3]
	ds_read_b128 v[6:9], v78
	ds_read_b128 v[2:5], v78 offset:16
	ds_write2_b64 v80, v[10:11], v[12:13] offset1:67
	ds_write2_b64 v80, v[14:15], v[16:17] offset0:134 offset1:201
	s_waitcnt lgkmcnt(0)
	s_barrier
	buffer_gl0_inv
	ds_read2_b64 v[85:88], v81 offset1:1
	ds_read2_b64 v[89:92], v81 offset0:2 offset1:3
	s_waitcnt lgkmcnt(0)
	s_barrier
	buffer_gl0_inv
	s_clause 0x3
	flat_load_dwordx2 v[50:51], v[18:19]
	flat_load_dwordx2 v[52:53], v[20:21]
	;; [unrolled: 1-line block ×4, first 2 shown]
	ds_read_b64 v[10:11], v79
	v_add_f64 v[85:86], v[85:86], 0
	s_waitcnt vmcnt(3) lgkmcnt(0)
	v_mul_f64 v[18:19], v[50:51], v[10:11]
	s_waitcnt vmcnt(2)
	v_mul_f64 v[20:21], v[52:53], v[10:11]
	s_waitcnt vmcnt(1)
	;; [unrolled: 2-line block ×3, first 2 shown]
	v_mul_f64 v[24:25], v[56:57], v[10:11]
	ds_read_b128 v[14:17], v78 offset:128
	ds_read_b128 v[10:13], v78 offset:144
	ds_write2_b64 v80, v[18:19], v[20:21] offset1:67
	ds_write2_b64 v80, v[22:23], v[24:25] offset0:134 offset1:201
	s_waitcnt lgkmcnt(0)
	s_barrier
	buffer_gl0_inv
	ds_read2_b64 v[93:96], v81 offset1:1
	ds_read2_b64 v[97:100], v81 offset0:2 offset1:3
	s_waitcnt lgkmcnt(0)
	s_barrier
	buffer_gl0_inv
	s_clause 0x3
	flat_load_dwordx2 v[58:59], v[26:27]
	flat_load_dwordx2 v[60:61], v[28:29]
	;; [unrolled: 1-line block ×4, first 2 shown]
	ds_read_b64 v[18:19], v79
	v_add_f64 v[93:94], v[93:94], 0
	v_add_f64 v[93:94], v[93:94], v[95:96]
	v_add_f64 v[93:94], v[93:94], v[97:98]
	s_waitcnt vmcnt(3) lgkmcnt(0)
	v_mul_f64 v[26:27], v[58:59], v[18:19]
	s_waitcnt vmcnt(2)
	v_mul_f64 v[28:29], v[60:61], v[18:19]
	s_waitcnt vmcnt(1)
	v_mul_f64 v[30:31], v[62:63], v[18:19]
	s_waitcnt vmcnt(0)
	v_mul_f64 v[32:33], v[64:65], v[18:19]
	ds_read_b128 v[18:21], v78 offset:256
	ds_read_b128 v[22:25], v78 offset:272
	ds_write2_b64 v80, v[26:27], v[28:29] offset1:67
	ds_write2_b64 v80, v[30:31], v[32:33] offset0:134 offset1:201
	s_waitcnt lgkmcnt(0)
	s_barrier
	buffer_gl0_inv
	ds_read2_b64 v[101:104], v81 offset1:1
	ds_read2_b64 v[105:108], v81 offset0:2 offset1:3
	s_waitcnt lgkmcnt(0)
	s_barrier
	buffer_gl0_inv
	s_clause 0x3
	flat_load_dwordx2 v[66:67], v[66:67]
	flat_load_dwordx2 v[68:69], v[68:69]
	;; [unrolled: 1-line block ×4, first 2 shown]
	ds_read_b64 v[26:27], v79
	v_add_f64 v[101:102], v[101:102], 0
	v_add_f64 v[95:96], v[101:102], v[103:104]
	;; [unrolled: 1-line block ×3, first 2 shown]
	s_waitcnt vmcnt(3) lgkmcnt(0)
	v_mul_f64 v[109:110], v[66:67], v[26:27]
	s_waitcnt vmcnt(2)
	v_mul_f64 v[111:112], v[68:69], v[26:27]
	s_waitcnt vmcnt(1)
	;; [unrolled: 2-line block ×3, first 2 shown]
	v_mul_f64 v[115:116], v[72:73], v[26:27]
	ds_read_b128 v[26:29], v78 offset:384
	ds_read_b128 v[30:33], v78 offset:400
	ds_write2_b64 v80, v[109:110], v[111:112] offset1:67
	ds_write2_b64 v80, v[113:114], v[115:116] offset0:134 offset1:201
	s_waitcnt lgkmcnt(0)
	s_barrier
	buffer_gl0_inv
	ds_read2_b64 v[109:112], v81 offset1:1
	v_add_f64 v[113:114], v[85:86], v[87:88]
	ds_read2_b64 v[85:88], v81 offset0:2 offset1:3
	s_waitcnt lgkmcnt(0)
	s_barrier
	buffer_gl0_inv
	v_add_f64 v[109:110], v[109:110], 0
	v_add_f64 v[89:90], v[113:114], v[89:90]
	;; [unrolled: 1-line block ×8, first 2 shown]
	ds_write2_b64 v84, v[89:90], v[91:92] offset1:16
	ds_write2_b64 v84, v[93:94], v[85:86] offset0:32 offset1:48
	s_waitcnt lgkmcnt(0)
	s_barrier
	buffer_gl0_inv
	s_and_saveexec_b32 s43, s2
	s_cbranch_execz .LBB172_74
; %bb.78:                               ;   in Loop: Header=BB172_75 Depth=1
	ds_read2_b64 v[85:88], v82 offset1:1
	ds_read2_b64 v[89:92], v82 offset0:2 offset1:3
	v_add_nc_u32_e32 v38, s42, v0
	s_waitcnt lgkmcnt(1)
	v_add_f64 v[85:86], v[85:86], v[87:88]
	s_waitcnt lgkmcnt(0)
	v_add_f64 v[85:86], v[85:86], v[89:90]
	v_add_f64 v[93:94], v[85:86], v[91:92]
	ds_read2_b64 v[85:88], v82 offset0:4 offset1:5
	ds_read2_b64 v[89:92], v82 offset0:6 offset1:7
	s_waitcnt lgkmcnt(1)
	v_add_f64 v[85:86], v[93:94], v[85:86]
	v_add_f64 v[85:86], v[85:86], v[87:88]
	s_waitcnt lgkmcnt(0)
	v_add_f64 v[85:86], v[85:86], v[89:90]
	v_add_f64 v[93:94], v[85:86], v[91:92]
	ds_read2_b64 v[85:88], v82 offset0:8 offset1:9
	ds_read2_b64 v[89:92], v82 offset0:10 offset1:11
	s_waitcnt lgkmcnt(1)
	v_add_f64 v[85:86], v[93:94], v[85:86]
	v_add_f64 v[85:86], v[85:86], v[87:88]
	s_waitcnt lgkmcnt(0)
	v_add_f64 v[85:86], v[85:86], v[89:90]
	v_add_f64 v[89:90], v[85:86], v[91:92]
	ds_read2_b64 v[85:88], v82 offset0:12 offset1:13
	ds_read_b64 v[91:92], v82 offset:112
	s_waitcnt lgkmcnt(1)
	v_add_f64 v[85:86], v[89:90], v[85:86]
	v_add_f64 v[85:86], v[85:86], v[87:88]
	ds_read_b64 v[87:88], v83
	s_waitcnt lgkmcnt(1)
	v_add_f64 v[85:86], v[85:86], v[91:92]
	s_waitcnt lgkmcnt(0)
	v_add_f64 v[85:86], v[85:86], v[87:88]
	v_lshlrev_b64 v[87:88], 3, v[38:39]
	v_add_co_u32 v87, s3, s7, v87
	v_add_co_ci_u32_e64 v88, null, s24, v88, s3
	global_store_dwordx2 v[87:88], v[85:86], off
	s_branch .LBB172_74
.LBB172_79:
	v_mad_u32_u24 v0, 0x218, v1, v74
	s_nor_b32 s0, s0, vcc_lo
	ds_write_b64 v0, v[36:37]
	s_waitcnt lgkmcnt(0)
	s_barrier
	buffer_gl0_inv
	s_and_saveexec_b32 s1, s0
	s_cbranch_execz .LBB172_4
; %bb.80:
	ds_read2_b64 v[0:3], v74 offset1:67
	s_waitcnt lgkmcnt(0)
	v_add_f64 v[4:5], v[0:1], v[2:3]
	ds_read2_b64 v[0:3], v74 offset0:134 offset1:201
	s_waitcnt lgkmcnt(0)
	v_add_f64 v[0:1], v[4:5], v[0:1]
	v_add_f64 v[0:1], v[0:1], v[2:3]
	v_lshlrev_b64 v[2:3], 3, v[34:35]
	v_add_co_u32 v2, vcc_lo, s7, v2
	v_add_co_ci_u32_e64 v3, null, s24, v3, vcc_lo
	global_store_dwordx2 v[2:3], v[0:1], off
	s_endpgm
	.section	.rodata,"a",@progbits
	.p2align	6, 0x0
	.amdhsa_kernel _ZL26rocblas_hemvn_kernel_lowerILb0ELi64ELi4ELi33ELi32ELi16ElPKdPKS1_PdEviT6_lT7_lT5_lS6_lS7_lS5_lT8_i
		.amdhsa_group_segment_fixed_size 9600
		.amdhsa_private_segment_fixed_size 0
		.amdhsa_kernarg_size 376
		.amdhsa_user_sgpr_count 6
		.amdhsa_user_sgpr_private_segment_buffer 1
		.amdhsa_user_sgpr_dispatch_ptr 0
		.amdhsa_user_sgpr_queue_ptr 0
		.amdhsa_user_sgpr_kernarg_segment_ptr 1
		.amdhsa_user_sgpr_dispatch_id 0
		.amdhsa_user_sgpr_flat_scratch_init 0
		.amdhsa_user_sgpr_private_segment_size 0
		.amdhsa_wavefront_size32 1
		.amdhsa_uses_dynamic_stack 0
		.amdhsa_system_sgpr_private_segment_wavefront_offset 0
		.amdhsa_system_sgpr_workgroup_id_x 1
		.amdhsa_system_sgpr_workgroup_id_y 0
		.amdhsa_system_sgpr_workgroup_id_z 1
		.amdhsa_system_sgpr_workgroup_info 0
		.amdhsa_system_vgpr_workitem_id 1
		.amdhsa_next_free_vgpr 117
		.amdhsa_next_free_sgpr 46
		.amdhsa_reserve_vcc 1
		.amdhsa_reserve_flat_scratch 1
		.amdhsa_float_round_mode_32 0
		.amdhsa_float_round_mode_16_64 0
		.amdhsa_float_denorm_mode_32 3
		.amdhsa_float_denorm_mode_16_64 3
		.amdhsa_dx10_clamp 1
		.amdhsa_ieee_mode 1
		.amdhsa_fp16_overflow 0
		.amdhsa_workgroup_processor_mode 1
		.amdhsa_memory_ordered 1
		.amdhsa_forward_progress 1
		.amdhsa_shared_vgpr_count 0
		.amdhsa_exception_fp_ieee_invalid_op 0
		.amdhsa_exception_fp_denorm_src 0
		.amdhsa_exception_fp_ieee_div_zero 0
		.amdhsa_exception_fp_ieee_overflow 0
		.amdhsa_exception_fp_ieee_underflow 0
		.amdhsa_exception_fp_ieee_inexact 0
		.amdhsa_exception_int_div_zero 0
	.end_amdhsa_kernel
	.section	.text._ZL26rocblas_hemvn_kernel_lowerILb0ELi64ELi4ELi33ELi32ELi16ElPKdPKS1_PdEviT6_lT7_lT5_lS6_lS7_lS5_lT8_i,"axG",@progbits,_ZL26rocblas_hemvn_kernel_lowerILb0ELi64ELi4ELi33ELi32ELi16ElPKdPKS1_PdEviT6_lT7_lT5_lS6_lS7_lS5_lT8_i,comdat
.Lfunc_end172:
	.size	_ZL26rocblas_hemvn_kernel_lowerILb0ELi64ELi4ELi33ELi32ELi16ElPKdPKS1_PdEviT6_lT7_lT5_lS6_lS7_lS5_lT8_i, .Lfunc_end172-_ZL26rocblas_hemvn_kernel_lowerILb0ELi64ELi4ELi33ELi32ELi16ElPKdPKS1_PdEviT6_lT7_lT5_lS6_lS7_lS5_lT8_i
                                        ; -- End function
	.set _ZL26rocblas_hemvn_kernel_lowerILb0ELi64ELi4ELi33ELi32ELi16ElPKdPKS1_PdEviT6_lT7_lT5_lS6_lS7_lS5_lT8_i.num_vgpr, 117
	.set _ZL26rocblas_hemvn_kernel_lowerILb0ELi64ELi4ELi33ELi32ELi16ElPKdPKS1_PdEviT6_lT7_lT5_lS6_lS7_lS5_lT8_i.num_agpr, 0
	.set _ZL26rocblas_hemvn_kernel_lowerILb0ELi64ELi4ELi33ELi32ELi16ElPKdPKS1_PdEviT6_lT7_lT5_lS6_lS7_lS5_lT8_i.numbered_sgpr, 46
	.set _ZL26rocblas_hemvn_kernel_lowerILb0ELi64ELi4ELi33ELi32ELi16ElPKdPKS1_PdEviT6_lT7_lT5_lS6_lS7_lS5_lT8_i.num_named_barrier, 0
	.set _ZL26rocblas_hemvn_kernel_lowerILb0ELi64ELi4ELi33ELi32ELi16ElPKdPKS1_PdEviT6_lT7_lT5_lS6_lS7_lS5_lT8_i.private_seg_size, 0
	.set _ZL26rocblas_hemvn_kernel_lowerILb0ELi64ELi4ELi33ELi32ELi16ElPKdPKS1_PdEviT6_lT7_lT5_lS6_lS7_lS5_lT8_i.uses_vcc, 1
	.set _ZL26rocblas_hemvn_kernel_lowerILb0ELi64ELi4ELi33ELi32ELi16ElPKdPKS1_PdEviT6_lT7_lT5_lS6_lS7_lS5_lT8_i.uses_flat_scratch, 1
	.set _ZL26rocblas_hemvn_kernel_lowerILb0ELi64ELi4ELi33ELi32ELi16ElPKdPKS1_PdEviT6_lT7_lT5_lS6_lS7_lS5_lT8_i.has_dyn_sized_stack, 0
	.set _ZL26rocblas_hemvn_kernel_lowerILb0ELi64ELi4ELi33ELi32ELi16ElPKdPKS1_PdEviT6_lT7_lT5_lS6_lS7_lS5_lT8_i.has_recursion, 0
	.set _ZL26rocblas_hemvn_kernel_lowerILb0ELi64ELi4ELi33ELi32ELi16ElPKdPKS1_PdEviT6_lT7_lT5_lS6_lS7_lS5_lT8_i.has_indirect_call, 0
	.section	.AMDGPU.csdata,"",@progbits
; Kernel info:
; codeLenInByte = 6836
; TotalNumSgprs: 48
; NumVgprs: 117
; ScratchSize: 0
; MemoryBound: 0
; FloatMode: 240
; IeeeMode: 1
; LDSByteSize: 9600 bytes/workgroup (compile time only)
; SGPRBlocks: 0
; VGPRBlocks: 14
; NumSGPRsForWavesPerEU: 48
; NumVGPRsForWavesPerEU: 117
; Occupancy: 8
; WaveLimiterHint : 1
; COMPUTE_PGM_RSRC2:SCRATCH_EN: 0
; COMPUTE_PGM_RSRC2:USER_SGPR: 6
; COMPUTE_PGM_RSRC2:TRAP_HANDLER: 0
; COMPUTE_PGM_RSRC2:TGID_X_EN: 1
; COMPUTE_PGM_RSRC2:TGID_Y_EN: 0
; COMPUTE_PGM_RSRC2:TGID_Z_EN: 1
; COMPUTE_PGM_RSRC2:TIDIG_COMP_CNT: 1
	.section	.text._ZL36rocblas_hemvn_kernel_lower_block_sumILi64ElPKdPKPddEviT1_lS5_lT2_lT0_lPT3_i,"axG",@progbits,_ZL36rocblas_hemvn_kernel_lower_block_sumILi64ElPKdPKPddEviT1_lS5_lT2_lT0_lPT3_i,comdat
	.globl	_ZL36rocblas_hemvn_kernel_lower_block_sumILi64ElPKdPKPddEviT1_lS5_lT2_lT0_lPT3_i ; -- Begin function _ZL36rocblas_hemvn_kernel_lower_block_sumILi64ElPKdPKPddEviT1_lS5_lT2_lT0_lPT3_i
	.p2align	8
	.type	_ZL36rocblas_hemvn_kernel_lower_block_sumILi64ElPKdPKPddEviT1_lS5_lT2_lT0_lPT3_i,@function
_ZL36rocblas_hemvn_kernel_lower_block_sumILi64ElPKdPKPddEviT1_lS5_lT2_lT0_lPT3_i: ; @_ZL36rocblas_hemvn_kernel_lower_block_sumILi64ElPKdPKPddEviT1_lS5_lT2_lT0_lPT3_i
; %bb.0:
	s_load_dwordx8 s[12:19], s[4:5], 0x8
	s_waitcnt lgkmcnt(0)
	s_mul_i32 s1, s15, s7
	s_mul_hi_u32 s2, s14, s7
	s_mul_i32 s0, s14, s7
	s_add_i32 s1, s2, s1
	s_mul_i32 s2, s19, s7
	s_lshl_b64 s[0:1], s[0:1], 3
	s_mul_hi_u32 s3, s18, s7
	s_add_u32 s0, s12, s0
	s_addc_u32 s1, s13, s1
	s_add_i32 s3, s3, s2
	s_mul_i32 s2, s18, s7
	s_lshl_b64 s[2:3], s[2:3], 3
	s_add_u32 s2, s16, s2
	s_addc_u32 s3, s17, s3
	s_load_dwordx2 s[10:11], s[0:1], 0x0
	s_load_dwordx2 s[12:13], s[2:3], 0x0
	s_waitcnt lgkmcnt(0)
	v_cmp_eq_f64_e64 s0, s[10:11], 0
	v_cmp_eq_f64_e64 s1, s[12:13], 1.0
	s_and_b32 s0, s0, s1
	s_and_b32 vcc_lo, exec_lo, s0
	s_cbranch_vccnz .LBB173_19
; %bb.1:
	s_clause 0x1
	s_load_dwordx2 s[16:17], s[4:5], 0x28
	s_load_dword s14, s[4:5], 0x0
	s_mov_b32 s8, s7
	s_mov_b32 s9, 0
	s_load_dwordx4 s[0:3], s[4:5], 0x30
	s_lshl_b64 s[18:19], s[8:9], 3
	v_cmp_neq_f64_e64 s15, s[10:11], 0
	v_lshl_or_b32 v0, s6, 6, v0
	s_waitcnt lgkmcnt(0)
	s_add_u32 s16, s16, s18
	s_addc_u32 s17, s17, s19
	s_load_dwordx2 s[16:17], s[16:17], 0x0
	s_lshl_b64 s[0:1], s[0:1], 3
	s_waitcnt lgkmcnt(0)
	s_add_u32 s7, s16, s0
	v_cmp_gt_i32_e64 s0, s14, v0
	s_addc_u32 s16, s17, s1
	s_and_b32 vcc_lo, exec_lo, s15
	s_cbranch_vccnz .LBB173_6
; %bb.2:
	s_mov_b32 s1, 0
                                        ; implicit-def: $vgpr3_vgpr4
                                        ; implicit-def: $vgpr1_vgpr2
	s_and_saveexec_b32 s15, s0
	s_cbranch_execz .LBB173_7
; %bb.3:
	v_cmp_eq_f64_e64 s0, s[12:13], 0
	v_ashrrev_i32_e32 v1, 31, v0
	v_mul_lo_u32 v5, s3, v0
	v_mov_b32_e32 v3, 0
	v_mov_b32_e32 v4, 0
	v_mul_lo_u32 v6, s2, v1
	v_mad_u64_u32 v[1:2], null, s2, v0, 0
	v_add3_u32 v2, v2, v6, v5
	s_and_b32 vcc_lo, exec_lo, s0
	s_cbranch_vccnz .LBB173_5
; %bb.4:
	v_lshlrev_b64 v[3:4], 3, v[1:2]
	v_add_co_u32 v3, vcc_lo, s7, v3
	v_add_co_ci_u32_e64 v4, null, s16, v4, vcc_lo
	flat_load_dwordx2 v[3:4], v[3:4]
	s_waitcnt vmcnt(0) lgkmcnt(0)
	v_mul_f64 v[3:4], s[12:13], v[3:4]
.LBB173_5:
	s_mov_b32 s9, exec_lo
	s_or_b32 exec_lo, exec_lo, s15
	s_and_b32 vcc_lo, exec_lo, s1
	s_cbranch_vccnz .LBB173_8
	s_branch .LBB173_17
.LBB173_6:
                                        ; implicit-def: $vgpr3_vgpr4
                                        ; implicit-def: $vgpr1_vgpr2
	s_cbranch_execnz .LBB173_8
	s_branch .LBB173_17
.LBB173_7:
	s_or_b32 exec_lo, exec_lo, s15
	s_and_b32 vcc_lo, exec_lo, s1
	s_cbranch_vccz .LBB173_17
.LBB173_8:
	s_mov_b32 s17, exec_lo
                                        ; implicit-def: $vgpr3_vgpr4
                                        ; implicit-def: $vgpr1_vgpr2
	v_cmpx_gt_i32_e64 s14, v0
	s_cbranch_execz .LBB173_16
; %bb.9:
	s_load_dword s18, s[4:5], 0x58
	v_mov_b32_e32 v5, 0
	v_mov_b32_e32 v6, 0
	s_waitcnt lgkmcnt(0)
	s_cmp_ge_i32 s6, s18
	s_cbranch_scc1 .LBB173_12
; %bb.10:
	s_load_dwordx2 s[0:1], s[4:5], 0x48
	v_mad_u64_u32 v[1:2], null, s14, s6, v[0:1]
	s_ashr_i32 s15, s14, 31
	s_mul_hi_u32 s4, s14, s8
	s_mul_i32 s5, s15, s8
	s_mul_i32 s8, s14, s8
	s_add_i32 s4, s4, s5
	s_mul_hi_u32 s5, s8, s18
	v_ashrrev_i32_e32 v2, 31, v1
	s_mul_i32 s19, s4, s18
	s_mul_i32 s4, s8, s18
	s_add_i32 s5, s5, s19
	v_mov_b32_e32 v5, 0
	v_lshlrev_b64 v[1:2], 3, v[1:2]
	s_lshl_b64 s[4:5], s[4:5], 3
	v_mov_b32_e32 v6, 0
	s_waitcnt lgkmcnt(0)
	s_add_u32 s0, s0, s4
	s_addc_u32 s1, s1, s5
	v_add_co_u32 v1, vcc_lo, s0, v1
	v_add_co_ci_u32_e64 v2, null, s1, v2, vcc_lo
	s_lshl_b64 s[0:1], s[14:15], 3
.LBB173_11:                             ; =>This Inner Loop Header: Depth=1
	global_load_dwordx2 v[3:4], v[1:2], off
	v_add_co_u32 v1, vcc_lo, v1, s0
	v_add_co_ci_u32_e64 v2, null, s1, v2, vcc_lo
	s_add_i32 s6, s6, 1
	s_cmp_ge_i32 s6, s18
	s_waitcnt vmcnt(0)
	v_add_f64 v[5:6], v[5:6], v[3:4]
	s_cbranch_scc0 .LBB173_11
.LBB173_12:
	v_cmp_eq_f64_e64 s0, s[12:13], 0
	v_ashrrev_i32_e32 v1, 31, v0
	v_mul_lo_u32 v7, s3, v0
	v_mul_lo_u32 v8, s2, v1
	s_and_b32 vcc_lo, exec_lo, s0
	s_cbranch_vccz .LBB173_20
; %bb.13:
	v_mad_u64_u32 v[1:2], null, s2, v0, 0
	v_mul_f64 v[3:4], s[10:11], v[5:6]
	v_add3_u32 v2, v2, v8, v7
	s_cbranch_execnz .LBB173_15
.LBB173_14:
	v_mad_u64_u32 v[1:2], null, s2, v0, 0
	v_add3_u32 v2, v2, v8, v7
	v_lshlrev_b64 v[3:4], 3, v[1:2]
	v_add_co_u32 v3, vcc_lo, s7, v3
	v_add_co_ci_u32_e64 v4, null, s16, v4, vcc_lo
	flat_load_dwordx2 v[3:4], v[3:4]
	s_waitcnt vmcnt(0) lgkmcnt(0)
	v_mul_f64 v[3:4], s[12:13], v[3:4]
	v_fma_f64 v[3:4], s[10:11], v[5:6], v[3:4]
.LBB173_15:
	s_or_b32 s9, s9, exec_lo
.LBB173_16:
	s_or_b32 exec_lo, exec_lo, s17
.LBB173_17:
	s_and_saveexec_b32 s0, s9
	s_cbranch_execz .LBB173_19
; %bb.18:
	v_lshlrev_b64 v[0:1], 3, v[1:2]
	v_add_co_u32 v0, vcc_lo, s7, v0
	v_add_co_ci_u32_e64 v1, null, s16, v1, vcc_lo
	flat_store_dwordx2 v[0:1], v[3:4]
.LBB173_19:
	s_endpgm
.LBB173_20:
                                        ; implicit-def: $vgpr3_vgpr4
                                        ; implicit-def: $vgpr1_vgpr2
	s_branch .LBB173_14
	.section	.rodata,"a",@progbits
	.p2align	6, 0x0
	.amdhsa_kernel _ZL36rocblas_hemvn_kernel_lower_block_sumILi64ElPKdPKPddEviT1_lS5_lT2_lT0_lPT3_i
		.amdhsa_group_segment_fixed_size 0
		.amdhsa_private_segment_fixed_size 0
		.amdhsa_kernarg_size 344
		.amdhsa_user_sgpr_count 6
		.amdhsa_user_sgpr_private_segment_buffer 1
		.amdhsa_user_sgpr_dispatch_ptr 0
		.amdhsa_user_sgpr_queue_ptr 0
		.amdhsa_user_sgpr_kernarg_segment_ptr 1
		.amdhsa_user_sgpr_dispatch_id 0
		.amdhsa_user_sgpr_flat_scratch_init 0
		.amdhsa_user_sgpr_private_segment_size 0
		.amdhsa_wavefront_size32 1
		.amdhsa_uses_dynamic_stack 0
		.amdhsa_system_sgpr_private_segment_wavefront_offset 0
		.amdhsa_system_sgpr_workgroup_id_x 1
		.amdhsa_system_sgpr_workgroup_id_y 0
		.amdhsa_system_sgpr_workgroup_id_z 1
		.amdhsa_system_sgpr_workgroup_info 0
		.amdhsa_system_vgpr_workitem_id 0
		.amdhsa_next_free_vgpr 9
		.amdhsa_next_free_sgpr 20
		.amdhsa_reserve_vcc 1
		.amdhsa_reserve_flat_scratch 0
		.amdhsa_float_round_mode_32 0
		.amdhsa_float_round_mode_16_64 0
		.amdhsa_float_denorm_mode_32 3
		.amdhsa_float_denorm_mode_16_64 3
		.amdhsa_dx10_clamp 1
		.amdhsa_ieee_mode 1
		.amdhsa_fp16_overflow 0
		.amdhsa_workgroup_processor_mode 1
		.amdhsa_memory_ordered 1
		.amdhsa_forward_progress 1
		.amdhsa_shared_vgpr_count 0
		.amdhsa_exception_fp_ieee_invalid_op 0
		.amdhsa_exception_fp_denorm_src 0
		.amdhsa_exception_fp_ieee_div_zero 0
		.amdhsa_exception_fp_ieee_overflow 0
		.amdhsa_exception_fp_ieee_underflow 0
		.amdhsa_exception_fp_ieee_inexact 0
		.amdhsa_exception_int_div_zero 0
	.end_amdhsa_kernel
	.section	.text._ZL36rocblas_hemvn_kernel_lower_block_sumILi64ElPKdPKPddEviT1_lS5_lT2_lT0_lPT3_i,"axG",@progbits,_ZL36rocblas_hemvn_kernel_lower_block_sumILi64ElPKdPKPddEviT1_lS5_lT2_lT0_lPT3_i,comdat
.Lfunc_end173:
	.size	_ZL36rocblas_hemvn_kernel_lower_block_sumILi64ElPKdPKPddEviT1_lS5_lT2_lT0_lPT3_i, .Lfunc_end173-_ZL36rocblas_hemvn_kernel_lower_block_sumILi64ElPKdPKPddEviT1_lS5_lT2_lT0_lPT3_i
                                        ; -- End function
	.set _ZL36rocblas_hemvn_kernel_lower_block_sumILi64ElPKdPKPddEviT1_lS5_lT2_lT0_lPT3_i.num_vgpr, 9
	.set _ZL36rocblas_hemvn_kernel_lower_block_sumILi64ElPKdPKPddEviT1_lS5_lT2_lT0_lPT3_i.num_agpr, 0
	.set _ZL36rocblas_hemvn_kernel_lower_block_sumILi64ElPKdPKPddEviT1_lS5_lT2_lT0_lPT3_i.numbered_sgpr, 20
	.set _ZL36rocblas_hemvn_kernel_lower_block_sumILi64ElPKdPKPddEviT1_lS5_lT2_lT0_lPT3_i.num_named_barrier, 0
	.set _ZL36rocblas_hemvn_kernel_lower_block_sumILi64ElPKdPKPddEviT1_lS5_lT2_lT0_lPT3_i.private_seg_size, 0
	.set _ZL36rocblas_hemvn_kernel_lower_block_sumILi64ElPKdPKPddEviT1_lS5_lT2_lT0_lPT3_i.uses_vcc, 1
	.set _ZL36rocblas_hemvn_kernel_lower_block_sumILi64ElPKdPKPddEviT1_lS5_lT2_lT0_lPT3_i.uses_flat_scratch, 0
	.set _ZL36rocblas_hemvn_kernel_lower_block_sumILi64ElPKdPKPddEviT1_lS5_lT2_lT0_lPT3_i.has_dyn_sized_stack, 0
	.set _ZL36rocblas_hemvn_kernel_lower_block_sumILi64ElPKdPKPddEviT1_lS5_lT2_lT0_lPT3_i.has_recursion, 0
	.set _ZL36rocblas_hemvn_kernel_lower_block_sumILi64ElPKdPKPddEviT1_lS5_lT2_lT0_lPT3_i.has_indirect_call, 0
	.section	.AMDGPU.csdata,"",@progbits
; Kernel info:
; codeLenInByte = 768
; TotalNumSgprs: 22
; NumVgprs: 9
; ScratchSize: 0
; MemoryBound: 0
; FloatMode: 240
; IeeeMode: 1
; LDSByteSize: 0 bytes/workgroup (compile time only)
; SGPRBlocks: 0
; VGPRBlocks: 1
; NumSGPRsForWavesPerEU: 22
; NumVGPRsForWavesPerEU: 9
; Occupancy: 16
; WaveLimiterHint : 1
; COMPUTE_PGM_RSRC2:SCRATCH_EN: 0
; COMPUTE_PGM_RSRC2:USER_SGPR: 6
; COMPUTE_PGM_RSRC2:TRAP_HANDLER: 0
; COMPUTE_PGM_RSRC2:TGID_X_EN: 1
; COMPUTE_PGM_RSRC2:TGID_Y_EN: 0
; COMPUTE_PGM_RSRC2:TGID_Z_EN: 1
; COMPUTE_PGM_RSRC2:TIDIG_COMP_CNT: 0
	.section	.text._ZL26rocblas_hemvn_kernel_lowerILb0ELi64ELi4ELi33ELi32ELi16EiPKdPKS1_PdEviT6_lT7_lT5_lS6_lS7_lS5_lT8_i,"axG",@progbits,_ZL26rocblas_hemvn_kernel_lowerILb0ELi64ELi4ELi33ELi32ELi16EiPKdPKS1_PdEviT6_lT7_lT5_lS6_lS7_lS5_lT8_i,comdat
	.globl	_ZL26rocblas_hemvn_kernel_lowerILb0ELi64ELi4ELi33ELi32ELi16EiPKdPKS1_PdEviT6_lT7_lT5_lS6_lS7_lS5_lT8_i ; -- Begin function _ZL26rocblas_hemvn_kernel_lowerILb0ELi64ELi4ELi33ELi32ELi16EiPKdPKS1_PdEviT6_lT7_lT5_lS6_lS7_lS5_lT8_i
	.p2align	8
	.type	_ZL26rocblas_hemvn_kernel_lowerILb0ELi64ELi4ELi33ELi32ELi16EiPKdPKS1_PdEviT6_lT7_lT5_lS6_lS7_lS5_lT8_i,@function
_ZL26rocblas_hemvn_kernel_lowerILb0ELi64ELi4ELi33ELi32ELi16EiPKdPKS1_PdEviT6_lT7_lT5_lS6_lS7_lS5_lT8_i: ; @_ZL26rocblas_hemvn_kernel_lowerILb0ELi64ELi4ELi33ELi32ELi16EiPKdPKS1_PdEviT6_lT7_lT5_lS6_lS7_lS5_lT8_i
; %bb.0:
	s_load_dwordx2 s[2:3], s[4:5], 0x84
	s_add_u32 s0, s4, 0x78
	s_mov_b32 s16, s7
	s_addc_u32 s1, s5, 0
	s_waitcnt lgkmcnt(0)
	s_lshr_b32 s7, s2, 16
	s_and_b32 s2, s2, 0xffff
	s_and_b32 s3, s3, 0xffff
	s_mul_i32 s2, s7, s2
	s_mul_i32 s2, s2, s3
	s_cmpk_lg_i32 s2, 0x100
	s_cbranch_scc1 .LBB174_4
; %bb.1:
	s_clause 0x1
	s_load_dwordx8 s[8:15], s[4:5], 0x8
	s_load_dwordx4 s[20:23], s[4:5], 0x58
	s_waitcnt lgkmcnt(0)
	s_mul_i32 s3, s11, s16
	s_mul_hi_u32 s7, s10, s16
	s_mul_i32 s2, s10, s16
	s_add_i32 s3, s7, s3
	s_mul_i32 s7, s23, s16
	s_lshl_b64 s[2:3], s[2:3], 3
	s_mul_hi_u32 s10, s22, s16
	s_add_u32 s2, s8, s2
	s_addc_u32 s3, s9, s3
	s_add_i32 s9, s10, s7
	s_mul_i32 s8, s22, s16
	s_lshl_b64 s[8:9], s[8:9], 3
	s_add_u32 s8, s20, s8
	s_addc_u32 s9, s21, s9
	s_load_dwordx2 s[2:3], s[2:3], 0x0
	s_load_dwordx2 s[8:9], s[8:9], 0x0
	s_waitcnt lgkmcnt(0)
	v_cmp_eq_f64_e64 s2, s[2:3], 0
	v_cmp_eq_f64_e64 s3, s[8:9], 1.0
	s_and_b32 s3, s2, s3
	s_and_b32 vcc_lo, exec_lo, s3
	s_cbranch_vccnz .LBB174_4
; %bb.2:
	v_mov_b32_e32 v2, v1
	s_and_b32 vcc_lo, exec_lo, s2
	s_cbranch_vccz .LBB174_5
; %bb.3:
	s_cbranch_execz .LBB174_6
.LBB174_4:
	s_endpgm
.LBB174_5:
.LBB174_6:
	s_load_dwordx4 s[8:11], s[4:5], 0x38
	s_mov_b32 s17, 0
	s_lshl_b64 s[2:3], s[16:17], 3
	s_load_dword s17, s[4:5], 0x48
	s_add_u32 s18, s12, s2
	s_addc_u32 s19, s13, s3
	s_waitcnt lgkmcnt(0)
	s_add_u32 s2, s8, s2
	s_addc_u32 s3, s9, s3
	s_lshl_b64 s[8:9], s[10:11], 3
	s_load_dwordx2 s[2:3], s[2:3], 0x0
	s_load_dword s26, s[4:5], 0x0
	s_load_dword s27, s[0:1], 0x0
	s_waitcnt lgkmcnt(0)
	s_add_u32 s7, s2, s8
	s_addc_u32 s8, s3, s9
	s_lshl_b32 s12, s6, 6
	s_load_dwordx2 s[20:21], s[4:5], 0x68
	s_load_dwordx2 s[2:3], s[18:19], 0x0
	v_add_nc_u32_e32 v35, s12, v0
	s_ashr_i32 s28, s26, 31
	s_add_i32 s9, s27, -1
	s_lshr_b32 s0, s28, 26
	v_mul_lo_u32 v3, s17, v35
	s_add_i32 s1, s26, s0
	v_cmp_ne_u32_e64 s0, 0, v2
	s_andn2_b32 s1, s1, 63
	s_sub_i32 s10, s26, s1
	v_cmp_eq_u32_e64 s1, 0, v2
	s_cmp_eq_u32 s6, s9
	v_ashrrev_i32_e32 v4, 31, v3
	s_cselect_b32 s18, s10, 0
	v_lshlrev_b64 v[3:4], 3, v[3:4]
	v_add_co_u32 v19, vcc_lo, s7, v3
	v_add_co_ci_u32_e64 v20, null, s8, v4, vcc_lo
	s_and_saveexec_b32 s7, s1
	s_cbranch_execz .LBB174_10
; %bb.7:
	v_cmp_gt_i32_e32 vcc_lo, s18, v0
	s_cmp_eq_u32 s18, 0
	v_mov_b32_e32 v3, 0
	v_mov_b32_e32 v4, 0
	s_cselect_b32 s8, -1, 0
	s_or_b32 s9, s8, vcc_lo
	s_and_saveexec_b32 s8, s9
	s_cbranch_execz .LBB174_9
; %bb.8:
	flat_load_dwordx2 v[3:4], v[19:20]
.LBB174_9:
	s_or_b32 exec_lo, exec_lo, s8
	v_lshlrev_b32_e32 v1, 3, v0
	s_waitcnt vmcnt(0) lgkmcnt(0)
	ds_write_b64 v1, v[3:4] offset:9088
.LBB174_10:
	s_or_b32 exec_lo, exec_lo, s7
	s_load_dword s10, s[4:5], 0x28
	v_lshl_add_u32 v25, v2, 6, v0
	v_and_b32_e32 v1, 31, v0
	s_lshl_b64 s[4:5], s[14:15], 3
	s_waitcnt lgkmcnt(0)
	s_add_u32 s4, s2, s4
	v_lshrrev_b32_e32 v13, 5, v25
	s_addc_u32 s5, s3, s5
	s_ashr_i32 s13, s12, 31
	s_lshl_b64 s[2:3], s[12:13], 3
	s_add_u32 s4, s4, s2
	s_addc_u32 s5, s5, s3
	v_mad_u64_u32 v[3:4], null, s10, v13, v[1:2]
	s_mul_i32 s2, s10, s12
	s_ashr_i32 s3, s2, 31
	s_lshl_b64 s[14:15], s[2:3], 3
	s_cmp_lg_u32 s18, 0
	v_ashrrev_i32_e32 v4, 31, v3
	s_cselect_b32 s13, -1, 0
	s_cmp_eq_u32 s18, 0
	s_mov_b32 s2, -1
	s_cselect_b32 s8, -1, 0
	v_lshlrev_b64 v[21:22], 3, v[3:4]
	v_add_co_u32 v3, vcc_lo, s4, v21
	v_add_co_ci_u32_e64 v4, null, s5, v22, vcc_lo
	v_add_co_u32 v3, vcc_lo, v3, s14
	v_add_co_ci_u32_e64 v4, null, s15, v4, vcc_lo
	s_and_b32 vcc_lo, exec_lo, s13
	s_cbranch_vccnz .LBB174_12
; %bb.11:
	s_lshl_b32 s2, s10, 3
	s_ashr_i32 s11, s10, 31
	s_ashr_i32 s3, s2, 31
	v_mul_u32_u24_e32 v14, 0x108, v13
	s_lshl_b64 s[2:3], s[2:3], 3
	v_add_co_u32 v5, vcc_lo, v3, s2
	v_add_co_ci_u32_e64 v6, null, s3, v4, vcc_lo
	s_lshl_b64 s[2:3], s[10:11], 6
	v_lshl_add_u32 v14, v1, 3, v14
	v_add_co_u32 v7, vcc_lo, v5, s2
	v_add_co_ci_u32_e64 v8, null, s3, v6, vcc_lo
	v_add_co_u32 v9, vcc_lo, v7, s2
	v_add_co_ci_u32_e64 v10, null, s3, v8, vcc_lo
	s_clause 0x3
	flat_load_dwordx2 v[11:12], v[3:4]
	flat_load_dwordx2 v[5:6], v[5:6]
	;; [unrolled: 1-line block ×4, first 2 shown]
	s_mov_b32 s2, 0
	s_waitcnt vmcnt(3) lgkmcnt(3)
	ds_write_b64 v14, v[11:12]
	s_waitcnt vmcnt(2) lgkmcnt(3)
	ds_write_b64 v14, v[5:6] offset:2112
	s_waitcnt vmcnt(1) lgkmcnt(3)
	ds_write_b64 v14, v[7:8] offset:4224
	;; [unrolled: 2-line block ×3, first 2 shown]
.LBB174_12:
	v_lshlrev_b32_e32 v14, 3, v1
	s_andn2_b32 vcc_lo, exec_lo, s2
	s_cbranch_vccnz .LBB174_22
; %bb.13:
	v_sub_co_u32 v5, vcc_lo, v3, v14
	s_ashr_i32 s19, s18, 31
	v_subrev_co_ci_u32_e64 v6, null, 0, v4, vcc_lo
	s_lshl_b64 s[4:5], s[18:19], 3
	v_mov_b32_e32 v9, 0
	v_add_co_u32 v5, vcc_lo, v5, s4
	v_add_co_ci_u32_e64 v6, null, s5, v6, vcc_lo
	v_mov_b32_e32 v7, 0
	v_add_co_u32 v5, vcc_lo, v5, -8
	v_add_co_ci_u32_e64 v6, null, -1, v6, vcc_lo
	v_cmp_gt_i32_e32 vcc_lo, s18, v1
	v_mov_b32_e32 v10, 0
	v_mov_b32_e32 v8, 0
	s_mov_b32 s3, exec_lo
	v_cndmask_b32_e32 v6, v6, v4, vcc_lo
	v_cndmask_b32_e32 v5, v5, v3, vcc_lo
	v_cmpx_gt_i32_e64 s18, v13
	s_cbranch_execz .LBB174_15
; %bb.14:
	flat_load_dwordx2 v[7:8], v[5:6]
.LBB174_15:
	s_or_b32 exec_lo, exec_lo, s3
	v_add_nc_u32_e32 v12, 8, v13
	v_mul_u32_u24_e32 v11, 0x108, v13
	v_mad_u32_u24 v15, 0x108, v13, v14
	s_mov_b32 s3, exec_lo
	s_waitcnt vmcnt(0) lgkmcnt(0)
	ds_write_b64 v15, v[7:8]
	v_cmpx_gt_i32_e64 s18, v12
	s_cbranch_execz .LBB174_17
; %bb.16:
	s_lshl_b32 s22, s10, 3
	s_ashr_i32 s23, s22, 31
	s_lshl_b64 s[22:23], s[22:23], 3
	v_add_co_u32 v7, s2, v5, s22
	v_add_co_ci_u32_e64 v8, null, s23, v6, s2
	flat_load_dwordx2 v[9:10], v[7:8]
.LBB174_17:
	s_or_b32 exec_lo, exec_lo, s3
	v_add_nc_u32_e32 v15, v11, v14
	v_mov_b32_e32 v7, 0
	v_mov_b32_e32 v11, 0
	v_add_nc_u32_e32 v16, 16, v13
	v_mov_b32_e32 v8, 0
	v_mov_b32_e32 v12, 0
	s_mov_b32 s3, exec_lo
	s_waitcnt vmcnt(0) lgkmcnt(0)
	ds_write_b64 v15, v[9:10] offset:2112
	v_cmpx_gt_i32_e64 s18, v16
	s_cbranch_execz .LBB174_19
; %bb.18:
	s_lshl_b32 s22, s10, 4
	s_ashr_i32 s23, s22, 31
	s_lshl_b64 s[22:23], s[22:23], 3
	v_add_co_u32 v9, s2, v5, s22
	v_add_co_ci_u32_e64 v10, null, s23, v6, s2
	flat_load_dwordx2 v[11:12], v[9:10]
.LBB174_19:
	s_or_b32 exec_lo, exec_lo, s3
	v_add_nc_u32_e32 v9, 24, v13
	s_mov_b32 s3, exec_lo
	s_waitcnt vmcnt(0) lgkmcnt(0)
	ds_write_b64 v15, v[11:12] offset:4224
	v_cmpx_gt_i32_e64 s18, v9
	s_cbranch_execz .LBB174_21
; %bb.20:
	s_mul_i32 s22, s10, 24
	s_ashr_i32 s23, s22, 31
	s_lshl_b64 s[22:23], s[22:23], 3
	v_add_co_u32 v7, s2, v5, s22
	v_add_co_ci_u32_e64 v8, null, s23, v6, s2
	flat_load_dwordx2 v[7:8], v[7:8]
.LBB174_21:
	s_or_b32 exec_lo, exec_lo, s3
	v_add_co_u32 v5, s2, v5, v14
	v_add_co_ci_u32_e64 v6, null, 0, v6, s2
	s_waitcnt vmcnt(0) lgkmcnt(0)
	ds_write_b64 v15, v[7:8] offset:6336
	v_sub_co_u32 v5, s2, v5, s4
	v_subrev_co_ci_u32_e64 v6, null, s5, v6, s2
	v_add_co_u32 v5, s2, v5, 8
	v_add_co_ci_u32_e64 v6, null, 0, v6, s2
	v_cndmask_b32_e32 v3, v5, v3, vcc_lo
	v_cndmask_b32_e32 v4, v6, v4, vcc_lo
.LBB174_22:
	v_lshlrev_b32_e32 v11, 2, v13
	v_lshl_or_b32 v7, v1, 8, v14
	v_mad_u32_u24 v6, 0x420, v13, v14
	s_waitcnt lgkmcnt(0)
	s_barrier
	v_cmp_lt_u32_e64 s3, v11, v1
	buffer_gl0_inv
	s_and_saveexec_b32 s2, s3
	s_cbranch_execz .LBB174_24
; %bb.23:
	ds_read_b64 v[8:9], v6
	v_lshl_add_u32 v5, v11, 3, v7
	s_waitcnt lgkmcnt(0)
	ds_write_b64 v5, v[8:9]
.LBB174_24:
	s_or_b32 exec_lo, exec_lo, s2
	v_or_b32_e32 v12, 1, v11
	v_cmp_lt_u32_e64 s4, v12, v1
	v_mad_u32_u24 v5, 0x108, v12, v14
	s_and_saveexec_b32 s2, s4
	s_cbranch_execz .LBB174_26
; %bb.25:
	ds_read_b64 v[8:9], v5
	v_lshl_add_u32 v10, v11, 3, v7
	s_waitcnt lgkmcnt(0)
	ds_write_b64 v10, v[8:9] offset:8
.LBB174_26:
	s_or_b32 exec_lo, exec_lo, s2
	v_or_b32_e32 v8, 2, v11
	v_cmp_lt_u32_e64 s5, v8, v1
	s_and_saveexec_b32 s2, s5
	s_cbranch_execz .LBB174_28
; %bb.27:
	v_mad_u32_u24 v8, 0x108, v8, v14
	v_lshl_add_u32 v10, v11, 3, v7
	ds_read_b64 v[8:9], v8
	s_waitcnt lgkmcnt(0)
	ds_write_b64 v10, v[8:9] offset:16
.LBB174_28:
	s_or_b32 exec_lo, exec_lo, s2
	v_or_b32_e32 v9, 3, v11
	s_mov_b32 s2, exec_lo
                                        ; implicit-def: $vgpr8
	v_cmp_lt_u32_e64 s7, v9, v1
	v_cmpx_ge_u32_e64 v9, v1
	s_xor_b32 s2, exec_lo, s2
; %bb.29:
	v_mul_u32_u24_e32 v8, 0x108, v9
                                        ; implicit-def: $vgpr7
                                        ; implicit-def: $vgpr9
; %bb.30:
	s_andn2_saveexec_b32 s2, s2
	s_cbranch_execz .LBB174_32
; %bb.31:
	v_mad_u32_u24 v8, 0x108, v9, v14
	v_lshl_add_u32 v7, v11, 3, v7
	ds_read_b64 v[15:16], v8
	v_mul_u32_u24_e32 v8, 0x108, v9
	s_waitcnt lgkmcnt(0)
	ds_write_b64 v7, v[15:16] offset:24
.LBB174_32:
	s_or_b32 exec_lo, exec_lo, s2
	v_lshlrev_b32_e32 v15, 3, v11
	s_waitcnt lgkmcnt(0)
	s_barrier
	buffer_gl0_inv
	ds_read_b64 v[17:18], v6
	ds_read_b128 v[26:29], v15 offset:9088
	v_add_nc_u32_e32 v16, v14, v8
	ds_read_b128 v[6:9], v15 offset:9104
	ds_read_b64 v[23:24], v16
	ds_read2_b64 v[30:33], v5 offset1:33
	v_mov_b32_e32 v36, 0
	v_mov_b32_e32 v37, 0
	v_cmp_gt_u32_e64 s2, 32, v25
	s_waitcnt lgkmcnt(0)
	s_barrier
	buffer_gl0_inv
	v_fma_f64 v[17:18], v[17:18], v[26:27], 0
	v_fma_f64 v[17:18], v[30:31], v[28:29], v[17:18]
	;; [unrolled: 1-line block ×3, first 2 shown]
	v_mul_u32_u24_e32 v7, 33, v1
	v_lshlrev_b32_e32 v26, 3, v7
	v_lshl_add_u32 v27, v13, 3, v26
	v_fma_f64 v[5:6], v[23:24], v[8:9], v[5:6]
	ds_write_b64 v27, v[5:6]
	s_waitcnt lgkmcnt(0)
	s_barrier
	buffer_gl0_inv
	s_and_saveexec_b32 s9, s2
	s_cbranch_execz .LBB174_34
; %bb.33:
	ds_read2_b64 v[5:8], v26 offset1:1
	ds_read2_b64 v[28:31], v26 offset0:2 offset1:3
	s_waitcnt lgkmcnt(1)
	v_add_f64 v[5:6], v[5:6], v[7:8]
	s_waitcnt lgkmcnt(0)
	v_add_f64 v[5:6], v[5:6], v[28:29]
	v_add_f64 v[9:10], v[5:6], v[30:31]
	ds_read2_b64 v[5:8], v26 offset0:4 offset1:5
	ds_read2_b64 v[28:31], v26 offset0:6 offset1:7
	s_waitcnt lgkmcnt(1)
	v_add_f64 v[5:6], v[9:10], v[5:6]
	v_add_f64 v[5:6], v[5:6], v[7:8]
	s_waitcnt lgkmcnt(0)
	v_add_f64 v[5:6], v[5:6], v[28:29]
	v_add_f64 v[36:37], v[5:6], v[30:31]
.LBB174_34:
	s_or_b32 exec_lo, exec_lo, s9
	s_lshl_b32 s22, s10, 5
	v_cndmask_b32_e64 v17, 0, 1, s8
	s_ashr_i32 s23, s22, 31
	s_lshl_b64 s[22:23], s[22:23], 3
	s_barrier
	v_add_co_u32 v3, vcc_lo, v3, s22
	v_add_co_ci_u32_e64 v4, null, s23, v4, vcc_lo
	buffer_gl0_inv
	v_add_co_u32 v18, vcc_lo, 0x100, v3
	v_add_co_ci_u32_e64 v24, null, 0, v4, vcc_lo
	s_andn2_b32 vcc_lo, exec_lo, s8
	s_mov_b32 s8, -1
	s_cbranch_vccnz .LBB174_36
; %bb.35:
	s_lshl_b32 s8, s10, 3
	s_ashr_i32 s11, s10, 31
	s_ashr_i32 s9, s8, 31
	v_mad_u32_u24 v23, 0x108, v13, v14
	s_lshl_b64 s[8:9], s[8:9], 3
	v_add_co_u32 v5, vcc_lo, v3, s8
	v_add_co_ci_u32_e64 v6, null, s9, v4, vcc_lo
	s_lshl_b64 s[8:9], s[10:11], 6
	v_add_co_u32 v7, vcc_lo, v5, s8
	v_add_co_ci_u32_e64 v8, null, s9, v6, vcc_lo
	v_add_co_u32 v9, vcc_lo, v7, s8
	v_add_co_ci_u32_e64 v10, null, s9, v8, vcc_lo
	s_clause 0x3
	flat_load_dwordx2 v[28:29], v[3:4] offset:256
	flat_load_dwordx2 v[5:6], v[5:6] offset:256
	;; [unrolled: 1-line block ×4, first 2 shown]
	s_mov_b32 s8, 0
	s_waitcnt vmcnt(3) lgkmcnt(3)
	ds_write_b64 v23, v[28:29]
	s_waitcnt vmcnt(2) lgkmcnt(3)
	ds_write_b64 v23, v[5:6] offset:2112
	s_waitcnt vmcnt(1) lgkmcnt(3)
	ds_write_b64 v23, v[7:8] offset:4224
	;; [unrolled: 2-line block ×3, first 2 shown]
.LBB174_36:
	s_andn2_b32 vcc_lo, exec_lo, s8
	s_cbranch_vccnz .LBB174_46
; %bb.37:
	v_sub_co_u32 v3, vcc_lo, v3, v14
	s_ashr_i32 s19, s18, 31
	v_subrev_co_ci_u32_e64 v4, null, 0, v4, vcc_lo
	s_lshl_b64 s[24:25], s[18:19], 3
	v_or_b32_e32 v5, 32, v1
	v_add_co_u32 v3, vcc_lo, v3, s24
	v_add_co_ci_u32_e64 v4, null, s25, v4, vcc_lo
	v_mov_b32_e32 v7, 0
	v_add_co_u32 v3, vcc_lo, v3, -8
	v_add_co_ci_u32_e64 v4, null, -1, v4, vcc_lo
	v_cmp_gt_i32_e32 vcc_lo, s18, v5
	v_mov_b32_e32 v5, 0
	v_mov_b32_e32 v8, 0
	;; [unrolled: 1-line block ×3, first 2 shown]
	s_sub_i32 s9, s18, 32
	v_cndmask_b32_e32 v4, v4, v24, vcc_lo
	v_cndmask_b32_e32 v3, v3, v18, vcc_lo
	s_mov_b32 s11, exec_lo
	v_cmpx_gt_i32_e64 s9, v13
	s_cbranch_execz .LBB174_39
; %bb.38:
	flat_load_dwordx2 v[5:6], v[3:4]
.LBB174_39:
	s_or_b32 exec_lo, exec_lo, s11
	v_add_nc_u32_e32 v10, 8, v13
	v_mul_u32_u24_e32 v9, 0x108, v13
	v_mad_u32_u24 v23, 0x108, v13, v14
	s_mov_b32 s11, exec_lo
	s_waitcnt vmcnt(0) lgkmcnt(0)
	ds_write_b64 v23, v[5:6]
	v_cmpx_gt_i32_e64 s9, v10
	s_cbranch_execz .LBB174_41
; %bb.40:
	s_lshl_b32 s30, s10, 3
	s_ashr_i32 s31, s30, 31
	s_lshl_b64 s[30:31], s[30:31], 3
	v_add_co_u32 v5, s8, v3, s30
	v_add_co_ci_u32_e64 v6, null, s31, v4, s8
	flat_load_dwordx2 v[7:8], v[5:6]
.LBB174_41:
	s_or_b32 exec_lo, exec_lo, s11
	v_add_nc_u32_e32 v23, v9, v14
	v_mov_b32_e32 v5, 0
	v_mov_b32_e32 v9, 0
	v_add_nc_u32_e32 v28, 16, v13
	v_mov_b32_e32 v6, 0
	v_mov_b32_e32 v10, 0
	s_mov_b32 s11, exec_lo
	s_waitcnt vmcnt(0) lgkmcnt(0)
	ds_write_b64 v23, v[7:8] offset:2112
	v_cmpx_gt_i32_e64 s9, v28
	s_cbranch_execz .LBB174_43
; %bb.42:
	s_lshl_b32 s30, s10, 4
	s_ashr_i32 s31, s30, 31
	s_lshl_b64 s[30:31], s[30:31], 3
	v_add_co_u32 v7, s8, v3, s30
	v_add_co_ci_u32_e64 v8, null, s31, v4, s8
	flat_load_dwordx2 v[9:10], v[7:8]
.LBB174_43:
	s_or_b32 exec_lo, exec_lo, s11
	v_add_nc_u32_e32 v7, 24, v13
	s_waitcnt vmcnt(0) lgkmcnt(0)
	ds_write_b64 v23, v[9:10] offset:4224
	v_cmp_gt_i32_e64 s8, s9, v7
	s_and_saveexec_b32 s9, s8
	s_cbranch_execz .LBB174_45
; %bb.44:
	s_mul_i32 s30, s10, 24
	s_ashr_i32 s31, s30, 31
	s_lshl_b64 s[30:31], s[30:31], 3
	v_add_co_u32 v5, s8, v3, s30
	v_add_co_ci_u32_e64 v6, null, s31, v4, s8
	flat_load_dwordx2 v[5:6], v[5:6]
.LBB174_45:
	s_or_b32 exec_lo, exec_lo, s9
	v_add_co_u32 v3, s8, v3, v14
	v_add_co_ci_u32_e64 v4, null, 0, v4, s8
	s_waitcnt vmcnt(0) lgkmcnt(0)
	ds_write_b64 v23, v[5:6] offset:6336
	v_sub_co_u32 v3, s8, v3, s24
	v_subrev_co_ci_u32_e64 v4, null, s25, v4, s8
	v_add_co_u32 v3, s8, 0x108, v3
	v_add_co_ci_u32_e64 v4, null, 0, v4, s8
	v_cndmask_b32_e32 v18, v3, v18, vcc_lo
	v_cndmask_b32_e32 v24, v4, v24, vcc_lo
.LBB174_46:
	v_mul_u32_u24_e32 v4, 0x420, v13
	v_add_nc_u32_e32 v15, 0x2380, v15
	v_mul_u32_u24_e32 v3, 0x108, v12
	s_waitcnt lgkmcnt(0)
	s_barrier
	v_add_nc_u32_e32 v4, v14, v4
	buffer_gl0_inv
	s_and_saveexec_b32 s8, s3
	s_cbranch_execnz .LBB174_55
; %bb.47:
	s_or_b32 exec_lo, exec_lo, s8
	v_add_nc_u32_e32 v3, v14, v3
	s_and_saveexec_b32 s3, s4
	s_cbranch_execnz .LBB174_56
.LBB174_48:
	s_or_b32 exec_lo, exec_lo, s3
	s_and_saveexec_b32 s3, s5
	s_cbranch_execnz .LBB174_57
.LBB174_49:
	s_or_b32 exec_lo, exec_lo, s3
	s_and_saveexec_b32 s3, s7
	s_cbranch_execz .LBB174_51
.LBB174_50:
	ds_read_b64 v[5:6], v16
	v_lshl_add_u32 v7, v11, 3, v26
	s_waitcnt lgkmcnt(0)
	ds_write_b64 v7, v[5:6] offset:24
.LBB174_51:
	s_or_b32 exec_lo, exec_lo, s3
	s_waitcnt lgkmcnt(0)
	s_barrier
	buffer_gl0_inv
	ds_read_b64 v[8:9], v4
	ds_read_b128 v[4:7], v15 offset:256
	ds_read_b128 v[28:31], v15 offset:272
	ds_read_b64 v[32:33], v16
	ds_read2_b64 v[38:41], v3 offset1:33
	v_cmp_eq_u32_e64 s3, 1, v13
	s_waitcnt lgkmcnt(0)
	s_barrier
	buffer_gl0_inv
	v_fma_f64 v[4:5], v[8:9], v[4:5], 0
	v_fma_f64 v[3:4], v[38:39], v[6:7], v[4:5]
	;; [unrolled: 1-line block ×4, first 2 shown]
	ds_write_b64 v27, v[3:4]
	s_waitcnt lgkmcnt(0)
	s_barrier
	buffer_gl0_inv
	s_and_saveexec_b32 s4, s3
	s_cbranch_execz .LBB174_53
; %bb.52:
	ds_read2_b64 v[3:6], v26 offset1:1
	ds_read2_b64 v[7:10], v26 offset0:2 offset1:3
	s_waitcnt lgkmcnt(1)
	v_add_f64 v[3:4], v[3:4], v[5:6]
	s_waitcnt lgkmcnt(0)
	v_add_f64 v[3:4], v[3:4], v[7:8]
	v_add_f64 v[28:29], v[3:4], v[9:10]
	ds_read2_b64 v[3:6], v26 offset0:4 offset1:5
	ds_read2_b64 v[7:10], v26 offset0:6 offset1:7
	s_waitcnt lgkmcnt(1)
	v_add_f64 v[3:4], v[28:29], v[3:4]
	v_add_f64 v[3:4], v[3:4], v[5:6]
	s_waitcnt lgkmcnt(0)
	v_add_f64 v[3:4], v[3:4], v[7:8]
	v_add_f64 v[36:37], v[3:4], v[9:10]
.LBB174_53:
	s_or_b32 exec_lo, exec_lo, s4
	v_cmp_ne_u32_e32 vcc_lo, 1, v17
	v_sub_co_u32 v23, s4, v18, s22
	v_subrev_co_ci_u32_e64 v24, null, s23, v24, s4
	s_barrier
	buffer_gl0_inv
	s_cbranch_vccnz .LBB174_58
; %bb.54:
	s_lshl_b32 s4, s10, 3
	s_ashr_i32 s11, s10, 31
	s_ashr_i32 s5, s4, 31
	flat_load_dwordx2 v[3:4], v[23:24]
	s_lshl_b64 s[4:5], s[4:5], 3
	v_mul_u32_u24_e32 v12, 0x108, v13
	v_add_co_u32 v5, vcc_lo, v23, s4
	v_add_co_ci_u32_e64 v6, null, s5, v24, vcc_lo
	s_lshl_b64 s[4:5], s[10:11], 6
	v_add_nc_u32_e32 v16, 8, v13
	v_add_co_u32 v7, vcc_lo, v5, s4
	v_add_co_ci_u32_e64 v8, null, s5, v6, vcc_lo
	v_add_nc_u32_e32 v17, 16, v13
	v_add_co_u32 v9, vcc_lo, v7, s4
	v_add_co_ci_u32_e64 v10, null, s5, v8, vcc_lo
	s_clause 0x2
	flat_load_dwordx2 v[5:6], v[5:6]
	flat_load_dwordx2 v[28:29], v[7:8]
	;; [unrolled: 1-line block ×3, first 2 shown]
	v_mad_u32_u24 v8, 0x108, v13, v14
	s_movk_i32 s4, 0x840
	s_movk_i32 s5, 0x1080
	v_mad_u32_u24 v18, 0x108, v13, s4
	s_movk_i32 s4, 0x18c0
	v_mad_u32_u24 v7, 0x108, v13, s5
	v_add_nc_u32_e32 v30, v14, v7
	s_waitcnt vmcnt(3) lgkmcnt(3)
	ds_write_b64 v8, v[3:4]
	v_mad_u32_u24 v3, 0x108, v13, s4
	v_add_nc_u32_e32 v4, v14, v18
	v_add_nc_u32_e32 v8, 24, v13
	s_waitcnt vmcnt(2) lgkmcnt(3)
	ds_write_b64 v4, v[5:6]
	s_waitcnt vmcnt(1) lgkmcnt(3)
	ds_write_b64 v30, v[28:29]
	v_add_nc_u32_e32 v31, v14, v3
	s_waitcnt vmcnt(0) lgkmcnt(3)
	ds_write_b64 v31, v[9:10]
	s_cbranch_execz .LBB174_59
	s_branch .LBB174_68
.LBB174_55:
	ds_read_b64 v[5:6], v4
	v_lshl_add_u32 v7, v11, 3, v26
	s_waitcnt lgkmcnt(0)
	ds_write_b64 v7, v[5:6]
	s_or_b32 exec_lo, exec_lo, s8
	v_add_nc_u32_e32 v3, v14, v3
	s_and_saveexec_b32 s3, s4
	s_cbranch_execz .LBB174_48
.LBB174_56:
	ds_read_b64 v[5:6], v3
	v_lshl_add_u32 v7, v11, 3, v26
	s_waitcnt lgkmcnt(0)
	ds_write_b64 v7, v[5:6] offset:8
	s_or_b32 exec_lo, exec_lo, s3
	s_and_saveexec_b32 s3, s5
	s_cbranch_execz .LBB174_49
.LBB174_57:
	ds_read_b64 v[5:6], v3 offset:264
	v_lshl_add_u32 v7, v11, 3, v26
	s_waitcnt lgkmcnt(0)
	ds_write_b64 v7, v[5:6] offset:16
	s_or_b32 exec_lo, exec_lo, s3
	s_and_saveexec_b32 s3, s7
	s_cbranch_execnz .LBB174_50
	s_branch .LBB174_51
.LBB174_58:
                                        ; implicit-def: $vgpr12
                                        ; implicit-def: $vgpr16
                                        ; implicit-def: $vgpr18
                                        ; implicit-def: $vgpr17
                                        ; implicit-def: $vgpr7
                                        ; implicit-def: $vgpr8
                                        ; implicit-def: $vgpr3
.LBB174_59:
	v_or_b32_e32 v1, 32, v1
	s_ashr_i32 s19, s18, 31
	v_mov_b32_e32 v7, 0
	s_lshl_b64 s[8:9], s[18:19], 3
	v_mov_b32_e32 v5, 0
	v_lshlrev_b32_e32 v3, 3, v1
	v_mov_b32_e32 v8, 0
	v_mov_b32_e32 v6, 0
	s_mov_b32 s5, exec_lo
	v_sub_co_u32 v3, vcc_lo, v23, v3
	v_subrev_co_ci_u32_e64 v4, null, 0, v24, vcc_lo
	v_add_co_u32 v3, vcc_lo, v3, s8
	v_add_co_ci_u32_e64 v4, null, s9, v4, vcc_lo
	v_add_co_u32 v3, vcc_lo, v3, -8
	v_add_co_ci_u32_e64 v4, null, -1, v4, vcc_lo
	v_cmp_gt_i32_e32 vcc_lo, s18, v1
	v_cndmask_b32_e32 v4, v4, v24, vcc_lo
	v_cndmask_b32_e32 v3, v3, v23, vcc_lo
	v_cmpx_gt_i32_e64 s18, v13
	s_cbranch_execz .LBB174_61
; %bb.60:
	flat_load_dwordx2 v[5:6], v[3:4]
.LBB174_61:
	s_or_b32 exec_lo, exec_lo, s5
	v_add_nc_u32_e32 v16, 8, v13
	v_mul_u32_u24_e32 v12, 0x108, v13
	v_mad_u32_u24 v1, 0x108, v13, v14
	s_mov_b32 s5, exec_lo
	s_waitcnt vmcnt(0) lgkmcnt(0)
	ds_write_b64 v1, v[5:6]
	v_cmpx_gt_i32_e64 s18, v16
	s_cbranch_execz .LBB174_63
; %bb.62:
	s_lshl_b32 s22, s10, 3
	s_ashr_i32 s23, s22, 31
	s_lshl_b64 s[22:23], s[22:23], 3
	v_add_co_u32 v5, s4, v3, s22
	v_add_co_ci_u32_e64 v6, null, s23, v4, s4
	flat_load_dwordx2 v[7:8], v[5:6]
.LBB174_63:
	s_or_b32 exec_lo, exec_lo, s5
	v_add_nc_u32_e32 v18, 0x840, v12
	v_mov_b32_e32 v5, 0
	v_mov_b32_e32 v9, 0
	v_add_nc_u32_e32 v17, 16, v13
	v_mov_b32_e32 v6, 0
	v_add_nc_u32_e32 v1, v14, v18
	v_mov_b32_e32 v10, 0
	s_mov_b32 s5, exec_lo
	s_waitcnt vmcnt(0) lgkmcnt(0)
	ds_write_b64 v1, v[7:8]
	v_cmpx_gt_i32_e64 s18, v17
	s_cbranch_execz .LBB174_65
; %bb.64:
	s_lshl_b32 s22, s10, 4
	s_ashr_i32 s23, s22, 31
	s_lshl_b64 s[22:23], s[22:23], 3
	v_add_co_u32 v7, s4, v3, s22
	v_add_co_ci_u32_e64 v8, null, s23, v4, s4
	flat_load_dwordx2 v[9:10], v[7:8]
.LBB174_65:
	s_or_b32 exec_lo, exec_lo, s5
	v_add_nc_u32_e32 v7, 0x840, v18
	v_add_nc_u32_e32 v8, 24, v13
	s_mov_b32 s5, exec_lo
	v_add_nc_u32_e32 v1, v14, v7
	s_waitcnt vmcnt(0) lgkmcnt(0)
	ds_write_b64 v1, v[9:10]
	v_cmpx_gt_i32_e64 s18, v8
	s_cbranch_execz .LBB174_67
; %bb.66:
	s_mul_i32 s22, s10, 24
	s_ashr_i32 s23, s22, 31
	s_lshl_b64 s[22:23], s[22:23], 3
	v_add_co_u32 v5, s4, v3, s22
	v_add_co_ci_u32_e64 v6, null, s23, v4, s4
	flat_load_dwordx2 v[5:6], v[5:6]
.LBB174_67:
	s_or_b32 exec_lo, exec_lo, s5
	v_add_co_u32 v1, s4, v3, v14
	v_add_co_ci_u32_e64 v3, null, 0, v4, s4
	v_sub_co_u32 v1, s4, v1, s8
	v_subrev_co_ci_u32_e64 v4, null, s9, v3, s4
	v_add_nc_u32_e32 v3, 0x840, v7
	v_add_co_u32 v1, s4, 0x108, v1
	v_add_co_ci_u32_e64 v4, null, 0, v4, s4
	v_add_nc_u32_e32 v9, v14, v3
	v_cndmask_b32_e32 v23, v1, v23, vcc_lo
	v_cndmask_b32_e32 v24, v4, v24, vcc_lo
	s_waitcnt vmcnt(0) lgkmcnt(0)
	ds_write_b64 v9, v[5:6]
.LBB174_68:
	v_add_nc_u32_e32 v1, v14, v12
	v_lshlrev_b32_e32 v6, 3, v13
	s_waitcnt lgkmcnt(0)
	s_barrier
	buffer_gl0_inv
	ds_read_b64 v[4:5], v1
	ds_read_b64 v[9:10], v6 offset:9088
	v_add_nc_u32_e32 v1, v14, v18
	v_lshlrev_b32_e32 v6, 3, v16
	ds_read_b64 v[12:13], v1
	ds_read_b64 v[28:29], v6 offset:9088
	v_add_nc_u32_e32 v1, v14, v7
	s_waitcnt lgkmcnt(2)
	v_fma_f64 v[4:5], v[4:5], v[9:10], 0
	v_lshlrev_b32_e32 v9, 3, v17
	ds_read_b64 v[6:7], v1
	ds_read_b64 v[9:10], v9 offset:9088
	v_add_nc_u32_e32 v1, v14, v3
	v_lshlrev_b32_e32 v3, 3, v8
	s_waitcnt lgkmcnt(2)
	v_fma_f64 v[4:5], v[12:13], v[28:29], v[4:5]
	ds_read_b64 v[12:13], v1
	ds_read_b64 v[16:17], v3 offset:9088
	v_lshl_add_u32 v1, v11, 3, v26
	s_waitcnt lgkmcnt(2)
	v_fma_f64 v[3:4], v[6:7], v[9:10], v[4:5]
	s_waitcnt lgkmcnt(0)
	v_fma_f64 v[28:29], v[12:13], v[16:17], v[3:4]
	ds_read_b128 v[11:14], v15 offset:256
	ds_read_b128 v[3:6], v15 offset:272
	ds_read2_b64 v[15:18], v1 offset1:1
	ds_read2_b64 v[7:10], v1 offset0:2 offset1:3
	s_waitcnt lgkmcnt(0)
	s_barrier
	buffer_gl0_inv
	ds_write_b64 v27, v[28:29]
	s_waitcnt lgkmcnt(0)
	s_barrier
	buffer_gl0_inv
	s_and_saveexec_b32 s4, s3
	s_cbranch_execz .LBB174_70
; %bb.69:
	ds_read2_b64 v[28:31], v26 offset1:1
	ds_read2_b64 v[38:41], v26 offset0:2 offset1:3
	s_waitcnt lgkmcnt(1)
	v_add_f64 v[28:29], v[36:37], v[28:29]
	v_add_f64 v[28:29], v[28:29], v[30:31]
	s_waitcnt lgkmcnt(0)
	v_add_f64 v[28:29], v[28:29], v[38:39]
	v_add_f64 v[32:33], v[28:29], v[40:41]
	ds_read2_b64 v[28:31], v26 offset0:4 offset1:5
	ds_read2_b64 v[36:39], v26 offset0:6 offset1:7
	s_waitcnt lgkmcnt(1)
	v_add_f64 v[28:29], v[32:33], v[28:29]
	v_add_f64 v[28:29], v[28:29], v[30:31]
	s_waitcnt lgkmcnt(0)
	v_add_f64 v[28:29], v[28:29], v[36:37]
	v_add_f64 v[36:37], v[28:29], v[38:39]
.LBB174_70:
	s_or_b32 exec_lo, exec_lo, s4
	v_fma_f64 v[11:12], v[15:16], v[11:12], 0
	s_barrier
	buffer_gl0_inv
	v_fma_f64 v[11:12], v[17:18], v[13:14], v[11:12]
	v_fma_f64 v[3:4], v[7:8], v[3:4], v[11:12]
	;; [unrolled: 1-line block ×3, first 2 shown]
	ds_write_b64 v27, v[3:4]
	s_waitcnt lgkmcnt(0)
	s_barrier
	buffer_gl0_inv
	s_and_saveexec_b32 s3, s2
	s_cbranch_execz .LBB174_72
; %bb.71:
	ds_read2_b64 v[3:6], v26 offset1:1
	ds_read2_b64 v[7:10], v26 offset0:2 offset1:3
	s_waitcnt lgkmcnt(1)
	v_add_f64 v[3:4], v[36:37], v[3:4]
	v_add_f64 v[3:4], v[3:4], v[5:6]
	s_waitcnt lgkmcnt(0)
	v_add_f64 v[3:4], v[3:4], v[7:8]
	v_add_f64 v[11:12], v[3:4], v[9:10]
	ds_read2_b64 v[3:6], v26 offset0:4 offset1:5
	ds_read2_b64 v[7:10], v26 offset0:6 offset1:7
	s_waitcnt lgkmcnt(1)
	v_add_f64 v[3:4], v[11:12], v[3:4]
	v_add_f64 v[3:4], v[3:4], v[5:6]
	s_waitcnt lgkmcnt(0)
	v_add_f64 v[3:4], v[3:4], v[7:8]
	v_add_f64 v[36:37], v[3:4], v[9:10]
.LBB174_72:
	s_or_b32 exec_lo, exec_lo, s3
	s_mul_hi_u32 s2, s26, s16
	s_mul_i32 s28, s28, s16
	s_mul_i32 s3, s26, s16
	s_add_i32 s2, s2, s28
	s_mul_hi_u32 s5, s3, s27
	s_mul_i32 s4, s2, s27
	s_mul_i32 s2, s3, s27
	s_add_i32 s3, s5, s4
	s_mul_i32 s4, s26, s6
	s_lshl_b64 s[2:3], s[2:3], 3
	v_cmp_le_i32_e32 vcc_lo, s18, v0
	s_add_u32 s7, s20, s2
	s_addc_u32 s8, s21, s3
	s_ashr_i32 s5, s4, 31
	v_lshlrev_b32_e32 v72, 3, v0
	s_lshl_b64 s[2:3], s[4:5], 3
	s_add_u32 s7, s7, s2
	s_addc_u32 s20, s8, s3
	s_and_b32 vcc_lo, s13, vcc_lo
	s_cmp_lt_i32 s6, 1
	s_barrier
	buffer_gl0_inv
	s_cbranch_scc1 .LBB174_79
; %bb.73:
	v_mul_lo_u32 v1, v2, s10
	v_sub_co_u32 v7, s2, v23, s14
	v_subrev_co_ci_u32_e64 v8, null, s15, v24, s2
	s_ashr_i32 s19, s18, 31
	v_add_co_u32 v7, s2, 0xffffff00, v7
	v_lshl_add_u32 v3, v1, 2, v0
	v_add_co_ci_u32_e64 v8, null, -1, v8, s2
	v_sub_co_u32 v7, s2, v7, v21
	v_ashrrev_i32_e32 v4, 31, v3
	v_sub_co_ci_u32_e64 v8, null, v8, v22, s2
	v_lshrrev_b32_e32 v5, 4, v25
	v_and_b32_e32 v6, 15, v0
	v_lshlrev_b64 v[3:4], 3, v[3:4]
	s_mul_i32 s4, s17, s12
	v_mov_b32_e32 v1, 0
	s_ashr_i32 s5, s4, 31
	v_add_nc_u32_e32 v75, 0x2180, v72
	s_lshl_b64 s[4:5], s[4:5], 3
	v_add_co_u32 v3, s2, v7, v3
	v_add_co_ci_u32_e64 v4, null, v8, v4, s2
	v_lshl_add_u32 v76, v2, 5, 0x2180
	v_sub_co_u32 v7, s2, v3, v72
	v_subrev_co_ci_u32_e64 v8, null, 0, v4, s2
	s_lshl_b64 s[2:3], s[18:19], 3
	v_add_nc_u32_e32 v77, 0x2380, v72
	v_add_co_u32 v7, s2, v7, s2
	v_add_co_ci_u32_e64 v8, null, s3, v8, s2
	v_mad_u32_u24 v78, 0x860, v2, v72
	v_add_co_u32 v7, s2, v7, -8
	v_add_co_ci_u32_e64 v8, null, -1, v8, s2
	v_sub_co_u32 v73, s2, v19, s4
	v_cndmask_b32_e32 v38, v3, v7, vcc_lo
	v_cndmask_b32_e32 v39, v4, v8, vcc_lo
	v_and_b32_e32 v3, 48, v0
	v_lshlrev_b32_e32 v4, 5, v5
	v_mul_i32_i24_e32 v5, 0xffffffe8, v5
	v_subrev_co_ci_u32_e64 v74, null, s5, v20, s2
	v_lshlrev_b32_e32 v3, 3, v3
	v_mad_u32_u24 v79, 0x218, v6, v4
	v_or_b32_e32 v4, 0x78, v72
	v_cmp_gt_u32_e64 s2, 64, v25
	s_ashr_i32 s11, s10, 31
	v_mad_u32_u24 v80, 0x218, v6, v3
	v_add_nc_u32_e32 v82, v79, v5
	v_mad_u32_u24 v81, 0x218, v6, v4
	s_lshl_b32 s18, s17, 6
	s_lshl_b64 s[4:5], s[10:11], 3
	s_lshl_b64 s[8:9], s[10:11], 4
	;; [unrolled: 1-line block ×3, first 2 shown]
	s_mul_hi_i32 s19, s10, 24
	s_mul_i32 s21, s10, 24
	s_lshl_b64 s[14:15], s[10:11], 7
	s_mul_hi_i32 s22, s10, 0x90
	s_mul_i32 s23, s10, 0x90
	s_mul_hi_i32 s24, s10, 0x98
	s_mul_i32 s25, s10, 0x98
	s_lshl_b64 s[16:17], s[10:11], 8
	s_mul_hi_i32 s26, s10, 0x110
	s_mul_i32 s27, s10, 0x110
	s_mul_hi_i32 s28, s10, 0x118
	s_mul_i32 s29, s10, 0x118
	;; [unrolled: 2-line block ×8, first 2 shown]
	s_mov_b32 s10, 0
	s_branch .LBB174_75
.LBB174_74:                             ;   in Loop: Header=BB174_75 Depth=1
	s_or_b32 exec_lo, exec_lo, s11
	v_fma_f64 v[7:8], v[40:41], v[7:8], v[36:37]
	v_add_co_u32 v38, s3, v38, s12
	v_add_co_ci_u32_e64 v39, null, s13, v39, s3
	v_add_nc_u32_e32 v0, 64, v0
	s_add_i32 s6, s6, -1
	s_add_i32 s10, s10, s18
	s_cmp_eq_u32 s6, 0
	s_waitcnt_vscnt null, 0x0
	s_barrier
	buffer_gl0_inv
	v_fma_f64 v[7:8], v[42:43], v[9:10], v[7:8]
	v_fma_f64 v[3:4], v[44:45], v[3:4], v[7:8]
	;; [unrolled: 1-line block ×15, first 2 shown]
	s_cbranch_scc1 .LBB174_79
.LBB174_75:                             ; =>This Inner Loop Header: Depth=1
	s_and_saveexec_b32 s43, s1
	s_cbranch_execz .LBB174_77
; %bb.76:                               ;   in Loop: Header=BB174_75 Depth=1
	s_ashr_i32 s11, s10, 31
	s_lshl_b64 s[44:45], s[10:11], 3
	v_add_co_u32 v3, s3, v73, s44
	v_add_co_ci_u32_e64 v4, null, s45, v74, s3
	flat_load_dwordx2 v[3:4], v[3:4]
	s_waitcnt vmcnt(0) lgkmcnt(0)
	ds_write_b64 v75, v[3:4]
.LBB174_77:                             ;   in Loop: Header=BB174_75 Depth=1
	s_or_b32 exec_lo, exec_lo, s43
	v_add_co_u32 v3, s3, v38, s4
	v_add_co_ci_u32_e64 v4, null, s5, v39, s3
	v_add_co_u32 v5, s3, v38, s8
	v_add_co_ci_u32_e64 v6, null, s9, v39, s3
	;; [unrolled: 2-line block ×3, first 2 shown]
	s_waitcnt lgkmcnt(0)
	s_barrier
	buffer_gl0_inv
	s_clause 0x3
	flat_load_dwordx2 v[40:41], v[38:39]
	flat_load_dwordx2 v[42:43], v[3:4]
	;; [unrolled: 1-line block ×4, first 2 shown]
	ds_read_b64 v[3:4], v77
	v_add_co_u32 v19, s3, v38, s14
	v_add_co_ci_u32_e64 v20, null, s15, v39, s3
	v_add_co_u32 v21, s3, v38, s42
	v_add_co_ci_u32_e64 v22, null, s41, v39, s3
	;; [unrolled: 2-line block ×12, first 2 shown]
	s_waitcnt vmcnt(3) lgkmcnt(0)
	v_mul_f64 v[11:12], v[40:41], v[3:4]
	s_waitcnt vmcnt(2)
	v_mul_f64 v[13:14], v[42:43], v[3:4]
	s_waitcnt vmcnt(1)
	;; [unrolled: 2-line block ×3, first 2 shown]
	v_mul_f64 v[17:18], v[46:47], v[3:4]
	ds_read_b128 v[7:10], v76
	ds_read_b128 v[3:6], v76 offset:16
	ds_write2_b64 v78, v[11:12], v[13:14] offset1:67
	ds_write2_b64 v78, v[15:16], v[17:18] offset0:134 offset1:201
	s_waitcnt lgkmcnt(0)
	s_barrier
	buffer_gl0_inv
	ds_read2_b64 v[83:86], v79 offset1:1
	ds_read2_b64 v[87:90], v79 offset0:2 offset1:3
	s_waitcnt lgkmcnt(0)
	s_barrier
	buffer_gl0_inv
	s_clause 0x3
	flat_load_dwordx2 v[48:49], v[19:20]
	flat_load_dwordx2 v[50:51], v[21:22]
	;; [unrolled: 1-line block ×4, first 2 shown]
	ds_read_b64 v[11:12], v77
	v_add_f64 v[83:84], v[83:84], 0
	s_waitcnt vmcnt(3) lgkmcnt(0)
	v_mul_f64 v[19:20], v[48:49], v[11:12]
	s_waitcnt vmcnt(2)
	v_mul_f64 v[21:22], v[50:51], v[11:12]
	s_waitcnt vmcnt(1)
	;; [unrolled: 2-line block ×3, first 2 shown]
	v_mul_f64 v[25:26], v[54:55], v[11:12]
	ds_read_b128 v[15:18], v76 offset:128
	ds_read_b128 v[11:14], v76 offset:144
	ds_write2_b64 v78, v[19:20], v[21:22] offset1:67
	ds_write2_b64 v78, v[23:24], v[25:26] offset0:134 offset1:201
	s_waitcnt lgkmcnt(0)
	s_barrier
	buffer_gl0_inv
	ds_read2_b64 v[91:94], v79 offset1:1
	ds_read2_b64 v[95:98], v79 offset0:2 offset1:3
	s_waitcnt lgkmcnt(0)
	s_barrier
	buffer_gl0_inv
	s_clause 0x3
	flat_load_dwordx2 v[56:57], v[27:28]
	flat_load_dwordx2 v[58:59], v[29:30]
	;; [unrolled: 1-line block ×4, first 2 shown]
	ds_read_b64 v[19:20], v77
	v_add_f64 v[91:92], v[91:92], 0
	v_add_f64 v[91:92], v[91:92], v[93:94]
	;; [unrolled: 1-line block ×3, first 2 shown]
	s_waitcnt vmcnt(3) lgkmcnt(0)
	v_mul_f64 v[27:28], v[56:57], v[19:20]
	s_waitcnt vmcnt(2)
	v_mul_f64 v[29:30], v[58:59], v[19:20]
	s_waitcnt vmcnt(1)
	;; [unrolled: 2-line block ×3, first 2 shown]
	v_mul_f64 v[33:34], v[62:63], v[19:20]
	ds_read_b128 v[19:22], v76 offset:256
	ds_read_b128 v[23:26], v76 offset:272
	ds_write2_b64 v78, v[27:28], v[29:30] offset1:67
	ds_write2_b64 v78, v[31:32], v[33:34] offset0:134 offset1:201
	s_waitcnt lgkmcnt(0)
	s_barrier
	buffer_gl0_inv
	ds_read2_b64 v[99:102], v79 offset1:1
	ds_read2_b64 v[103:106], v79 offset0:2 offset1:3
	s_waitcnt lgkmcnt(0)
	s_barrier
	buffer_gl0_inv
	s_clause 0x3
	flat_load_dwordx2 v[64:65], v[64:65]
	flat_load_dwordx2 v[66:67], v[66:67]
	;; [unrolled: 1-line block ×4, first 2 shown]
	ds_read_b64 v[27:28], v77
	v_add_f64 v[99:100], v[99:100], 0
	v_add_f64 v[93:94], v[99:100], v[101:102]
	;; [unrolled: 1-line block ×3, first 2 shown]
	s_waitcnt vmcnt(3) lgkmcnt(0)
	v_mul_f64 v[107:108], v[64:65], v[27:28]
	s_waitcnt vmcnt(2)
	v_mul_f64 v[109:110], v[66:67], v[27:28]
	s_waitcnt vmcnt(1)
	;; [unrolled: 2-line block ×3, first 2 shown]
	v_mul_f64 v[113:114], v[70:71], v[27:28]
	ds_read_b128 v[27:30], v76 offset:384
	ds_read_b128 v[31:34], v76 offset:400
	ds_write2_b64 v78, v[107:108], v[109:110] offset1:67
	ds_write2_b64 v78, v[111:112], v[113:114] offset0:134 offset1:201
	s_waitcnt lgkmcnt(0)
	s_barrier
	buffer_gl0_inv
	ds_read2_b64 v[107:110], v79 offset1:1
	v_add_f64 v[111:112], v[83:84], v[85:86]
	ds_read2_b64 v[83:86], v79 offset0:2 offset1:3
	s_waitcnt lgkmcnt(0)
	s_barrier
	buffer_gl0_inv
	v_add_f64 v[107:108], v[107:108], 0
	v_add_f64 v[87:88], v[111:112], v[87:88]
	;; [unrolled: 1-line block ×8, first 2 shown]
	ds_write2_b64 v82, v[87:88], v[89:90] offset1:16
	ds_write2_b64 v82, v[91:92], v[83:84] offset0:32 offset1:48
	s_waitcnt lgkmcnt(0)
	s_barrier
	buffer_gl0_inv
	s_and_saveexec_b32 s11, s2
	s_cbranch_execz .LBB174_74
; %bb.78:                               ;   in Loop: Header=BB174_75 Depth=1
	ds_read2_b64 v[83:86], v80 offset1:1
	ds_read2_b64 v[87:90], v80 offset0:2 offset1:3
	s_waitcnt lgkmcnt(1)
	v_add_f64 v[83:84], v[83:84], v[85:86]
	s_waitcnt lgkmcnt(0)
	v_add_f64 v[83:84], v[83:84], v[87:88]
	v_add_f64 v[91:92], v[83:84], v[89:90]
	ds_read2_b64 v[83:86], v80 offset0:4 offset1:5
	ds_read2_b64 v[87:90], v80 offset0:6 offset1:7
	s_waitcnt lgkmcnt(1)
	v_add_f64 v[83:84], v[91:92], v[83:84]
	v_add_f64 v[83:84], v[83:84], v[85:86]
	s_waitcnt lgkmcnt(0)
	v_add_f64 v[83:84], v[83:84], v[87:88]
	v_add_f64 v[91:92], v[83:84], v[89:90]
	ds_read2_b64 v[83:86], v80 offset0:8 offset1:9
	ds_read2_b64 v[87:90], v80 offset0:10 offset1:11
	s_waitcnt lgkmcnt(1)
	v_add_f64 v[83:84], v[91:92], v[83:84]
	v_add_f64 v[83:84], v[83:84], v[85:86]
	s_waitcnt lgkmcnt(0)
	v_add_f64 v[83:84], v[83:84], v[87:88]
	v_add_f64 v[87:88], v[83:84], v[89:90]
	ds_read2_b64 v[83:86], v80 offset0:12 offset1:13
	ds_read_b64 v[89:90], v80 offset:112
	s_waitcnt lgkmcnt(1)
	v_add_f64 v[83:84], v[87:88], v[83:84]
	v_add_f64 v[83:84], v[83:84], v[85:86]
	ds_read_b64 v[85:86], v81
	s_waitcnt lgkmcnt(1)
	v_add_f64 v[83:84], v[83:84], v[89:90]
	s_waitcnt lgkmcnt(0)
	v_add_f64 v[83:84], v[83:84], v[85:86]
	v_lshlrev_b64 v[85:86], 3, v[0:1]
	v_add_co_u32 v85, s3, s7, v85
	v_add_co_ci_u32_e64 v86, null, s20, v86, s3
	global_store_dwordx2 v[85:86], v[83:84], off
	s_branch .LBB174_74
.LBB174_79:
	v_mad_u32_u24 v0, 0x218, v2, v72
	s_nor_b32 s0, s0, vcc_lo
	ds_write_b64 v0, v[36:37]
	s_waitcnt lgkmcnt(0)
	s_barrier
	buffer_gl0_inv
	s_and_saveexec_b32 s1, s0
	s_cbranch_execz .LBB174_4
; %bb.80:
	ds_read2_b64 v[0:3], v72 offset1:67
	v_ashrrev_i32_e32 v36, 31, v35
	s_waitcnt lgkmcnt(0)
	v_add_f64 v[4:5], v[0:1], v[2:3]
	ds_read2_b64 v[0:3], v72 offset0:134 offset1:201
	s_waitcnt lgkmcnt(0)
	v_add_f64 v[0:1], v[4:5], v[0:1]
	v_add_f64 v[0:1], v[0:1], v[2:3]
	v_lshlrev_b64 v[2:3], 3, v[35:36]
	v_add_co_u32 v2, vcc_lo, s7, v2
	v_add_co_ci_u32_e64 v3, null, s20, v3, vcc_lo
	global_store_dwordx2 v[2:3], v[0:1], off
	s_endpgm
	.section	.rodata,"a",@progbits
	.p2align	6, 0x0
	.amdhsa_kernel _ZL26rocblas_hemvn_kernel_lowerILb0ELi64ELi4ELi33ELi32ELi16EiPKdPKS1_PdEviT6_lT7_lT5_lS6_lS7_lS5_lT8_i
		.amdhsa_group_segment_fixed_size 9600
		.amdhsa_private_segment_fixed_size 0
		.amdhsa_kernarg_size 376
		.amdhsa_user_sgpr_count 6
		.amdhsa_user_sgpr_private_segment_buffer 1
		.amdhsa_user_sgpr_dispatch_ptr 0
		.amdhsa_user_sgpr_queue_ptr 0
		.amdhsa_user_sgpr_kernarg_segment_ptr 1
		.amdhsa_user_sgpr_dispatch_id 0
		.amdhsa_user_sgpr_flat_scratch_init 0
		.amdhsa_user_sgpr_private_segment_size 0
		.amdhsa_wavefront_size32 1
		.amdhsa_uses_dynamic_stack 0
		.amdhsa_system_sgpr_private_segment_wavefront_offset 0
		.amdhsa_system_sgpr_workgroup_id_x 1
		.amdhsa_system_sgpr_workgroup_id_y 0
		.amdhsa_system_sgpr_workgroup_id_z 1
		.amdhsa_system_sgpr_workgroup_info 0
		.amdhsa_system_vgpr_workitem_id 1
		.amdhsa_next_free_vgpr 115
		.amdhsa_next_free_sgpr 46
		.amdhsa_reserve_vcc 1
		.amdhsa_reserve_flat_scratch 1
		.amdhsa_float_round_mode_32 0
		.amdhsa_float_round_mode_16_64 0
		.amdhsa_float_denorm_mode_32 3
		.amdhsa_float_denorm_mode_16_64 3
		.amdhsa_dx10_clamp 1
		.amdhsa_ieee_mode 1
		.amdhsa_fp16_overflow 0
		.amdhsa_workgroup_processor_mode 1
		.amdhsa_memory_ordered 1
		.amdhsa_forward_progress 1
		.amdhsa_shared_vgpr_count 0
		.amdhsa_exception_fp_ieee_invalid_op 0
		.amdhsa_exception_fp_denorm_src 0
		.amdhsa_exception_fp_ieee_div_zero 0
		.amdhsa_exception_fp_ieee_overflow 0
		.amdhsa_exception_fp_ieee_underflow 0
		.amdhsa_exception_fp_ieee_inexact 0
		.amdhsa_exception_int_div_zero 0
	.end_amdhsa_kernel
	.section	.text._ZL26rocblas_hemvn_kernel_lowerILb0ELi64ELi4ELi33ELi32ELi16EiPKdPKS1_PdEviT6_lT7_lT5_lS6_lS7_lS5_lT8_i,"axG",@progbits,_ZL26rocblas_hemvn_kernel_lowerILb0ELi64ELi4ELi33ELi32ELi16EiPKdPKS1_PdEviT6_lT7_lT5_lS6_lS7_lS5_lT8_i,comdat
.Lfunc_end174:
	.size	_ZL26rocblas_hemvn_kernel_lowerILb0ELi64ELi4ELi33ELi32ELi16EiPKdPKS1_PdEviT6_lT7_lT5_lS6_lS7_lS5_lT8_i, .Lfunc_end174-_ZL26rocblas_hemvn_kernel_lowerILb0ELi64ELi4ELi33ELi32ELi16EiPKdPKS1_PdEviT6_lT7_lT5_lS6_lS7_lS5_lT8_i
                                        ; -- End function
	.set _ZL26rocblas_hemvn_kernel_lowerILb0ELi64ELi4ELi33ELi32ELi16EiPKdPKS1_PdEviT6_lT7_lT5_lS6_lS7_lS5_lT8_i.num_vgpr, 115
	.set _ZL26rocblas_hemvn_kernel_lowerILb0ELi64ELi4ELi33ELi32ELi16EiPKdPKS1_PdEviT6_lT7_lT5_lS6_lS7_lS5_lT8_i.num_agpr, 0
	.set _ZL26rocblas_hemvn_kernel_lowerILb0ELi64ELi4ELi33ELi32ELi16EiPKdPKS1_PdEviT6_lT7_lT5_lS6_lS7_lS5_lT8_i.numbered_sgpr, 46
	.set _ZL26rocblas_hemvn_kernel_lowerILb0ELi64ELi4ELi33ELi32ELi16EiPKdPKS1_PdEviT6_lT7_lT5_lS6_lS7_lS5_lT8_i.num_named_barrier, 0
	.set _ZL26rocblas_hemvn_kernel_lowerILb0ELi64ELi4ELi33ELi32ELi16EiPKdPKS1_PdEviT6_lT7_lT5_lS6_lS7_lS5_lT8_i.private_seg_size, 0
	.set _ZL26rocblas_hemvn_kernel_lowerILb0ELi64ELi4ELi33ELi32ELi16EiPKdPKS1_PdEviT6_lT7_lT5_lS6_lS7_lS5_lT8_i.uses_vcc, 1
	.set _ZL26rocblas_hemvn_kernel_lowerILb0ELi64ELi4ELi33ELi32ELi16EiPKdPKS1_PdEviT6_lT7_lT5_lS6_lS7_lS5_lT8_i.uses_flat_scratch, 1
	.set _ZL26rocblas_hemvn_kernel_lowerILb0ELi64ELi4ELi33ELi32ELi16EiPKdPKS1_PdEviT6_lT7_lT5_lS6_lS7_lS5_lT8_i.has_dyn_sized_stack, 0
	.set _ZL26rocblas_hemvn_kernel_lowerILb0ELi64ELi4ELi33ELi32ELi16EiPKdPKS1_PdEviT6_lT7_lT5_lS6_lS7_lS5_lT8_i.has_recursion, 0
	.set _ZL26rocblas_hemvn_kernel_lowerILb0ELi64ELi4ELi33ELi32ELi16EiPKdPKS1_PdEviT6_lT7_lT5_lS6_lS7_lS5_lT8_i.has_indirect_call, 0
	.section	.AMDGPU.csdata,"",@progbits
; Kernel info:
; codeLenInByte = 6740
; TotalNumSgprs: 48
; NumVgprs: 115
; ScratchSize: 0
; MemoryBound: 0
; FloatMode: 240
; IeeeMode: 1
; LDSByteSize: 9600 bytes/workgroup (compile time only)
; SGPRBlocks: 0
; VGPRBlocks: 14
; NumSGPRsForWavesPerEU: 48
; NumVGPRsForWavesPerEU: 115
; Occupancy: 8
; WaveLimiterHint : 1
; COMPUTE_PGM_RSRC2:SCRATCH_EN: 0
; COMPUTE_PGM_RSRC2:USER_SGPR: 6
; COMPUTE_PGM_RSRC2:TRAP_HANDLER: 0
; COMPUTE_PGM_RSRC2:TGID_X_EN: 1
; COMPUTE_PGM_RSRC2:TGID_Y_EN: 0
; COMPUTE_PGM_RSRC2:TGID_Z_EN: 1
; COMPUTE_PGM_RSRC2:TIDIG_COMP_CNT: 1
	.section	.text._ZL36rocblas_hemvn_kernel_lower_block_sumILi64EiPKdPKPddEviT1_lS5_lT2_lT0_lPT3_i,"axG",@progbits,_ZL36rocblas_hemvn_kernel_lower_block_sumILi64EiPKdPKPddEviT1_lS5_lT2_lT0_lPT3_i,comdat
	.globl	_ZL36rocblas_hemvn_kernel_lower_block_sumILi64EiPKdPKPddEviT1_lS5_lT2_lT0_lPT3_i ; -- Begin function _ZL36rocblas_hemvn_kernel_lower_block_sumILi64EiPKdPKPddEviT1_lS5_lT2_lT0_lPT3_i
	.p2align	8
	.type	_ZL36rocblas_hemvn_kernel_lower_block_sumILi64EiPKdPKPddEviT1_lS5_lT2_lT0_lPT3_i,@function
_ZL36rocblas_hemvn_kernel_lower_block_sumILi64EiPKdPKPddEviT1_lS5_lT2_lT0_lPT3_i: ; @_ZL36rocblas_hemvn_kernel_lower_block_sumILi64EiPKdPKPddEviT1_lS5_lT2_lT0_lPT3_i
; %bb.0:
	s_load_dwordx8 s[8:15], s[4:5], 0x8
	s_mov_b32 s2, s7
	s_waitcnt lgkmcnt(0)
	s_mul_i32 s1, s11, s7
	s_mul_hi_u32 s3, s10, s7
	s_mul_i32 s0, s10, s7
	s_add_i32 s1, s3, s1
	s_mul_i32 s3, s15, s7
	s_lshl_b64 s[0:1], s[0:1], 3
	s_mul_hi_u32 s7, s14, s7
	s_add_u32 s0, s8, s0
	s_addc_u32 s1, s9, s1
	s_add_i32 s9, s7, s3
	s_mul_i32 s8, s14, s2
	s_lshl_b64 s[8:9], s[8:9], 3
	s_add_u32 s10, s12, s8
	s_addc_u32 s11, s13, s9
	s_load_dwordx2 s[8:9], s[0:1], 0x0
	s_load_dwordx2 s[10:11], s[10:11], 0x0
	s_waitcnt lgkmcnt(0)
	v_cmp_eq_f64_e64 s0, s[8:9], 0
	v_cmp_eq_f64_e64 s1, s[10:11], 1.0
	s_and_b32 s0, s0, s1
	s_and_b32 vcc_lo, exec_lo, s0
	s_cbranch_vccnz .LBB175_19
; %bb.1:
	s_load_dwordx4 s[16:19], s[4:5], 0x28
	s_mov_b32 s3, 0
	s_clause 0x1
	s_load_dword s15, s[4:5], 0x38
	s_load_dword s12, s[4:5], 0x0
	s_lshl_b64 s[0:1], s[2:3], 3
	v_cmp_neq_f64_e64 s13, s[8:9], 0
	v_lshl_or_b32 v0, s6, 6, v0
	s_waitcnt lgkmcnt(0)
	s_add_u32 s0, s16, s0
	s_addc_u32 s1, s17, s1
	s_lshl_b64 s[16:17], s[18:19], 3
	s_load_dwordx2 s[0:1], s[0:1], 0x0
	s_waitcnt lgkmcnt(0)
	s_add_u32 s7, s0, s16
	v_cmp_gt_i32_e64 s0, s12, v0
	s_addc_u32 s14, s1, s17
	s_and_b32 vcc_lo, exec_lo, s13
	s_cbranch_vccnz .LBB175_6
; %bb.2:
	s_mov_b32 s1, 0
                                        ; implicit-def: $vgpr3_vgpr4
                                        ; implicit-def: $vgpr1_vgpr2
	s_and_saveexec_b32 s13, s0
	s_cbranch_execz .LBB175_7
; %bb.3:
	v_cmp_eq_f64_e64 s0, s[10:11], 0
	v_mul_lo_u32 v1, s15, v0
	v_mov_b32_e32 v3, 0
	v_mov_b32_e32 v4, 0
	v_ashrrev_i32_e32 v2, 31, v1
	s_and_b32 vcc_lo, exec_lo, s0
	s_cbranch_vccnz .LBB175_5
; %bb.4:
	v_lshlrev_b64 v[3:4], 3, v[1:2]
	v_add_co_u32 v3, vcc_lo, s7, v3
	v_add_co_ci_u32_e64 v4, null, s14, v4, vcc_lo
	flat_load_dwordx2 v[3:4], v[3:4]
	s_waitcnt vmcnt(0) lgkmcnt(0)
	v_mul_f64 v[3:4], s[10:11], v[3:4]
.LBB175_5:
	s_mov_b32 s3, exec_lo
	s_or_b32 exec_lo, exec_lo, s13
	s_and_b32 vcc_lo, exec_lo, s1
	s_cbranch_vccnz .LBB175_8
	s_branch .LBB175_17
.LBB175_6:
                                        ; implicit-def: $vgpr3_vgpr4
                                        ; implicit-def: $vgpr1_vgpr2
	s_cbranch_execnz .LBB175_8
	s_branch .LBB175_17
.LBB175_7:
	s_or_b32 exec_lo, exec_lo, s13
	s_and_b32 vcc_lo, exec_lo, s1
	s_cbranch_vccz .LBB175_17
.LBB175_8:
	s_mov_b32 s16, exec_lo
                                        ; implicit-def: $vgpr3_vgpr4
                                        ; implicit-def: $vgpr1_vgpr2
	v_cmpx_gt_i32_e64 s12, v0
	s_cbranch_execz .LBB175_16
; %bb.9:
	s_load_dword s17, s[4:5], 0x58
	v_mov_b32_e32 v5, 0
	v_mov_b32_e32 v6, 0
	s_waitcnt lgkmcnt(0)
	s_cmp_ge_i32 s6, s17
	s_cbranch_scc1 .LBB175_12
; %bb.10:
	s_load_dwordx2 s[0:1], s[4:5], 0x48
	v_mad_u64_u32 v[1:2], null, s12, s6, v[0:1]
	s_ashr_i32 s13, s12, 31
	s_mul_hi_u32 s4, s12, s2
	s_mul_i32 s5, s13, s2
	s_mul_i32 s2, s12, s2
	s_add_i32 s4, s4, s5
	s_mul_hi_u32 s5, s2, s17
	v_ashrrev_i32_e32 v2, 31, v1
	s_mul_i32 s18, s4, s17
	s_mul_i32 s4, s2, s17
	s_add_i32 s5, s5, s18
	v_mov_b32_e32 v5, 0
	v_lshlrev_b64 v[1:2], 3, v[1:2]
	s_lshl_b64 s[4:5], s[4:5], 3
	v_mov_b32_e32 v6, 0
	s_waitcnt lgkmcnt(0)
	s_add_u32 s0, s0, s4
	s_addc_u32 s1, s1, s5
	v_add_co_u32 v1, vcc_lo, s0, v1
	v_add_co_ci_u32_e64 v2, null, s1, v2, vcc_lo
	s_lshl_b64 s[0:1], s[12:13], 3
.LBB175_11:                             ; =>This Inner Loop Header: Depth=1
	global_load_dwordx2 v[3:4], v[1:2], off
	v_add_co_u32 v1, vcc_lo, v1, s0
	v_add_co_ci_u32_e64 v2, null, s1, v2, vcc_lo
	s_add_i32 s6, s6, 1
	s_cmp_ge_i32 s6, s17
	s_waitcnt vmcnt(0)
	v_add_f64 v[5:6], v[5:6], v[3:4]
	s_cbranch_scc0 .LBB175_11
.LBB175_12:
	v_cmp_eq_f64_e64 s0, s[10:11], 0
	v_mul_lo_u32 v1, s15, v0
	v_ashrrev_i32_e32 v2, 31, v1
	s_and_b32 vcc_lo, exec_lo, s0
	s_cbranch_vccz .LBB175_20
; %bb.13:
	v_mul_f64 v[3:4], s[8:9], v[5:6]
	s_cbranch_execnz .LBB175_15
.LBB175_14:
	v_lshlrev_b64 v[3:4], 3, v[1:2]
	v_add_co_u32 v3, vcc_lo, s7, v3
	v_add_co_ci_u32_e64 v4, null, s14, v4, vcc_lo
	flat_load_dwordx2 v[3:4], v[3:4]
	s_waitcnt vmcnt(0) lgkmcnt(0)
	v_mul_f64 v[3:4], s[10:11], v[3:4]
	v_fma_f64 v[3:4], s[8:9], v[5:6], v[3:4]
.LBB175_15:
	s_or_b32 s3, s3, exec_lo
.LBB175_16:
	s_or_b32 exec_lo, exec_lo, s16
.LBB175_17:
	s_and_saveexec_b32 s0, s3
	s_cbranch_execz .LBB175_19
; %bb.18:
	v_lshlrev_b64 v[0:1], 3, v[1:2]
	v_add_co_u32 v0, vcc_lo, s7, v0
	v_add_co_ci_u32_e64 v1, null, s14, v1, vcc_lo
	flat_store_dwordx2 v[0:1], v[3:4]
.LBB175_19:
	s_endpgm
.LBB175_20:
                                        ; implicit-def: $vgpr3_vgpr4
	s_branch .LBB175_14
	.section	.rodata,"a",@progbits
	.p2align	6, 0x0
	.amdhsa_kernel _ZL36rocblas_hemvn_kernel_lower_block_sumILi64EiPKdPKPddEviT1_lS5_lT2_lT0_lPT3_i
		.amdhsa_group_segment_fixed_size 0
		.amdhsa_private_segment_fixed_size 0
		.amdhsa_kernarg_size 344
		.amdhsa_user_sgpr_count 6
		.amdhsa_user_sgpr_private_segment_buffer 1
		.amdhsa_user_sgpr_dispatch_ptr 0
		.amdhsa_user_sgpr_queue_ptr 0
		.amdhsa_user_sgpr_kernarg_segment_ptr 1
		.amdhsa_user_sgpr_dispatch_id 0
		.amdhsa_user_sgpr_flat_scratch_init 0
		.amdhsa_user_sgpr_private_segment_size 0
		.amdhsa_wavefront_size32 1
		.amdhsa_uses_dynamic_stack 0
		.amdhsa_system_sgpr_private_segment_wavefront_offset 0
		.amdhsa_system_sgpr_workgroup_id_x 1
		.amdhsa_system_sgpr_workgroup_id_y 0
		.amdhsa_system_sgpr_workgroup_id_z 1
		.amdhsa_system_sgpr_workgroup_info 0
		.amdhsa_system_vgpr_workitem_id 0
		.amdhsa_next_free_vgpr 7
		.amdhsa_next_free_sgpr 20
		.amdhsa_reserve_vcc 1
		.amdhsa_reserve_flat_scratch 0
		.amdhsa_float_round_mode_32 0
		.amdhsa_float_round_mode_16_64 0
		.amdhsa_float_denorm_mode_32 3
		.amdhsa_float_denorm_mode_16_64 3
		.amdhsa_dx10_clamp 1
		.amdhsa_ieee_mode 1
		.amdhsa_fp16_overflow 0
		.amdhsa_workgroup_processor_mode 1
		.amdhsa_memory_ordered 1
		.amdhsa_forward_progress 1
		.amdhsa_shared_vgpr_count 0
		.amdhsa_exception_fp_ieee_invalid_op 0
		.amdhsa_exception_fp_denorm_src 0
		.amdhsa_exception_fp_ieee_div_zero 0
		.amdhsa_exception_fp_ieee_overflow 0
		.amdhsa_exception_fp_ieee_underflow 0
		.amdhsa_exception_fp_ieee_inexact 0
		.amdhsa_exception_int_div_zero 0
	.end_amdhsa_kernel
	.section	.text._ZL36rocblas_hemvn_kernel_lower_block_sumILi64EiPKdPKPddEviT1_lS5_lT2_lT0_lPT3_i,"axG",@progbits,_ZL36rocblas_hemvn_kernel_lower_block_sumILi64EiPKdPKPddEviT1_lS5_lT2_lT0_lPT3_i,comdat
.Lfunc_end175:
	.size	_ZL36rocblas_hemvn_kernel_lower_block_sumILi64EiPKdPKPddEviT1_lS5_lT2_lT0_lPT3_i, .Lfunc_end175-_ZL36rocblas_hemvn_kernel_lower_block_sumILi64EiPKdPKPddEviT1_lS5_lT2_lT0_lPT3_i
                                        ; -- End function
	.set _ZL36rocblas_hemvn_kernel_lower_block_sumILi64EiPKdPKPddEviT1_lS5_lT2_lT0_lPT3_i.num_vgpr, 7
	.set _ZL36rocblas_hemvn_kernel_lower_block_sumILi64EiPKdPKPddEviT1_lS5_lT2_lT0_lPT3_i.num_agpr, 0
	.set _ZL36rocblas_hemvn_kernel_lower_block_sumILi64EiPKdPKPddEviT1_lS5_lT2_lT0_lPT3_i.numbered_sgpr, 20
	.set _ZL36rocblas_hemvn_kernel_lower_block_sumILi64EiPKdPKPddEviT1_lS5_lT2_lT0_lPT3_i.num_named_barrier, 0
	.set _ZL36rocblas_hemvn_kernel_lower_block_sumILi64EiPKdPKPddEviT1_lS5_lT2_lT0_lPT3_i.private_seg_size, 0
	.set _ZL36rocblas_hemvn_kernel_lower_block_sumILi64EiPKdPKPddEviT1_lS5_lT2_lT0_lPT3_i.uses_vcc, 1
	.set _ZL36rocblas_hemvn_kernel_lower_block_sumILi64EiPKdPKPddEviT1_lS5_lT2_lT0_lPT3_i.uses_flat_scratch, 0
	.set _ZL36rocblas_hemvn_kernel_lower_block_sumILi64EiPKdPKPddEviT1_lS5_lT2_lT0_lPT3_i.has_dyn_sized_stack, 0
	.set _ZL36rocblas_hemvn_kernel_lower_block_sumILi64EiPKdPKPddEviT1_lS5_lT2_lT0_lPT3_i.has_recursion, 0
	.set _ZL36rocblas_hemvn_kernel_lower_block_sumILi64EiPKdPKPddEviT1_lS5_lT2_lT0_lPT3_i.has_indirect_call, 0
	.section	.AMDGPU.csdata,"",@progbits
; Kernel info:
; codeLenInByte = 704
; TotalNumSgprs: 22
; NumVgprs: 7
; ScratchSize: 0
; MemoryBound: 0
; FloatMode: 240
; IeeeMode: 1
; LDSByteSize: 0 bytes/workgroup (compile time only)
; SGPRBlocks: 0
; VGPRBlocks: 0
; NumSGPRsForWavesPerEU: 22
; NumVGPRsForWavesPerEU: 7
; Occupancy: 16
; WaveLimiterHint : 1
; COMPUTE_PGM_RSRC2:SCRATCH_EN: 0
; COMPUTE_PGM_RSRC2:USER_SGPR: 6
; COMPUTE_PGM_RSRC2:TRAP_HANDLER: 0
; COMPUTE_PGM_RSRC2:TGID_X_EN: 1
; COMPUTE_PGM_RSRC2:TGID_Y_EN: 0
; COMPUTE_PGM_RSRC2:TGID_Z_EN: 1
; COMPUTE_PGM_RSRC2:TIDIG_COMP_CNT: 0
	.section	.text._ZL26rocblas_hemvn_kernel_lowerILb0ELi64ELi4ELi33ELi32ELi16EldPKPKdPdEviT6_lT7_lT5_lS6_lS7_lS5_lT8_i,"axG",@progbits,_ZL26rocblas_hemvn_kernel_lowerILb0ELi64ELi4ELi33ELi32ELi16EldPKPKdPdEviT6_lT7_lT5_lS6_lS7_lS5_lT8_i,comdat
	.globl	_ZL26rocblas_hemvn_kernel_lowerILb0ELi64ELi4ELi33ELi32ELi16EldPKPKdPdEviT6_lT7_lT5_lS6_lS7_lS5_lT8_i ; -- Begin function _ZL26rocblas_hemvn_kernel_lowerILb0ELi64ELi4ELi33ELi32ELi16EldPKPKdPdEviT6_lT7_lT5_lS6_lS7_lS5_lT8_i
	.p2align	8
	.type	_ZL26rocblas_hemvn_kernel_lowerILb0ELi64ELi4ELi33ELi32ELi16EldPKPKdPdEviT6_lT7_lT5_lS6_lS7_lS5_lT8_i,@function
_ZL26rocblas_hemvn_kernel_lowerILb0ELi64ELi4ELi33ELi32ELi16EldPKPKdPdEviT6_lT7_lT5_lS6_lS7_lS5_lT8_i: ; @_ZL26rocblas_hemvn_kernel_lowerILb0ELi64ELi4ELi33ELi32ELi16EldPKPKdPdEviT6_lT7_lT5_lS6_lS7_lS5_lT8_i
; %bb.0:
	s_load_dwordx2 s[0:1], s[4:5], 0x84
	s_add_u32 s8, s4, 0x78
	s_addc_u32 s9, s5, 0
	s_waitcnt lgkmcnt(0)
	s_lshr_b32 s2, s0, 16
	s_and_b32 s0, s0, 0xffff
	s_and_b32 s1, s1, 0xffff
	s_mul_i32 s0, s2, s0
	s_mul_i32 s0, s0, s1
	s_cmpk_lg_i32 s0, 0x100
	s_cbranch_scc1 .LBB176_4
; %bb.1:
	s_clause 0x1
	s_load_dwordx2 s[0:1], s[4:5], 0x8
	s_load_dwordx2 s[2:3], s[4:5], 0x58
	s_waitcnt lgkmcnt(0)
	v_cmp_eq_f64_e64 s0, s[0:1], 0
	v_cmp_eq_f64_e64 s1, s[2:3], 1.0
	s_and_b32 s1, s0, s1
	s_and_b32 vcc_lo, exec_lo, s1
	s_cbranch_vccnz .LBB176_4
; %bb.2:
	s_mov_b32 s18, s7
	s_and_b32 vcc_lo, exec_lo, s0
	s_cbranch_vccz .LBB176_5
; %bb.3:
	s_cbranch_execz .LBB176_6
.LBB176_4:
	s_endpgm
.LBB176_5:
.LBB176_6:
	s_clause 0x1
	s_load_dwordx4 s[0:3], s[4:5], 0x18
	s_load_dwordx4 s[12:15], s[4:5], 0x38
	s_mov_b32 s19, 0
	s_lshl_b64 s[10:11], s[18:19], 3
	s_waitcnt lgkmcnt(0)
	s_add_u32 s0, s0, s10
	s_addc_u32 s1, s1, s11
	s_add_u32 s10, s12, s10
	s_addc_u32 s11, s13, s11
	s_lshl_b64 s[14:15], s[14:15], 3
	s_load_dwordx2 s[10:11], s[10:11], 0x0
	s_clause 0x1
	s_load_dwordx2 s[12:13], s[4:5], 0x48
	s_load_dword s19, s[4:5], 0x0
	s_load_dword s28, s[8:9], 0x0
	s_load_dwordx2 s[16:17], s[4:5], 0x28
	s_load_dwordx2 s[8:9], s[0:1], 0x0
	s_waitcnt lgkmcnt(0)
	s_add_u32 s7, s10, s14
	s_addc_u32 s10, s11, s15
	s_lshl_b32 s20, s6, 6
	s_ashr_i32 s29, s19, 31
	v_add_nc_u32_e32 v34, s20, v0
	s_lshr_b32 s0, s29, 26
	s_add_i32 s11, s28, -1
	s_add_i32 s1, s19, s0
	v_cmp_ne_u32_e64 s0, 0, v1
	v_ashrrev_i32_e32 v35, 31, v34
	v_mul_lo_u32 v4, s13, v34
	v_mad_u64_u32 v[2:3], null, s12, v34, 0
	s_andn2_b32 s1, s1, 63
	v_mul_lo_u32 v5, s12, v35
	s_sub_i32 s14, s19, s1
	v_cmp_eq_u32_e64 s1, 0, v1
	s_cmp_eq_u32 s6, s11
	s_cselect_b32 s22, s14, 0
	v_add3_u32 v3, v3, v5, v4
	v_lshlrev_b64 v[2:3], 3, v[2:3]
	v_add_co_u32 v18, vcc_lo, s7, v2
	v_add_co_ci_u32_e64 v19, null, s10, v3, vcc_lo
	s_and_saveexec_b32 s7, s1
	s_cbranch_execz .LBB176_10
; %bb.7:
	v_cmp_gt_i32_e32 vcc_lo, s22, v0
	s_cmp_eq_u32 s22, 0
	v_mov_b32_e32 v2, 0
	v_mov_b32_e32 v3, 0
	s_cselect_b32 s10, -1, 0
	s_or_b32 s11, s10, vcc_lo
	s_and_saveexec_b32 s10, s11
	s_cbranch_execz .LBB176_9
; %bb.8:
	flat_load_dwordx2 v[2:3], v[18:19]
.LBB176_9:
	s_or_b32 exec_lo, exec_lo, s10
	v_lshlrev_b32_e32 v4, 3, v0
	s_waitcnt vmcnt(0) lgkmcnt(0)
	ds_write_b64 v4, v[2:3] offset:9088
.LBB176_10:
	s_or_b32 exec_lo, exec_lo, s7
	v_lshl_add_u32 v24, v1, 6, v0
	v_and_b32_e32 v2, 31, v0
	v_mov_b32_e32 v3, 0
	s_lshl_b64 s[2:3], s[2:3], 3
	s_mul_hi_u32 s7, s16, s20
	v_lshrrev_b32_e32 v13, 5, v24
	s_add_u32 s8, s8, s2
	s_addc_u32 s9, s9, s3
	s_ashr_i32 s21, s20, 31
	s_mul_i32 s10, s17, s20
	v_mad_u64_u32 v[3:4], null, s16, v13, v[2:3]
	s_lshl_b64 s[2:3], s[20:21], 3
	s_mul_i32 s11, s16, s21
	s_add_u32 s8, s8, s2
	s_addc_u32 s9, s9, s3
	s_add_i32 s3, s7, s11
	s_mul_i32 s2, s16, s20
	v_mad_u64_u32 v[4:5], null, s17, v13, v[4:5]
	s_add_i32 s3, s3, s10
	s_lshl_b64 s[24:25], s[2:3], 3
	s_cmp_lg_u32 s22, 0
	s_mov_b32 s2, -1
	s_cselect_b32 s30, -1, 0
	v_lshlrev_b64 v[20:21], 3, v[3:4]
	s_cmp_eq_u32 s22, 0
	s_cselect_b32 s10, -1, 0
	v_add_co_u32 v3, vcc_lo, s8, v20
	v_add_co_ci_u32_e64 v4, null, s9, v21, vcc_lo
	v_add_co_u32 v3, vcc_lo, v3, s24
	v_add_co_ci_u32_e64 v4, null, s25, v4, vcc_lo
	s_and_b32 vcc_lo, exec_lo, s30
	s_cbranch_vccnz .LBB176_12
; %bb.11:
	s_lshl_b64 s[2:3], s[16:17], 6
	v_mul_u32_u24_e32 v14, 0x108, v13
	v_add_co_u32 v5, vcc_lo, v3, s2
	v_add_co_ci_u32_e64 v6, null, s3, v4, vcc_lo
	v_lshl_add_u32 v14, v2, 3, v14
	v_add_co_u32 v7, vcc_lo, v5, s2
	v_add_co_ci_u32_e64 v8, null, s3, v6, vcc_lo
	v_add_co_u32 v9, vcc_lo, v7, s2
	v_add_co_ci_u32_e64 v10, null, s3, v8, vcc_lo
	s_clause 0x3
	flat_load_dwordx2 v[11:12], v[3:4]
	flat_load_dwordx2 v[5:6], v[5:6]
	;; [unrolled: 1-line block ×4, first 2 shown]
	s_mov_b32 s2, 0
	s_waitcnt vmcnt(3) lgkmcnt(3)
	ds_write_b64 v14, v[11:12]
	s_waitcnt vmcnt(2) lgkmcnt(3)
	ds_write_b64 v14, v[5:6] offset:2112
	s_waitcnt vmcnt(1) lgkmcnt(3)
	ds_write_b64 v14, v[7:8] offset:4224
	s_waitcnt vmcnt(0) lgkmcnt(3)
	ds_write_b64 v14, v[9:10] offset:6336
.LBB176_12:
	s_andn2_b32 vcc_lo, exec_lo, s2
	s_cbranch_vccnz .LBB176_22
; %bb.13:
	v_lshlrev_b32_e32 v14, 3, v2
	s_ashr_i32 s23, s22, 31
	v_mov_b32_e32 v7, 0
	s_lshl_b64 s[8:9], s[22:23], 3
	v_mov_b32_e32 v9, 0
	v_sub_co_u32 v5, vcc_lo, v3, v14
	v_subrev_co_ci_u32_e64 v6, null, 0, v4, vcc_lo
	v_mov_b32_e32 v8, 0
	v_add_co_u32 v5, vcc_lo, v5, s8
	v_add_co_ci_u32_e64 v6, null, s9, v6, vcc_lo
	v_mov_b32_e32 v10, 0
	v_add_co_u32 v5, vcc_lo, v5, -8
	v_add_co_ci_u32_e64 v6, null, -1, v6, vcc_lo
	v_cmp_gt_i32_e32 vcc_lo, s22, v2
	s_mov_b32 s3, exec_lo
	v_cndmask_b32_e32 v6, v6, v4, vcc_lo
	v_cndmask_b32_e32 v5, v5, v3, vcc_lo
	v_cmpx_gt_i32_e64 s22, v13
	s_cbranch_execz .LBB176_15
; %bb.14:
	flat_load_dwordx2 v[9:10], v[5:6]
.LBB176_15:
	s_or_b32 exec_lo, exec_lo, s3
	v_lshlrev_b32_e32 v11, 3, v2
	v_add_nc_u32_e32 v15, 8, v13
	v_mul_u32_u24_e32 v12, 0x108, v13
	s_mov_b32 s3, exec_lo
	v_mad_u32_u24 v16, 0x108, v13, v11
	s_waitcnt vmcnt(0) lgkmcnt(0)
	ds_write_b64 v16, v[9:10]
	v_cmpx_gt_i32_e64 s22, v15
	s_cbranch_execz .LBB176_17
; %bb.16:
	s_lshl_b64 s[14:15], s[16:17], 6
	v_add_co_u32 v7, s2, v5, s14
	v_add_co_ci_u32_e64 v8, null, s15, v6, s2
	flat_load_dwordx2 v[7:8], v[7:8]
.LBB176_17:
	s_or_b32 exec_lo, exec_lo, s3
	v_add_nc_u32_e32 v15, v12, v11
	v_mov_b32_e32 v9, 0
	v_mov_b32_e32 v11, 0
	v_add_nc_u32_e32 v16, 16, v13
	v_mov_b32_e32 v10, 0
	v_mov_b32_e32 v12, 0
	s_mov_b32 s3, exec_lo
	s_waitcnt vmcnt(0) lgkmcnt(0)
	ds_write_b64 v15, v[7:8] offset:2112
	v_cmpx_gt_i32_e64 s22, v16
	s_cbranch_execz .LBB176_19
; %bb.18:
	s_lshl_b64 s[14:15], s[16:17], 7
	v_add_co_u32 v7, s2, v5, s14
	v_add_co_ci_u32_e64 v8, null, s15, v6, s2
	flat_load_dwordx2 v[11:12], v[7:8]
.LBB176_19:
	s_or_b32 exec_lo, exec_lo, s3
	v_add_nc_u32_e32 v7, 24, v13
	s_mov_b32 s3, exec_lo
	s_waitcnt vmcnt(0) lgkmcnt(0)
	ds_write_b64 v15, v[11:12] offset:4224
	v_cmpx_gt_i32_e64 s22, v7
	s_cbranch_execz .LBB176_21
; %bb.20:
	v_mad_u64_u32 v[7:8], null, 0xc0, s16, v[5:6]
	v_mad_u64_u32 v[8:9], null, 0xc0, s17, v[8:9]
	flat_load_dwordx2 v[9:10], v[7:8]
.LBB176_21:
	s_or_b32 exec_lo, exec_lo, s3
	v_add_co_u32 v5, s2, v5, v14
	v_add_co_ci_u32_e64 v6, null, 0, v6, s2
	s_waitcnt vmcnt(0) lgkmcnt(0)
	ds_write_b64 v15, v[9:10] offset:6336
	v_sub_co_u32 v5, s2, v5, s8
	v_subrev_co_ci_u32_e64 v6, null, s9, v6, s2
	v_add_co_u32 v5, s2, v5, 8
	v_add_co_ci_u32_e64 v6, null, 0, v6, s2
	v_cndmask_b32_e32 v3, v5, v3, vcc_lo
	v_cndmask_b32_e32 v4, v6, v4, vcc_lo
.LBB176_22:
	v_lshlrev_b32_e32 v12, 3, v2
	v_lshlrev_b32_e32 v11, 2, v13
	s_waitcnt lgkmcnt(0)
	s_barrier
	buffer_gl0_inv
	v_lshl_or_b32 v7, v2, 8, v12
	v_cmp_lt_u32_e64 s3, v11, v2
	v_mad_u32_u24 v6, 0x420, v13, v12
	s_and_saveexec_b32 s2, s3
	s_cbranch_execz .LBB176_24
; %bb.23:
	ds_read_b64 v[8:9], v6
	v_lshl_add_u32 v5, v11, 3, v7
	s_waitcnt lgkmcnt(0)
	ds_write_b64 v5, v[8:9]
.LBB176_24:
	s_or_b32 exec_lo, exec_lo, s2
	v_or_b32_e32 v15, 1, v11
	v_cmp_lt_u32_e64 s7, v15, v2
	v_mad_u32_u24 v5, 0x108, v15, v12
	s_and_saveexec_b32 s2, s7
	s_cbranch_execz .LBB176_26
; %bb.25:
	ds_read_b64 v[8:9], v5
	v_lshl_add_u32 v10, v11, 3, v7
	s_waitcnt lgkmcnt(0)
	ds_write_b64 v10, v[8:9] offset:8
.LBB176_26:
	s_or_b32 exec_lo, exec_lo, s2
	v_or_b32_e32 v8, 2, v11
	v_cmp_lt_u32_e64 s8, v8, v2
	s_and_saveexec_b32 s2, s8
	s_cbranch_execz .LBB176_28
; %bb.27:
	v_mad_u32_u24 v8, 0x108, v8, v12
	v_lshl_add_u32 v10, v11, 3, v7
	ds_read_b64 v[8:9], v8
	s_waitcnt lgkmcnt(0)
	ds_write_b64 v10, v[8:9] offset:16
.LBB176_28:
	s_or_b32 exec_lo, exec_lo, s2
	v_or_b32_e32 v9, 3, v11
	s_mov_b32 s2, exec_lo
                                        ; implicit-def: $vgpr8
	v_cmp_lt_u32_e64 s9, v9, v2
	v_cmpx_ge_u32_e64 v9, v2
	s_xor_b32 s2, exec_lo, s2
; %bb.29:
	v_mul_u32_u24_e32 v8, 0x108, v9
                                        ; implicit-def: $vgpr7
                                        ; implicit-def: $vgpr9
; %bb.30:
	s_andn2_saveexec_b32 s2, s2
	s_cbranch_execz .LBB176_32
; %bb.31:
	v_mad_u32_u24 v8, 0x108, v9, v12
	v_lshl_add_u32 v7, v11, 3, v7
	ds_read_b64 v[16:17], v8
	v_mul_u32_u24_e32 v8, 0x108, v9
	s_waitcnt lgkmcnt(0)
	ds_write_b64 v7, v[16:17] offset:24
.LBB176_32:
	s_or_b32 exec_lo, exec_lo, s2
	v_lshlrev_b32_e32 v14, 3, v11
	s_waitcnt lgkmcnt(0)
	s_barrier
	buffer_gl0_inv
	ds_read_b64 v[22:23], v6
	ds_read_b128 v[25:28], v14 offset:9088
	v_add_nc_u32_e32 v16, v12, v8
	ds_read_b128 v[6:9], v14 offset:9104
	ds_read_b64 v[36:37], v16
	ds_read2_b64 v[29:32], v5 offset1:33
	v_cmp_gt_u32_e64 s2, 32, v24
	s_waitcnt lgkmcnt(0)
	s_barrier
	buffer_gl0_inv
	v_fma_f64 v[22:23], v[22:23], v[25:26], 0
	v_fma_f64 v[22:23], v[29:30], v[27:28], v[22:23]
	;; [unrolled: 1-line block ×3, first 2 shown]
	v_mul_u32_u24_e32 v7, 33, v2
	v_lshlrev_b32_e32 v25, 3, v7
	v_lshl_add_u32 v26, v13, 3, v25
	v_fma_f64 v[5:6], v[36:37], v[8:9], v[5:6]
	v_mov_b32_e32 v36, 0
	v_mov_b32_e32 v37, 0
	ds_write_b64 v26, v[5:6]
	s_waitcnt lgkmcnt(0)
	s_barrier
	buffer_gl0_inv
	s_and_saveexec_b32 s11, s2
	s_cbranch_execz .LBB176_34
; %bb.33:
	ds_read2_b64 v[5:8], v25 offset1:1
	ds_read2_b64 v[27:30], v25 offset0:2 offset1:3
	s_waitcnt lgkmcnt(1)
	v_add_f64 v[5:6], v[5:6], v[7:8]
	s_waitcnt lgkmcnt(0)
	v_add_f64 v[5:6], v[5:6], v[27:28]
	v_add_f64 v[9:10], v[5:6], v[29:30]
	ds_read2_b64 v[5:8], v25 offset0:4 offset1:5
	ds_read2_b64 v[27:30], v25 offset0:6 offset1:7
	s_waitcnt lgkmcnt(1)
	v_add_f64 v[5:6], v[9:10], v[5:6]
	v_add_f64 v[5:6], v[5:6], v[7:8]
	s_waitcnt lgkmcnt(0)
	v_add_f64 v[5:6], v[5:6], v[27:28]
	v_add_f64 v[36:37], v[5:6], v[29:30]
.LBB176_34:
	s_or_b32 exec_lo, exec_lo, s11
	s_lshl_b64 s[14:15], s[16:17], 8
	v_cndmask_b32_e64 v17, 0, 1, s10
	v_add_co_u32 v3, vcc_lo, v3, s14
	v_add_co_ci_u32_e64 v4, null, s15, v4, vcc_lo
	v_add_co_u32 v22, vcc_lo, 0x100, v3
	v_add_co_ci_u32_e64 v23, null, 0, v4, vcc_lo
	s_andn2_b32 vcc_lo, exec_lo, s10
	s_mov_b32 s10, -1
	s_barrier
	buffer_gl0_inv
	s_cbranch_vccnz .LBB176_36
; %bb.35:
	s_lshl_b64 s[10:11], s[16:17], 6
	v_mad_u32_u24 v29, 0x108, v13, v12
	v_add_co_u32 v5, vcc_lo, v3, s10
	v_add_co_ci_u32_e64 v6, null, s11, v4, vcc_lo
	v_add_co_u32 v7, vcc_lo, v5, s10
	v_add_co_ci_u32_e64 v8, null, s11, v6, vcc_lo
	;; [unrolled: 2-line block ×3, first 2 shown]
	s_clause 0x3
	flat_load_dwordx2 v[27:28], v[3:4] offset:256
	flat_load_dwordx2 v[5:6], v[5:6] offset:256
	;; [unrolled: 1-line block ×4, first 2 shown]
	s_mov_b32 s10, 0
	s_waitcnt vmcnt(3) lgkmcnt(3)
	ds_write_b64 v29, v[27:28]
	s_waitcnt vmcnt(2) lgkmcnt(3)
	ds_write_b64 v29, v[5:6] offset:2112
	s_waitcnt vmcnt(1) lgkmcnt(3)
	ds_write_b64 v29, v[7:8] offset:4224
	s_waitcnt vmcnt(0) lgkmcnt(3)
	ds_write_b64 v29, v[9:10] offset:6336
.LBB176_36:
	s_andn2_b32 vcc_lo, exec_lo, s10
	s_cbranch_vccnz .LBB176_46
; %bb.37:
	v_lshlrev_b32_e32 v27, 3, v2
	s_ashr_i32 s23, s22, 31
	v_or_b32_e32 v5, 32, v2
	s_lshl_b64 s[26:27], s[22:23], 3
	v_mov_b32_e32 v7, 0
	v_sub_co_u32 v3, vcc_lo, v3, v27
	v_subrev_co_ci_u32_e64 v4, null, 0, v4, vcc_lo
	v_mov_b32_e32 v8, 0
	v_add_co_u32 v3, vcc_lo, v3, s26
	v_add_co_ci_u32_e64 v4, null, s27, v4, vcc_lo
	s_sub_i32 s11, s22, 32
	v_add_co_u32 v3, vcc_lo, v3, -8
	v_add_co_ci_u32_e64 v4, null, -1, v4, vcc_lo
	v_cmp_gt_i32_e32 vcc_lo, s22, v5
	v_mov_b32_e32 v5, 0
	v_mov_b32_e32 v6, 0
	s_mov_b32 s23, exec_lo
	v_cndmask_b32_e32 v4, v4, v23, vcc_lo
	v_cndmask_b32_e32 v3, v3, v22, vcc_lo
	v_cmpx_gt_i32_e64 s11, v13
	s_cbranch_execz .LBB176_39
; %bb.38:
	flat_load_dwordx2 v[7:8], v[3:4]
.LBB176_39:
	s_or_b32 exec_lo, exec_lo, s23
	v_add_nc_u32_e32 v10, 8, v13
	v_mul_u32_u24_e32 v9, 0x108, v13
	v_mad_u32_u24 v28, 0x108, v13, v12
	s_mov_b32 s23, exec_lo
	s_waitcnt vmcnt(0) lgkmcnt(0)
	ds_write_b64 v28, v[7:8]
	v_cmpx_gt_i32_e64 s11, v10
	s_cbranch_execz .LBB176_41
; %bb.40:
	s_lshl_b64 s[34:35], s[16:17], 6
	v_add_co_u32 v5, s10, v3, s34
	v_add_co_ci_u32_e64 v6, null, s35, v4, s10
	flat_load_dwordx2 v[5:6], v[5:6]
.LBB176_41:
	s_or_b32 exec_lo, exec_lo, s23
	v_add_nc_u32_e32 v28, v9, v12
	v_mov_b32_e32 v7, 0
	v_mov_b32_e32 v9, 0
	v_add_nc_u32_e32 v29, 16, v13
	v_mov_b32_e32 v8, 0
	v_mov_b32_e32 v10, 0
	s_mov_b32 s23, exec_lo
	s_waitcnt vmcnt(0) lgkmcnt(0)
	ds_write_b64 v28, v[5:6] offset:2112
	v_cmpx_gt_i32_e64 s11, v29
	s_cbranch_execz .LBB176_43
; %bb.42:
	s_lshl_b64 s[34:35], s[16:17], 7
	v_add_co_u32 v5, s10, v3, s34
	v_add_co_ci_u32_e64 v6, null, s35, v4, s10
	flat_load_dwordx2 v[9:10], v[5:6]
.LBB176_43:
	s_or_b32 exec_lo, exec_lo, s23
	v_add_nc_u32_e32 v5, 24, v13
	s_waitcnt vmcnt(0) lgkmcnt(0)
	ds_write_b64 v28, v[9:10] offset:4224
	v_cmp_gt_i32_e64 s10, s11, v5
	s_and_saveexec_b32 s11, s10
	s_cbranch_execz .LBB176_45
; %bb.44:
	v_mad_u64_u32 v[5:6], null, 0xc0, s16, v[3:4]
	v_mad_u64_u32 v[6:7], null, 0xc0, s17, v[6:7]
	flat_load_dwordx2 v[7:8], v[5:6]
.LBB176_45:
	s_or_b32 exec_lo, exec_lo, s11
	v_add_co_u32 v3, s10, v3, v27
	v_add_co_ci_u32_e64 v4, null, 0, v4, s10
	s_waitcnt vmcnt(0) lgkmcnt(0)
	ds_write_b64 v28, v[7:8] offset:6336
	v_sub_co_u32 v3, s10, v3, s26
	v_subrev_co_ci_u32_e64 v4, null, s27, v4, s10
	v_add_co_u32 v3, s10, 0x108, v3
	v_add_co_ci_u32_e64 v4, null, 0, v4, s10
	v_cndmask_b32_e32 v22, v3, v22, vcc_lo
	v_cndmask_b32_e32 v23, v4, v23, vcc_lo
.LBB176_46:
	v_mul_u32_u24_e32 v4, 0x420, v13
	v_add_nc_u32_e32 v14, 0x2380, v14
	v_mul_u32_u24_e32 v3, 0x108, v15
	s_lshl_b64 s[10:11], s[16:17], 5
	s_waitcnt lgkmcnt(0)
	v_add_nc_u32_e32 v4, v12, v4
	s_barrier
	buffer_gl0_inv
	s_and_saveexec_b32 s23, s3
	s_cbranch_execnz .LBB176_55
; %bb.47:
	s_or_b32 exec_lo, exec_lo, s23
	v_add_nc_u32_e32 v3, v12, v3
	s_and_saveexec_b32 s3, s7
	s_cbranch_execnz .LBB176_56
.LBB176_48:
	s_or_b32 exec_lo, exec_lo, s3
	s_and_saveexec_b32 s3, s8
	s_cbranch_execnz .LBB176_57
.LBB176_49:
	s_or_b32 exec_lo, exec_lo, s3
	s_and_saveexec_b32 s3, s9
	s_cbranch_execz .LBB176_51
.LBB176_50:
	ds_read_b64 v[5:6], v16
	v_lshl_add_u32 v7, v11, 3, v25
	s_waitcnt lgkmcnt(0)
	ds_write_b64 v7, v[5:6] offset:24
.LBB176_51:
	s_or_b32 exec_lo, exec_lo, s3
	s_waitcnt lgkmcnt(0)
	s_barrier
	buffer_gl0_inv
	ds_read_b64 v[8:9], v4
	ds_read_b128 v[4:7], v14 offset:256
	ds_read_b128 v[27:30], v14 offset:272
	ds_read_b64 v[15:16], v16
	ds_read2_b64 v[38:41], v3 offset1:33
	v_cmp_eq_u32_e64 s3, 1, v13
	s_waitcnt lgkmcnt(0)
	s_barrier
	buffer_gl0_inv
	v_fma_f64 v[4:5], v[8:9], v[4:5], 0
	v_fma_f64 v[3:4], v[38:39], v[6:7], v[4:5]
	;; [unrolled: 1-line block ×4, first 2 shown]
	ds_write_b64 v26, v[3:4]
	s_waitcnt lgkmcnt(0)
	s_barrier
	buffer_gl0_inv
	s_and_saveexec_b32 s7, s3
	s_cbranch_execz .LBB176_53
; %bb.52:
	ds_read2_b64 v[3:6], v25 offset1:1
	ds_read2_b64 v[7:10], v25 offset0:2 offset1:3
	s_waitcnt lgkmcnt(1)
	v_add_f64 v[3:4], v[3:4], v[5:6]
	s_waitcnt lgkmcnt(0)
	v_add_f64 v[3:4], v[3:4], v[7:8]
	v_add_f64 v[15:16], v[3:4], v[9:10]
	ds_read2_b64 v[3:6], v25 offset0:4 offset1:5
	ds_read2_b64 v[7:10], v25 offset0:6 offset1:7
	s_waitcnt lgkmcnt(1)
	v_add_f64 v[3:4], v[15:16], v[3:4]
	v_add_f64 v[3:4], v[3:4], v[5:6]
	s_waitcnt lgkmcnt(0)
	v_add_f64 v[3:4], v[3:4], v[7:8]
	v_add_f64 v[36:37], v[3:4], v[9:10]
.LBB176_53:
	s_or_b32 exec_lo, exec_lo, s7
	s_lshl_b64 s[8:9], s[10:11], 3
	v_cmp_ne_u32_e32 vcc_lo, 1, v17
	v_sub_co_u32 v22, s7, v22, s8
	v_subrev_co_ci_u32_e64 v23, null, s9, v23, s7
	s_barrier
	buffer_gl0_inv
	s_cbranch_vccnz .LBB176_58
; %bb.54:
	s_lshl_b64 s[8:9], s[16:17], 6
	flat_load_dwordx2 v[5:6], v[22:23]
	v_add_co_u32 v3, vcc_lo, v22, s8
	v_add_co_ci_u32_e64 v4, null, s9, v23, vcc_lo
	s_movk_i32 s7, 0x840
	v_add_co_u32 v7, vcc_lo, v3, s8
	v_add_co_ci_u32_e64 v8, null, s9, v4, vcc_lo
	v_mad_u32_u24 v27, 0x108, v13, s7
	v_add_co_u32 v9, vcc_lo, v7, s8
	v_add_co_ci_u32_e64 v10, null, s9, v8, vcc_lo
	s_movk_i32 s7, 0x18c0
	s_clause 0x2
	flat_load_dwordx2 v[28:29], v[3:4]
	flat_load_dwordx2 v[30:31], v[7:8]
	;; [unrolled: 1-line block ×3, first 2 shown]
	v_mad_u32_u24 v3, 0x108, v13, v12
	s_movk_i32 s8, 0x1080
	v_mul_u32_u24_e32 v15, 0x108, v13
	v_mad_u32_u24 v7, 0x108, v13, s8
	v_add_nc_u32_e32 v16, 8, v13
	v_add_nc_u32_e32 v4, v12, v27
	;; [unrolled: 1-line block ×4, first 2 shown]
	s_waitcnt vmcnt(3) lgkmcnt(3)
	ds_write_b64 v3, v[5:6]
	v_mad_u32_u24 v3, 0x108, v13, s7
	v_add_nc_u32_e32 v5, v12, v7
	s_waitcnt vmcnt(2) lgkmcnt(3)
	ds_write_b64 v4, v[28:29]
	s_waitcnt vmcnt(1) lgkmcnt(3)
	ds_write_b64 v5, v[30:31]
	v_add_nc_u32_e32 v6, v12, v3
	s_waitcnt vmcnt(0) lgkmcnt(3)
	ds_write_b64 v6, v[9:10]
	s_cbranch_execz .LBB176_59
	s_branch .LBB176_68
.LBB176_55:
	ds_read_b64 v[5:6], v4
	v_lshl_add_u32 v7, v11, 3, v25
	s_waitcnt lgkmcnt(0)
	ds_write_b64 v7, v[5:6]
	s_or_b32 exec_lo, exec_lo, s23
	v_add_nc_u32_e32 v3, v12, v3
	s_and_saveexec_b32 s3, s7
	s_cbranch_execz .LBB176_48
.LBB176_56:
	ds_read_b64 v[5:6], v3
	v_lshl_add_u32 v7, v11, 3, v25
	s_waitcnt lgkmcnt(0)
	ds_write_b64 v7, v[5:6] offset:8
	s_or_b32 exec_lo, exec_lo, s3
	s_and_saveexec_b32 s3, s8
	s_cbranch_execz .LBB176_49
.LBB176_57:
	ds_read_b64 v[5:6], v3 offset:264
	v_lshl_add_u32 v7, v11, 3, v25
	s_waitcnt lgkmcnt(0)
	ds_write_b64 v7, v[5:6] offset:16
	s_or_b32 exec_lo, exec_lo, s3
	s_and_saveexec_b32 s3, s9
	s_cbranch_execnz .LBB176_50
	s_branch .LBB176_51
.LBB176_58:
                                        ; implicit-def: $vgpr15
                                        ; implicit-def: $vgpr16
                                        ; implicit-def: $vgpr27
                                        ; implicit-def: $vgpr17
                                        ; implicit-def: $vgpr7
                                        ; implicit-def: $vgpr8
                                        ; implicit-def: $vgpr3
.LBB176_59:
	v_or_b32_e32 v3, 32, v2
	s_ashr_i32 s23, s22, 31
	v_mov_b32_e32 v7, 0
	s_lshl_b64 s[8:9], s[22:23], 3
	v_mov_b32_e32 v8, 0
	v_lshlrev_b32_e32 v4, 3, v3
	s_mov_b32 s10, exec_lo
	v_sub_co_u32 v4, vcc_lo, v22, v4
	v_subrev_co_ci_u32_e64 v5, null, 0, v23, vcc_lo
	v_add_co_u32 v4, vcc_lo, v4, s8
	v_add_co_ci_u32_e64 v5, null, s9, v5, vcc_lo
	v_add_co_u32 v9, vcc_lo, v4, -8
	v_add_co_ci_u32_e64 v4, null, -1, v5, vcc_lo
	v_cmp_gt_i32_e32 vcc_lo, s22, v3
	v_mov_b32_e32 v5, 0
	v_mov_b32_e32 v6, 0
	v_cndmask_b32_e32 v4, v4, v23, vcc_lo
	v_cndmask_b32_e32 v3, v9, v22, vcc_lo
	v_cmpx_gt_i32_e64 s22, v13
	s_cbranch_execz .LBB176_61
; %bb.60:
	flat_load_dwordx2 v[5:6], v[3:4]
.LBB176_61:
	s_or_b32 exec_lo, exec_lo, s10
	v_add_nc_u32_e32 v16, 8, v13
	v_mul_u32_u24_e32 v15, 0x108, v13
	v_mad_u32_u24 v9, 0x108, v13, v12
	s_mov_b32 s10, exec_lo
	s_waitcnt vmcnt(0) lgkmcnt(0)
	ds_write_b64 v9, v[5:6]
	v_cmpx_gt_i32_e64 s22, v16
	s_cbranch_execz .LBB176_63
; %bb.62:
	s_lshl_b64 s[26:27], s[16:17], 6
	v_add_co_u32 v5, s7, v3, s26
	v_add_co_ci_u32_e64 v6, null, s27, v4, s7
	flat_load_dwordx2 v[7:8], v[5:6]
.LBB176_63:
	s_or_b32 exec_lo, exec_lo, s10
	v_add_nc_u32_e32 v27, 0x840, v15
	v_mov_b32_e32 v5, 0
	v_mov_b32_e32 v9, 0
	v_add_nc_u32_e32 v17, 16, v13
	v_mov_b32_e32 v6, 0
	v_add_nc_u32_e32 v28, v12, v27
	v_mov_b32_e32 v10, 0
	s_mov_b32 s10, exec_lo
	s_waitcnt vmcnt(0) lgkmcnt(0)
	ds_write_b64 v28, v[7:8]
	v_cmpx_gt_i32_e64 s22, v17
	s_cbranch_execz .LBB176_65
; %bb.64:
	s_lshl_b64 s[26:27], s[16:17], 7
	v_add_co_u32 v7, s7, v3, s26
	v_add_co_ci_u32_e64 v8, null, s27, v4, s7
	flat_load_dwordx2 v[9:10], v[7:8]
.LBB176_65:
	s_or_b32 exec_lo, exec_lo, s10
	v_add_nc_u32_e32 v7, 0x840, v27
	v_add_nc_u32_e32 v8, 24, v13
	s_mov_b32 s10, exec_lo
	v_add_nc_u32_e32 v28, v12, v7
	s_waitcnt vmcnt(0) lgkmcnt(0)
	ds_write_b64 v28, v[9:10]
	v_cmpx_gt_i32_e64 s22, v8
	s_cbranch_execz .LBB176_67
; %bb.66:
	v_mad_u64_u32 v[5:6], null, 0xc0, s16, v[3:4]
	v_mad_u64_u32 v[9:10], null, 0xc0, s17, v[6:7]
	v_mov_b32_e32 v6, v9
	flat_load_dwordx2 v[5:6], v[5:6]
.LBB176_67:
	s_or_b32 exec_lo, exec_lo, s10
	v_lshlrev_b32_e32 v2, 3, v2
	v_add_co_u32 v2, s7, v3, v2
	v_add_co_ci_u32_e64 v3, null, 0, v4, s7
	v_sub_co_u32 v2, s7, v2, s8
	v_subrev_co_ci_u32_e64 v4, null, s9, v3, s7
	v_add_nc_u32_e32 v3, 0x840, v7
	v_add_co_u32 v2, s7, 0x108, v2
	v_add_co_ci_u32_e64 v4, null, 0, v4, s7
	v_add_nc_u32_e32 v9, v12, v3
	v_cndmask_b32_e32 v22, v2, v22, vcc_lo
	v_cndmask_b32_e32 v23, v4, v23, vcc_lo
	s_waitcnt vmcnt(0) lgkmcnt(0)
	ds_write_b64 v9, v[5:6]
.LBB176_68:
	v_add_nc_u32_e32 v2, v12, v15
	v_lshlrev_b32_e32 v6, 3, v13
	s_waitcnt lgkmcnt(0)
	s_barrier
	buffer_gl0_inv
	ds_read_b64 v[4:5], v2
	ds_read_b64 v[9:10], v6 offset:9088
	v_add_nc_u32_e32 v2, v12, v27
	v_lshlrev_b32_e32 v6, 3, v16
	v_lshlrev_b32_e32 v8, 3, v8
	ds_read_b64 v[15:16], v2
	ds_read_b64 v[27:28], v6 offset:9088
	v_add_nc_u32_e32 v2, v12, v7
	s_waitcnt lgkmcnt(2)
	v_fma_f64 v[4:5], v[4:5], v[9:10], 0
	v_lshlrev_b32_e32 v9, 3, v17
	ds_read_b64 v[6:7], v2
	ds_read_b64 v[9:10], v9 offset:9088
	v_add_nc_u32_e32 v2, v12, v3
	ds_read_b64 v[2:3], v2
	ds_read_b64 v[12:13], v8 offset:9088
	s_waitcnt lgkmcnt(4)
	v_fma_f64 v[4:5], v[15:16], v[27:28], v[4:5]
	s_waitcnt lgkmcnt(2)
	v_fma_f64 v[4:5], v[6:7], v[9:10], v[4:5]
	v_lshl_add_u32 v6, v11, 3, v25
	s_waitcnt lgkmcnt(0)
	v_fma_f64 v[27:28], v[2:3], v[12:13], v[4:5]
	ds_read_b128 v[10:13], v14 offset:256
	ds_read_b128 v[2:5], v14 offset:272
	ds_read2_b64 v[14:17], v6 offset1:1
	ds_read2_b64 v[6:9], v6 offset0:2 offset1:3
	s_waitcnt lgkmcnt(0)
	s_barrier
	buffer_gl0_inv
	ds_write_b64 v26, v[27:28]
	s_waitcnt lgkmcnt(0)
	s_barrier
	buffer_gl0_inv
	s_and_saveexec_b32 s7, s3
	s_cbranch_execz .LBB176_70
; %bb.69:
	ds_read2_b64 v[27:30], v25 offset1:1
	ds_read2_b64 v[38:41], v25 offset0:2 offset1:3
	s_waitcnt lgkmcnt(1)
	v_add_f64 v[27:28], v[36:37], v[27:28]
	v_add_f64 v[27:28], v[27:28], v[29:30]
	s_waitcnt lgkmcnt(0)
	v_add_f64 v[27:28], v[27:28], v[38:39]
	v_add_f64 v[31:32], v[27:28], v[40:41]
	ds_read2_b64 v[27:30], v25 offset0:4 offset1:5
	ds_read2_b64 v[36:39], v25 offset0:6 offset1:7
	s_waitcnt lgkmcnt(1)
	v_add_f64 v[27:28], v[31:32], v[27:28]
	v_add_f64 v[27:28], v[27:28], v[29:30]
	s_waitcnt lgkmcnt(0)
	v_add_f64 v[27:28], v[27:28], v[36:37]
	v_add_f64 v[36:37], v[27:28], v[38:39]
.LBB176_70:
	s_or_b32 exec_lo, exec_lo, s7
	v_fma_f64 v[10:11], v[14:15], v[10:11], 0
	s_barrier
	buffer_gl0_inv
	v_fma_f64 v[10:11], v[16:17], v[12:13], v[10:11]
	v_fma_f64 v[2:3], v[6:7], v[2:3], v[10:11]
	;; [unrolled: 1-line block ×3, first 2 shown]
	ds_write_b64 v26, v[2:3]
	s_waitcnt lgkmcnt(0)
	s_barrier
	buffer_gl0_inv
	s_and_saveexec_b32 s3, s2
	s_cbranch_execz .LBB176_72
; %bb.71:
	ds_read2_b64 v[2:5], v25 offset1:1
	ds_read2_b64 v[6:9], v25 offset0:2 offset1:3
	s_waitcnt lgkmcnt(1)
	v_add_f64 v[2:3], v[36:37], v[2:3]
	v_add_f64 v[2:3], v[2:3], v[4:5]
	s_waitcnt lgkmcnt(0)
	v_add_f64 v[2:3], v[2:3], v[6:7]
	v_add_f64 v[10:11], v[2:3], v[8:9]
	ds_read2_b64 v[2:5], v25 offset0:4 offset1:5
	ds_read2_b64 v[6:9], v25 offset0:6 offset1:7
	s_waitcnt lgkmcnt(1)
	v_add_f64 v[2:3], v[10:11], v[2:3]
	v_add_f64 v[2:3], v[2:3], v[4:5]
	s_waitcnt lgkmcnt(0)
	v_add_f64 v[2:3], v[2:3], v[6:7]
	v_add_f64 v[36:37], v[2:3], v[8:9]
.LBB176_72:
	s_or_b32 exec_lo, exec_lo, s3
	s_load_dwordx2 s[2:3], s[4:5], 0x68
	s_mul_hi_u32 s4, s19, s18
	s_mul_i32 s29, s29, s18
	s_mul_i32 s5, s19, s18
	s_add_i32 s4, s4, s29
	s_mul_hi_u32 s7, s5, s28
	s_mul_i32 s8, s4, s28
	s_mul_i32 s4, s5, s28
	s_add_i32 s5, s7, s8
	s_mul_i32 s8, s19, s6
	s_lshl_b64 s[4:5], s[4:5], 3
	v_cmp_le_i32_e32 vcc_lo, s22, v0
	v_lshlrev_b32_e32 v74, 3, v0
	s_waitcnt lgkmcnt(0)
	s_barrier
	buffer_gl0_inv
	s_add_u32 s4, s2, s4
	s_addc_u32 s5, s3, s5
	s_ashr_i32 s9, s8, 31
	s_lshl_b64 s[2:3], s[8:9], 3
	s_add_u32 s7, s4, s2
	s_addc_u32 s26, s5, s3
	s_and_b32 vcc_lo, s30, vcc_lo
	s_cmp_lt_i32 s6, 1
	s_cbranch_scc1 .LBB176_79
; %bb.73:
	v_lshlrev_b32_e32 v4, 2, v1
	s_ashr_i32 s23, s22, 31
	s_mul_i32 s3, s12, s21
	s_lshl_b64 s[8:9], s[22:23], 3
	s_mul_hi_u32 s5, s12, s20
	v_mad_u64_u32 v[2:3], null, s16, v4, 0
	s_mul_i32 s10, s13, s20
	s_add_i32 s3, s5, s3
	s_mul_hi_u32 s18, s16, 24
	s_add_i32 s5, s3, s10
	s_mul_i32 s3, s17, 24
	s_mul_i32 s4, s12, s20
	v_mad_u64_u32 v[3:4], null, s17, v4, v[3:4]
	v_sub_co_u32 v4, s2, v22, s24
	v_subrev_co_ci_u32_e64 v7, null, s25, v23, s2
	s_add_i32 s20, s18, s3
	v_add_co_u32 v4, s2, 0xffffff00, v4
	v_add_co_ci_u32_e64 v7, null, -1, v7, s2
	v_lshlrev_b64 v[2:3], 3, v[2:3]
	v_sub_co_u32 v4, s2, v4, v20
	v_sub_co_ci_u32_e64 v7, null, v7, v21, s2
	s_mul_i32 s3, s17, 0x90
	v_add_co_u32 v2, s2, v4, v2
	v_add_co_ci_u32_e64 v3, null, v7, v3, s2
	s_mul_hi_u32 s22, s16, 0x90
	v_add_co_u32 v4, s2, v2, s8
	v_add_co_ci_u32_e64 v7, null, s9, v3, s2
	v_add_co_u32 v2, s2, v2, v74
	v_add_co_ci_u32_e64 v3, null, 0, v3, s2
	v_add_co_u32 v4, s2, v4, -8
	v_lshrrev_b32_e32 v5, 4, v24
	v_add_co_ci_u32_e64 v7, null, -1, v7, s2
	s_add_i32 s22, s22, s3
	s_mul_i32 s3, s17, 0x98
	s_mul_hi_u32 s24, s16, 0x98
	s_mul_hi_u32 s27, s16, 0x110
	s_add_i32 s24, s24, s3
	s_mul_i32 s3, s17, 0x110
	s_mul_hi_u32 s29, s16, 0x118
	s_add_i32 s27, s27, s3
	s_mul_i32 s3, s17, 0x118
	v_and_b32_e32 v6, 15, v0
	v_cndmask_b32_e32 v41, v3, v7, vcc_lo
	v_cndmask_b32_e32 v40, v2, v4, vcc_lo
	v_and_b32_e32 v2, 48, v0
	v_lshlrev_b32_e32 v3, 5, v5
	s_add_i32 s29, s29, s3
	s_mul_i32 s3, s17, 0x180
	s_mul_hi_u32 s31, s16, 0x180
	s_mul_hi_u32 s34, s16, 0x190
	s_add_i32 s31, s31, s3
	s_mul_i32 s3, s17, 0x190
	v_lshlrev_b32_e32 v2, 3, v2
	v_or_b32_e32 v4, 0x78, v74
	v_mad_u32_u24 v81, 0x218, v6, v3
	v_mul_i32_i24_e32 v3, 0xffffffe8, v5
	s_add_i32 s34, s34, s3
	s_mul_i32 s3, s17, 0x198
	s_mul_hi_u32 s36, s16, 0x198
	s_lshl_b64 s[4:5], s[4:5], 3
	s_add_i32 s36, s36, s3
	s_mul_i32 s3, s17, 0x188
	s_mul_hi_u32 s38, s16, 0x188
	v_sub_co_u32 v75, s2, v18, s4
	s_add_i32 s38, s38, s3
	s_mul_i32 s3, s17, 0x108
	s_mul_hi_u32 s40, s16, 0x108
	v_mov_b32_e32 v39, 0
	v_subrev_co_ci_u32_e64 v76, null, s5, v19, s2
	v_add_nc_u32_e32 v77, 0x2180, v74
	v_lshl_add_u32 v78, v1, 5, 0x2180
	v_add_nc_u32_e32 v79, 0x2380, v74
	v_mad_u32_u24 v80, 0x860, v1, v74
	v_cmp_gt_u32_e64 s2, 64, v24
	v_mad_u32_u24 v82, 0x218, v6, v2
	v_mad_u32_u24 v83, 0x218, v6, v4
	v_add_nc_u32_e32 v84, v81, v3
	s_lshl_b64 s[4:5], s[16:17], 3
	s_lshl_b64 s[8:9], s[16:17], 4
	;; [unrolled: 1-line block ×4, first 2 shown]
	s_add_i32 s40, s40, s3
	s_mul_i32 s3, s17, 0x88
	s_mul_hi_u32 s17, s16, 0x88
	s_mul_i32 s21, s16, 24
	s_mul_i32 s23, s16, 0x90
	;; [unrolled: 1-line block ×10, first 2 shown]
	s_add_i32 s17, s17, s3
	s_mulk_i32 s16, 0x88
	s_mov_b32 s42, 0
	s_branch .LBB176_75
.LBB176_74:                             ;   in Loop: Header=BB176_75 Depth=1
	s_or_b32 exec_lo, exec_lo, s43
	v_fma_f64 v[6:7], v[42:43], v[6:7], v[36:37]
	v_add_co_u32 v40, s3, v40, s10
	v_add_co_ci_u32_e64 v41, null, s11, v41, s3
	s_add_i32 s6, s6, -1
	s_add_i32 s42, s42, 64
	s_cmp_eq_u32 s6, 0
	s_waitcnt_vscnt null, 0x0
	s_barrier
	buffer_gl0_inv
	v_fma_f64 v[6:7], v[44:45], v[8:9], v[6:7]
	v_fma_f64 v[2:3], v[46:47], v[2:3], v[6:7]
	;; [unrolled: 1-line block ×15, first 2 shown]
	s_cbranch_scc1 .LBB176_79
.LBB176_75:                             ; =>This Inner Loop Header: Depth=1
	s_and_saveexec_b32 s43, s1
	s_cbranch_execz .LBB176_77
; %bb.76:                               ;   in Loop: Header=BB176_75 Depth=1
	s_mul_i32 s3, s13, s42
	s_mul_hi_u32 s45, s12, s42
	s_mul_i32 s44, s12, s42
	s_add_i32 s45, s45, s3
	s_lshl_b64 s[44:45], s[44:45], 3
	v_add_co_u32 v2, s3, v75, s44
	v_add_co_ci_u32_e64 v3, null, s45, v76, s3
	flat_load_dwordx2 v[2:3], v[2:3]
	s_waitcnt vmcnt(0) lgkmcnt(0)
	ds_write_b64 v77, v[2:3]
.LBB176_77:                             ;   in Loop: Header=BB176_75 Depth=1
	s_or_b32 exec_lo, exec_lo, s43
	v_add_co_u32 v2, s3, v40, s4
	v_add_co_ci_u32_e64 v3, null, s5, v41, s3
	v_add_co_u32 v4, s3, v40, s8
	v_add_co_ci_u32_e64 v5, null, s9, v41, s3
	;; [unrolled: 2-line block ×3, first 2 shown]
	s_waitcnt lgkmcnt(0)
	s_barrier
	buffer_gl0_inv
	s_clause 0x3
	flat_load_dwordx2 v[42:43], v[40:41]
	flat_load_dwordx2 v[44:45], v[2:3]
	;; [unrolled: 1-line block ×4, first 2 shown]
	ds_read_b64 v[2:3], v79
	v_add_co_u32 v18, s3, v40, s18
	v_add_co_ci_u32_e64 v19, null, s19, v41, s3
	v_add_co_u32 v20, s3, v40, s16
	v_add_co_ci_u32_e64 v21, null, s17, v41, s3
	v_add_co_u32 v22, s3, v40, s23
	v_add_co_ci_u32_e64 v23, null, s22, v41, s3
	v_add_co_u32 v24, s3, v40, s25
	v_add_co_ci_u32_e64 v25, null, s24, v41, s3
	v_add_co_u32 v26, s3, v40, s14
	v_add_co_ci_u32_e64 v27, null, s15, v41, s3
	v_add_co_u32 v28, s3, v40, s41
	v_add_co_ci_u32_e64 v29, null, s40, v41, s3
	v_add_co_u32 v30, s3, v40, s28
	v_add_co_ci_u32_e64 v31, null, s27, v41, s3
	v_add_co_u32 v32, s3, v40, s30
	v_add_co_ci_u32_e64 v33, null, s29, v41, s3
	v_add_co_u32 v66, s3, v40, s33
	v_add_co_ci_u32_e64 v67, null, s31, v41, s3
	v_add_co_u32 v68, s3, v40, s39
	v_add_co_ci_u32_e64 v69, null, s38, v41, s3
	v_add_co_u32 v70, s3, v40, s35
	v_add_co_ci_u32_e64 v71, null, s34, v41, s3
	v_add_co_u32 v72, s3, v40, s37
	v_add_co_ci_u32_e64 v73, null, s36, v41, s3
	s_waitcnt vmcnt(3) lgkmcnt(0)
	v_mul_f64 v[10:11], v[42:43], v[2:3]
	s_waitcnt vmcnt(2)
	v_mul_f64 v[12:13], v[44:45], v[2:3]
	s_waitcnt vmcnt(1)
	;; [unrolled: 2-line block ×3, first 2 shown]
	v_mul_f64 v[16:17], v[48:49], v[2:3]
	ds_read_b128 v[6:9], v78
	ds_read_b128 v[2:5], v78 offset:16
	ds_write2_b64 v80, v[10:11], v[12:13] offset1:67
	ds_write2_b64 v80, v[14:15], v[16:17] offset0:134 offset1:201
	s_waitcnt lgkmcnt(0)
	s_barrier
	buffer_gl0_inv
	ds_read2_b64 v[85:88], v81 offset1:1
	ds_read2_b64 v[89:92], v81 offset0:2 offset1:3
	s_waitcnt lgkmcnt(0)
	s_barrier
	buffer_gl0_inv
	s_clause 0x3
	flat_load_dwordx2 v[50:51], v[18:19]
	flat_load_dwordx2 v[52:53], v[20:21]
	;; [unrolled: 1-line block ×4, first 2 shown]
	ds_read_b64 v[10:11], v79
	v_add_f64 v[85:86], v[85:86], 0
	s_waitcnt vmcnt(3) lgkmcnt(0)
	v_mul_f64 v[18:19], v[50:51], v[10:11]
	s_waitcnt vmcnt(2)
	v_mul_f64 v[20:21], v[52:53], v[10:11]
	s_waitcnt vmcnt(1)
	;; [unrolled: 2-line block ×3, first 2 shown]
	v_mul_f64 v[24:25], v[56:57], v[10:11]
	ds_read_b128 v[14:17], v78 offset:128
	ds_read_b128 v[10:13], v78 offset:144
	ds_write2_b64 v80, v[18:19], v[20:21] offset1:67
	ds_write2_b64 v80, v[22:23], v[24:25] offset0:134 offset1:201
	s_waitcnt lgkmcnt(0)
	s_barrier
	buffer_gl0_inv
	ds_read2_b64 v[93:96], v81 offset1:1
	ds_read2_b64 v[97:100], v81 offset0:2 offset1:3
	s_waitcnt lgkmcnt(0)
	s_barrier
	buffer_gl0_inv
	s_clause 0x3
	flat_load_dwordx2 v[58:59], v[26:27]
	flat_load_dwordx2 v[60:61], v[28:29]
	;; [unrolled: 1-line block ×4, first 2 shown]
	ds_read_b64 v[18:19], v79
	v_add_f64 v[93:94], v[93:94], 0
	v_add_f64 v[93:94], v[93:94], v[95:96]
	;; [unrolled: 1-line block ×3, first 2 shown]
	s_waitcnt vmcnt(3) lgkmcnt(0)
	v_mul_f64 v[26:27], v[58:59], v[18:19]
	s_waitcnt vmcnt(2)
	v_mul_f64 v[28:29], v[60:61], v[18:19]
	s_waitcnt vmcnt(1)
	;; [unrolled: 2-line block ×3, first 2 shown]
	v_mul_f64 v[32:33], v[64:65], v[18:19]
	ds_read_b128 v[18:21], v78 offset:256
	ds_read_b128 v[22:25], v78 offset:272
	ds_write2_b64 v80, v[26:27], v[28:29] offset1:67
	ds_write2_b64 v80, v[30:31], v[32:33] offset0:134 offset1:201
	s_waitcnt lgkmcnt(0)
	s_barrier
	buffer_gl0_inv
	ds_read2_b64 v[101:104], v81 offset1:1
	ds_read2_b64 v[105:108], v81 offset0:2 offset1:3
	s_waitcnt lgkmcnt(0)
	s_barrier
	buffer_gl0_inv
	s_clause 0x3
	flat_load_dwordx2 v[66:67], v[66:67]
	flat_load_dwordx2 v[68:69], v[68:69]
	;; [unrolled: 1-line block ×4, first 2 shown]
	ds_read_b64 v[26:27], v79
	v_add_f64 v[101:102], v[101:102], 0
	v_add_f64 v[95:96], v[101:102], v[103:104]
	;; [unrolled: 1-line block ×3, first 2 shown]
	s_waitcnt vmcnt(3) lgkmcnt(0)
	v_mul_f64 v[109:110], v[66:67], v[26:27]
	s_waitcnt vmcnt(2)
	v_mul_f64 v[111:112], v[68:69], v[26:27]
	s_waitcnt vmcnt(1)
	;; [unrolled: 2-line block ×3, first 2 shown]
	v_mul_f64 v[115:116], v[72:73], v[26:27]
	ds_read_b128 v[26:29], v78 offset:384
	ds_read_b128 v[30:33], v78 offset:400
	ds_write2_b64 v80, v[109:110], v[111:112] offset1:67
	ds_write2_b64 v80, v[113:114], v[115:116] offset0:134 offset1:201
	s_waitcnt lgkmcnt(0)
	s_barrier
	buffer_gl0_inv
	ds_read2_b64 v[109:112], v81 offset1:1
	v_add_f64 v[113:114], v[85:86], v[87:88]
	ds_read2_b64 v[85:88], v81 offset0:2 offset1:3
	s_waitcnt lgkmcnt(0)
	s_barrier
	buffer_gl0_inv
	v_add_f64 v[109:110], v[109:110], 0
	v_add_f64 v[89:90], v[113:114], v[89:90]
	;; [unrolled: 1-line block ×8, first 2 shown]
	ds_write2_b64 v84, v[89:90], v[91:92] offset1:16
	ds_write2_b64 v84, v[93:94], v[85:86] offset0:32 offset1:48
	s_waitcnt lgkmcnt(0)
	s_barrier
	buffer_gl0_inv
	s_and_saveexec_b32 s43, s2
	s_cbranch_execz .LBB176_74
; %bb.78:                               ;   in Loop: Header=BB176_75 Depth=1
	ds_read2_b64 v[85:88], v82 offset1:1
	ds_read2_b64 v[89:92], v82 offset0:2 offset1:3
	v_add_nc_u32_e32 v38, s42, v0
	s_waitcnt lgkmcnt(1)
	v_add_f64 v[85:86], v[85:86], v[87:88]
	s_waitcnt lgkmcnt(0)
	v_add_f64 v[85:86], v[85:86], v[89:90]
	v_add_f64 v[93:94], v[85:86], v[91:92]
	ds_read2_b64 v[85:88], v82 offset0:4 offset1:5
	ds_read2_b64 v[89:92], v82 offset0:6 offset1:7
	s_waitcnt lgkmcnt(1)
	v_add_f64 v[85:86], v[93:94], v[85:86]
	v_add_f64 v[85:86], v[85:86], v[87:88]
	s_waitcnt lgkmcnt(0)
	v_add_f64 v[85:86], v[85:86], v[89:90]
	v_add_f64 v[93:94], v[85:86], v[91:92]
	ds_read2_b64 v[85:88], v82 offset0:8 offset1:9
	ds_read2_b64 v[89:92], v82 offset0:10 offset1:11
	s_waitcnt lgkmcnt(1)
	v_add_f64 v[85:86], v[93:94], v[85:86]
	v_add_f64 v[85:86], v[85:86], v[87:88]
	s_waitcnt lgkmcnt(0)
	v_add_f64 v[85:86], v[85:86], v[89:90]
	v_add_f64 v[89:90], v[85:86], v[91:92]
	ds_read2_b64 v[85:88], v82 offset0:12 offset1:13
	ds_read_b64 v[91:92], v82 offset:112
	s_waitcnt lgkmcnt(1)
	v_add_f64 v[85:86], v[89:90], v[85:86]
	v_add_f64 v[85:86], v[85:86], v[87:88]
	ds_read_b64 v[87:88], v83
	s_waitcnt lgkmcnt(1)
	v_add_f64 v[85:86], v[85:86], v[91:92]
	s_waitcnt lgkmcnt(0)
	v_add_f64 v[85:86], v[85:86], v[87:88]
	v_lshlrev_b64 v[87:88], 3, v[38:39]
	v_add_co_u32 v87, s3, s7, v87
	v_add_co_ci_u32_e64 v88, null, s26, v88, s3
	global_store_dwordx2 v[87:88], v[85:86], off
	s_branch .LBB176_74
.LBB176_79:
	v_mad_u32_u24 v0, 0x218, v1, v74
	s_nor_b32 s0, s0, vcc_lo
	ds_write_b64 v0, v[36:37]
	s_waitcnt lgkmcnt(0)
	s_barrier
	buffer_gl0_inv
	s_and_saveexec_b32 s1, s0
	s_cbranch_execz .LBB176_4
; %bb.80:
	ds_read2_b64 v[0:3], v74 offset1:67
	s_waitcnt lgkmcnt(0)
	v_add_f64 v[4:5], v[0:1], v[2:3]
	ds_read2_b64 v[0:3], v74 offset0:134 offset1:201
	s_waitcnt lgkmcnt(0)
	v_add_f64 v[0:1], v[4:5], v[0:1]
	v_add_f64 v[0:1], v[0:1], v[2:3]
	v_lshlrev_b64 v[2:3], 3, v[34:35]
	v_add_co_u32 v2, vcc_lo, s7, v2
	v_add_co_ci_u32_e64 v3, null, s26, v3, vcc_lo
	global_store_dwordx2 v[2:3], v[0:1], off
	s_endpgm
	.section	.rodata,"a",@progbits
	.p2align	6, 0x0
	.amdhsa_kernel _ZL26rocblas_hemvn_kernel_lowerILb0ELi64ELi4ELi33ELi32ELi16EldPKPKdPdEviT6_lT7_lT5_lS6_lS7_lS5_lT8_i
		.amdhsa_group_segment_fixed_size 9600
		.amdhsa_private_segment_fixed_size 0
		.amdhsa_kernarg_size 376
		.amdhsa_user_sgpr_count 6
		.amdhsa_user_sgpr_private_segment_buffer 1
		.amdhsa_user_sgpr_dispatch_ptr 0
		.amdhsa_user_sgpr_queue_ptr 0
		.amdhsa_user_sgpr_kernarg_segment_ptr 1
		.amdhsa_user_sgpr_dispatch_id 0
		.amdhsa_user_sgpr_flat_scratch_init 0
		.amdhsa_user_sgpr_private_segment_size 0
		.amdhsa_wavefront_size32 1
		.amdhsa_uses_dynamic_stack 0
		.amdhsa_system_sgpr_private_segment_wavefront_offset 0
		.amdhsa_system_sgpr_workgroup_id_x 1
		.amdhsa_system_sgpr_workgroup_id_y 0
		.amdhsa_system_sgpr_workgroup_id_z 1
		.amdhsa_system_sgpr_workgroup_info 0
		.amdhsa_system_vgpr_workitem_id 1
		.amdhsa_next_free_vgpr 117
		.amdhsa_next_free_sgpr 46
		.amdhsa_reserve_vcc 1
		.amdhsa_reserve_flat_scratch 1
		.amdhsa_float_round_mode_32 0
		.amdhsa_float_round_mode_16_64 0
		.amdhsa_float_denorm_mode_32 3
		.amdhsa_float_denorm_mode_16_64 3
		.amdhsa_dx10_clamp 1
		.amdhsa_ieee_mode 1
		.amdhsa_fp16_overflow 0
		.amdhsa_workgroup_processor_mode 1
		.amdhsa_memory_ordered 1
		.amdhsa_forward_progress 1
		.amdhsa_shared_vgpr_count 0
		.amdhsa_exception_fp_ieee_invalid_op 0
		.amdhsa_exception_fp_denorm_src 0
		.amdhsa_exception_fp_ieee_div_zero 0
		.amdhsa_exception_fp_ieee_overflow 0
		.amdhsa_exception_fp_ieee_underflow 0
		.amdhsa_exception_fp_ieee_inexact 0
		.amdhsa_exception_int_div_zero 0
	.end_amdhsa_kernel
	.section	.text._ZL26rocblas_hemvn_kernel_lowerILb0ELi64ELi4ELi33ELi32ELi16EldPKPKdPdEviT6_lT7_lT5_lS6_lS7_lS5_lT8_i,"axG",@progbits,_ZL26rocblas_hemvn_kernel_lowerILb0ELi64ELi4ELi33ELi32ELi16EldPKPKdPdEviT6_lT7_lT5_lS6_lS7_lS5_lT8_i,comdat
.Lfunc_end176:
	.size	_ZL26rocblas_hemvn_kernel_lowerILb0ELi64ELi4ELi33ELi32ELi16EldPKPKdPdEviT6_lT7_lT5_lS6_lS7_lS5_lT8_i, .Lfunc_end176-_ZL26rocblas_hemvn_kernel_lowerILb0ELi64ELi4ELi33ELi32ELi16EldPKPKdPdEviT6_lT7_lT5_lS6_lS7_lS5_lT8_i
                                        ; -- End function
	.set _ZL26rocblas_hemvn_kernel_lowerILb0ELi64ELi4ELi33ELi32ELi16EldPKPKdPdEviT6_lT7_lT5_lS6_lS7_lS5_lT8_i.num_vgpr, 117
	.set _ZL26rocblas_hemvn_kernel_lowerILb0ELi64ELi4ELi33ELi32ELi16EldPKPKdPdEviT6_lT7_lT5_lS6_lS7_lS5_lT8_i.num_agpr, 0
	.set _ZL26rocblas_hemvn_kernel_lowerILb0ELi64ELi4ELi33ELi32ELi16EldPKPKdPdEviT6_lT7_lT5_lS6_lS7_lS5_lT8_i.numbered_sgpr, 46
	.set _ZL26rocblas_hemvn_kernel_lowerILb0ELi64ELi4ELi33ELi32ELi16EldPKPKdPdEviT6_lT7_lT5_lS6_lS7_lS5_lT8_i.num_named_barrier, 0
	.set _ZL26rocblas_hemvn_kernel_lowerILb0ELi64ELi4ELi33ELi32ELi16EldPKPKdPdEviT6_lT7_lT5_lS6_lS7_lS5_lT8_i.private_seg_size, 0
	.set _ZL26rocblas_hemvn_kernel_lowerILb0ELi64ELi4ELi33ELi32ELi16EldPKPKdPdEviT6_lT7_lT5_lS6_lS7_lS5_lT8_i.uses_vcc, 1
	.set _ZL26rocblas_hemvn_kernel_lowerILb0ELi64ELi4ELi33ELi32ELi16EldPKPKdPdEviT6_lT7_lT5_lS6_lS7_lS5_lT8_i.uses_flat_scratch, 1
	.set _ZL26rocblas_hemvn_kernel_lowerILb0ELi64ELi4ELi33ELi32ELi16EldPKPKdPdEviT6_lT7_lT5_lS6_lS7_lS5_lT8_i.has_dyn_sized_stack, 0
	.set _ZL26rocblas_hemvn_kernel_lowerILb0ELi64ELi4ELi33ELi32ELi16EldPKPKdPdEviT6_lT7_lT5_lS6_lS7_lS5_lT8_i.has_recursion, 0
	.set _ZL26rocblas_hemvn_kernel_lowerILb0ELi64ELi4ELi33ELi32ELi16EldPKPKdPdEviT6_lT7_lT5_lS6_lS7_lS5_lT8_i.has_indirect_call, 0
	.section	.AMDGPU.csdata,"",@progbits
; Kernel info:
; codeLenInByte = 6772
; TotalNumSgprs: 48
; NumVgprs: 117
; ScratchSize: 0
; MemoryBound: 0
; FloatMode: 240
; IeeeMode: 1
; LDSByteSize: 9600 bytes/workgroup (compile time only)
; SGPRBlocks: 0
; VGPRBlocks: 14
; NumSGPRsForWavesPerEU: 48
; NumVGPRsForWavesPerEU: 117
; Occupancy: 8
; WaveLimiterHint : 1
; COMPUTE_PGM_RSRC2:SCRATCH_EN: 0
; COMPUTE_PGM_RSRC2:USER_SGPR: 6
; COMPUTE_PGM_RSRC2:TRAP_HANDLER: 0
; COMPUTE_PGM_RSRC2:TGID_X_EN: 1
; COMPUTE_PGM_RSRC2:TGID_Y_EN: 0
; COMPUTE_PGM_RSRC2:TGID_Z_EN: 1
; COMPUTE_PGM_RSRC2:TIDIG_COMP_CNT: 1
	.section	.text._ZL36rocblas_hemvn_kernel_lower_block_sumILi64EldPKPddEviT1_lS3_lT2_lT0_lPT3_i,"axG",@progbits,_ZL36rocblas_hemvn_kernel_lower_block_sumILi64EldPKPddEviT1_lS3_lT2_lT0_lPT3_i,comdat
	.globl	_ZL36rocblas_hemvn_kernel_lower_block_sumILi64EldPKPddEviT1_lS3_lT2_lT0_lPT3_i ; -- Begin function _ZL36rocblas_hemvn_kernel_lower_block_sumILi64EldPKPddEviT1_lS3_lT2_lT0_lPT3_i
	.p2align	8
	.type	_ZL36rocblas_hemvn_kernel_lower_block_sumILi64EldPKPddEviT1_lS3_lT2_lT0_lPT3_i,@function
_ZL36rocblas_hemvn_kernel_lower_block_sumILi64EldPKPddEviT1_lS3_lT2_lT0_lPT3_i: ; @_ZL36rocblas_hemvn_kernel_lower_block_sumILi64EldPKPddEviT1_lS3_lT2_lT0_lPT3_i
; %bb.0:
	s_clause 0x1
	s_load_dwordx2 s[10:11], s[4:5], 0x8
	s_load_dwordx2 s[12:13], s[4:5], 0x18
	s_waitcnt lgkmcnt(0)
	v_cmp_eq_f64_e64 s0, s[10:11], 0
	v_cmp_eq_f64_e64 s1, s[12:13], 1.0
	s_and_b32 s0, s0, s1
	s_and_b32 vcc_lo, exec_lo, s0
	s_cbranch_vccnz .LBB177_19
; %bb.1:
	s_clause 0x1
	s_load_dwordx2 s[16:17], s[4:5], 0x28
	s_load_dword s14, s[4:5], 0x0
	s_mov_b32 s8, s7
	s_mov_b32 s9, 0
	s_load_dwordx4 s[0:3], s[4:5], 0x30
	s_lshl_b64 s[18:19], s[8:9], 3
	v_cmp_neq_f64_e64 s15, s[10:11], 0
	v_lshl_or_b32 v0, s6, 6, v0
	s_waitcnt lgkmcnt(0)
	s_add_u32 s16, s16, s18
	s_addc_u32 s17, s17, s19
	s_load_dwordx2 s[16:17], s[16:17], 0x0
	s_lshl_b64 s[0:1], s[0:1], 3
	s_waitcnt lgkmcnt(0)
	s_add_u32 s7, s16, s0
	v_cmp_gt_i32_e64 s0, s14, v0
	s_addc_u32 s16, s17, s1
	s_and_b32 vcc_lo, exec_lo, s15
	s_cbranch_vccnz .LBB177_6
; %bb.2:
	s_mov_b32 s1, 0
                                        ; implicit-def: $vgpr3_vgpr4
                                        ; implicit-def: $vgpr1_vgpr2
	s_and_saveexec_b32 s15, s0
	s_cbranch_execz .LBB177_7
; %bb.3:
	v_cmp_eq_f64_e64 s0, s[12:13], 0
	v_ashrrev_i32_e32 v1, 31, v0
	v_mul_lo_u32 v5, s3, v0
	v_mov_b32_e32 v3, 0
	v_mov_b32_e32 v4, 0
	v_mul_lo_u32 v6, s2, v1
	v_mad_u64_u32 v[1:2], null, s2, v0, 0
	v_add3_u32 v2, v2, v6, v5
	s_and_b32 vcc_lo, exec_lo, s0
	s_cbranch_vccnz .LBB177_5
; %bb.4:
	v_lshlrev_b64 v[3:4], 3, v[1:2]
	v_add_co_u32 v3, vcc_lo, s7, v3
	v_add_co_ci_u32_e64 v4, null, s16, v4, vcc_lo
	flat_load_dwordx2 v[3:4], v[3:4]
	s_waitcnt vmcnt(0) lgkmcnt(0)
	v_mul_f64 v[3:4], s[12:13], v[3:4]
.LBB177_5:
	s_mov_b32 s9, exec_lo
	s_or_b32 exec_lo, exec_lo, s15
	s_and_b32 vcc_lo, exec_lo, s1
	s_cbranch_vccnz .LBB177_8
	s_branch .LBB177_17
.LBB177_6:
                                        ; implicit-def: $vgpr3_vgpr4
                                        ; implicit-def: $vgpr1_vgpr2
	s_cbranch_execnz .LBB177_8
	s_branch .LBB177_17
.LBB177_7:
	s_or_b32 exec_lo, exec_lo, s15
	s_and_b32 vcc_lo, exec_lo, s1
	s_cbranch_vccz .LBB177_17
.LBB177_8:
	s_mov_b32 s17, exec_lo
                                        ; implicit-def: $vgpr3_vgpr4
                                        ; implicit-def: $vgpr1_vgpr2
	v_cmpx_gt_i32_e64 s14, v0
	s_cbranch_execz .LBB177_16
; %bb.9:
	s_load_dword s18, s[4:5], 0x58
	v_mov_b32_e32 v5, 0
	v_mov_b32_e32 v6, 0
	s_waitcnt lgkmcnt(0)
	s_cmp_ge_i32 s6, s18
	s_cbranch_scc1 .LBB177_12
; %bb.10:
	s_load_dwordx2 s[0:1], s[4:5], 0x48
	v_mad_u64_u32 v[1:2], null, s14, s6, v[0:1]
	s_ashr_i32 s15, s14, 31
	s_mul_hi_u32 s4, s14, s8
	s_mul_i32 s5, s15, s8
	s_mul_i32 s8, s14, s8
	s_add_i32 s4, s4, s5
	s_mul_hi_u32 s5, s8, s18
	v_ashrrev_i32_e32 v2, 31, v1
	s_mul_i32 s19, s4, s18
	s_mul_i32 s4, s8, s18
	s_add_i32 s5, s5, s19
	v_mov_b32_e32 v5, 0
	v_lshlrev_b64 v[1:2], 3, v[1:2]
	s_lshl_b64 s[4:5], s[4:5], 3
	v_mov_b32_e32 v6, 0
	s_waitcnt lgkmcnt(0)
	s_add_u32 s0, s0, s4
	s_addc_u32 s1, s1, s5
	v_add_co_u32 v1, vcc_lo, s0, v1
	v_add_co_ci_u32_e64 v2, null, s1, v2, vcc_lo
	s_lshl_b64 s[0:1], s[14:15], 3
.LBB177_11:                             ; =>This Inner Loop Header: Depth=1
	global_load_dwordx2 v[3:4], v[1:2], off
	v_add_co_u32 v1, vcc_lo, v1, s0
	v_add_co_ci_u32_e64 v2, null, s1, v2, vcc_lo
	s_add_i32 s6, s6, 1
	s_cmp_ge_i32 s6, s18
	s_waitcnt vmcnt(0)
	v_add_f64 v[5:6], v[5:6], v[3:4]
	s_cbranch_scc0 .LBB177_11
.LBB177_12:
	v_cmp_eq_f64_e64 s0, s[12:13], 0
	v_ashrrev_i32_e32 v1, 31, v0
	v_mul_lo_u32 v7, s3, v0
	v_mul_lo_u32 v8, s2, v1
	s_and_b32 vcc_lo, exec_lo, s0
	s_cbranch_vccz .LBB177_20
; %bb.13:
	v_mad_u64_u32 v[1:2], null, s2, v0, 0
	v_mul_f64 v[3:4], s[10:11], v[5:6]
	v_add3_u32 v2, v2, v8, v7
	s_cbranch_execnz .LBB177_15
.LBB177_14:
	v_mad_u64_u32 v[1:2], null, s2, v0, 0
	v_add3_u32 v2, v2, v8, v7
	v_lshlrev_b64 v[3:4], 3, v[1:2]
	v_add_co_u32 v3, vcc_lo, s7, v3
	v_add_co_ci_u32_e64 v4, null, s16, v4, vcc_lo
	flat_load_dwordx2 v[3:4], v[3:4]
	s_waitcnt vmcnt(0) lgkmcnt(0)
	v_mul_f64 v[3:4], s[12:13], v[3:4]
	v_fma_f64 v[3:4], s[10:11], v[5:6], v[3:4]
.LBB177_15:
	s_or_b32 s9, s9, exec_lo
.LBB177_16:
	s_or_b32 exec_lo, exec_lo, s17
.LBB177_17:
	s_and_saveexec_b32 s0, s9
	s_cbranch_execz .LBB177_19
; %bb.18:
	v_lshlrev_b64 v[0:1], 3, v[1:2]
	v_add_co_u32 v0, vcc_lo, s7, v0
	v_add_co_ci_u32_e64 v1, null, s16, v1, vcc_lo
	flat_store_dwordx2 v[0:1], v[3:4]
.LBB177_19:
	s_endpgm
.LBB177_20:
                                        ; implicit-def: $vgpr3_vgpr4
                                        ; implicit-def: $vgpr1_vgpr2
	s_branch .LBB177_14
	.section	.rodata,"a",@progbits
	.p2align	6, 0x0
	.amdhsa_kernel _ZL36rocblas_hemvn_kernel_lower_block_sumILi64EldPKPddEviT1_lS3_lT2_lT0_lPT3_i
		.amdhsa_group_segment_fixed_size 0
		.amdhsa_private_segment_fixed_size 0
		.amdhsa_kernarg_size 344
		.amdhsa_user_sgpr_count 6
		.amdhsa_user_sgpr_private_segment_buffer 1
		.amdhsa_user_sgpr_dispatch_ptr 0
		.amdhsa_user_sgpr_queue_ptr 0
		.amdhsa_user_sgpr_kernarg_segment_ptr 1
		.amdhsa_user_sgpr_dispatch_id 0
		.amdhsa_user_sgpr_flat_scratch_init 0
		.amdhsa_user_sgpr_private_segment_size 0
		.amdhsa_wavefront_size32 1
		.amdhsa_uses_dynamic_stack 0
		.amdhsa_system_sgpr_private_segment_wavefront_offset 0
		.amdhsa_system_sgpr_workgroup_id_x 1
		.amdhsa_system_sgpr_workgroup_id_y 0
		.amdhsa_system_sgpr_workgroup_id_z 1
		.amdhsa_system_sgpr_workgroup_info 0
		.amdhsa_system_vgpr_workitem_id 0
		.amdhsa_next_free_vgpr 9
		.amdhsa_next_free_sgpr 20
		.amdhsa_reserve_vcc 1
		.amdhsa_reserve_flat_scratch 0
		.amdhsa_float_round_mode_32 0
		.amdhsa_float_round_mode_16_64 0
		.amdhsa_float_denorm_mode_32 3
		.amdhsa_float_denorm_mode_16_64 3
		.amdhsa_dx10_clamp 1
		.amdhsa_ieee_mode 1
		.amdhsa_fp16_overflow 0
		.amdhsa_workgroup_processor_mode 1
		.amdhsa_memory_ordered 1
		.amdhsa_forward_progress 1
		.amdhsa_shared_vgpr_count 0
		.amdhsa_exception_fp_ieee_invalid_op 0
		.amdhsa_exception_fp_denorm_src 0
		.amdhsa_exception_fp_ieee_div_zero 0
		.amdhsa_exception_fp_ieee_overflow 0
		.amdhsa_exception_fp_ieee_underflow 0
		.amdhsa_exception_fp_ieee_inexact 0
		.amdhsa_exception_int_div_zero 0
	.end_amdhsa_kernel
	.section	.text._ZL36rocblas_hemvn_kernel_lower_block_sumILi64EldPKPddEviT1_lS3_lT2_lT0_lPT3_i,"axG",@progbits,_ZL36rocblas_hemvn_kernel_lower_block_sumILi64EldPKPddEviT1_lS3_lT2_lT0_lPT3_i,comdat
.Lfunc_end177:
	.size	_ZL36rocblas_hemvn_kernel_lower_block_sumILi64EldPKPddEviT1_lS3_lT2_lT0_lPT3_i, .Lfunc_end177-_ZL36rocblas_hemvn_kernel_lower_block_sumILi64EldPKPddEviT1_lS3_lT2_lT0_lPT3_i
                                        ; -- End function
	.set _ZL36rocblas_hemvn_kernel_lower_block_sumILi64EldPKPddEviT1_lS3_lT2_lT0_lPT3_i.num_vgpr, 9
	.set _ZL36rocblas_hemvn_kernel_lower_block_sumILi64EldPKPddEviT1_lS3_lT2_lT0_lPT3_i.num_agpr, 0
	.set _ZL36rocblas_hemvn_kernel_lower_block_sumILi64EldPKPddEviT1_lS3_lT2_lT0_lPT3_i.numbered_sgpr, 20
	.set _ZL36rocblas_hemvn_kernel_lower_block_sumILi64EldPKPddEviT1_lS3_lT2_lT0_lPT3_i.num_named_barrier, 0
	.set _ZL36rocblas_hemvn_kernel_lower_block_sumILi64EldPKPddEviT1_lS3_lT2_lT0_lPT3_i.private_seg_size, 0
	.set _ZL36rocblas_hemvn_kernel_lower_block_sumILi64EldPKPddEviT1_lS3_lT2_lT0_lPT3_i.uses_vcc, 1
	.set _ZL36rocblas_hemvn_kernel_lower_block_sumILi64EldPKPddEviT1_lS3_lT2_lT0_lPT3_i.uses_flat_scratch, 0
	.set _ZL36rocblas_hemvn_kernel_lower_block_sumILi64EldPKPddEviT1_lS3_lT2_lT0_lPT3_i.has_dyn_sized_stack, 0
	.set _ZL36rocblas_hemvn_kernel_lower_block_sumILi64EldPKPddEviT1_lS3_lT2_lT0_lPT3_i.has_recursion, 0
	.set _ZL36rocblas_hemvn_kernel_lower_block_sumILi64EldPKPddEviT1_lS3_lT2_lT0_lPT3_i.has_indirect_call, 0
	.section	.AMDGPU.csdata,"",@progbits
; Kernel info:
; codeLenInByte = 704
; TotalNumSgprs: 22
; NumVgprs: 9
; ScratchSize: 0
; MemoryBound: 0
; FloatMode: 240
; IeeeMode: 1
; LDSByteSize: 0 bytes/workgroup (compile time only)
; SGPRBlocks: 0
; VGPRBlocks: 1
; NumSGPRsForWavesPerEU: 22
; NumVGPRsForWavesPerEU: 9
; Occupancy: 16
; WaveLimiterHint : 1
; COMPUTE_PGM_RSRC2:SCRATCH_EN: 0
; COMPUTE_PGM_RSRC2:USER_SGPR: 6
; COMPUTE_PGM_RSRC2:TRAP_HANDLER: 0
; COMPUTE_PGM_RSRC2:TGID_X_EN: 1
; COMPUTE_PGM_RSRC2:TGID_Y_EN: 0
; COMPUTE_PGM_RSRC2:TGID_Z_EN: 1
; COMPUTE_PGM_RSRC2:TIDIG_COMP_CNT: 0
	.section	.text._ZL26rocblas_hemvn_kernel_lowerILb0ELi64ELi4ELi33ELi32ELi16EidPKPKdPdEviT6_lT7_lT5_lS6_lS7_lS5_lT8_i,"axG",@progbits,_ZL26rocblas_hemvn_kernel_lowerILb0ELi64ELi4ELi33ELi32ELi16EidPKPKdPdEviT6_lT7_lT5_lS6_lS7_lS5_lT8_i,comdat
	.globl	_ZL26rocblas_hemvn_kernel_lowerILb0ELi64ELi4ELi33ELi32ELi16EidPKPKdPdEviT6_lT7_lT5_lS6_lS7_lS5_lT8_i ; -- Begin function _ZL26rocblas_hemvn_kernel_lowerILb0ELi64ELi4ELi33ELi32ELi16EidPKPKdPdEviT6_lT7_lT5_lS6_lS7_lS5_lT8_i
	.p2align	8
	.type	_ZL26rocblas_hemvn_kernel_lowerILb0ELi64ELi4ELi33ELi32ELi16EidPKPKdPdEviT6_lT7_lT5_lS6_lS7_lS5_lT8_i,@function
_ZL26rocblas_hemvn_kernel_lowerILb0ELi64ELi4ELi33ELi32ELi16EidPKPKdPdEviT6_lT7_lT5_lS6_lS7_lS5_lT8_i: ; @_ZL26rocblas_hemvn_kernel_lowerILb0ELi64ELi4ELi33ELi32ELi16EidPKPKdPdEviT6_lT7_lT5_lS6_lS7_lS5_lT8_i
; %bb.0:
	s_load_dwordx2 s[0:1], s[4:5], 0x84
	s_add_u32 s8, s4, 0x78
	s_addc_u32 s9, s5, 0
	s_waitcnt lgkmcnt(0)
	s_lshr_b32 s2, s0, 16
	s_and_b32 s0, s0, 0xffff
	s_and_b32 s1, s1, 0xffff
	s_mul_i32 s0, s2, s0
	s_mul_i32 s0, s0, s1
	s_cmpk_lg_i32 s0, 0x100
	s_cbranch_scc1 .LBB178_4
; %bb.1:
	s_clause 0x1
	s_load_dwordx2 s[0:1], s[4:5], 0x8
	s_load_dwordx2 s[2:3], s[4:5], 0x58
	s_waitcnt lgkmcnt(0)
	v_cmp_eq_f64_e64 s0, s[0:1], 0
	v_cmp_eq_f64_e64 s1, s[2:3], 1.0
	s_and_b32 s1, s0, s1
	s_and_b32 vcc_lo, exec_lo, s1
	s_cbranch_vccnz .LBB178_4
; %bb.2:
	v_mov_b32_e32 v2, v1
	s_mov_b32 s14, s7
	s_and_b32 vcc_lo, exec_lo, s0
	s_cbranch_vccz .LBB178_5
; %bb.3:
	s_cbranch_execz .LBB178_6
.LBB178_4:
	s_endpgm
.LBB178_5:
.LBB178_6:
	s_clause 0x1
	s_load_dwordx4 s[0:3], s[4:5], 0x18
	s_load_dwordx4 s[16:19], s[4:5], 0x38
	s_mov_b32 s15, 0
	s_load_dword s11, s[4:5], 0x48
	s_lshl_b64 s[12:13], s[14:15], 3
	s_waitcnt lgkmcnt(0)
	s_add_u32 s0, s0, s12
	s_addc_u32 s1, s1, s13
	s_add_u32 s12, s16, s12
	s_addc_u32 s13, s17, s13
	s_lshl_b64 s[16:17], s[18:19], 3
	s_load_dwordx2 s[12:13], s[12:13], 0x0
	s_load_dword s15, s[4:5], 0x0
	s_load_dword s26, s[8:9], 0x0
	s_load_dwordx2 s[8:9], s[0:1], 0x0
	s_waitcnt lgkmcnt(0)
	s_add_u32 s7, s12, s16
	s_addc_u32 s10, s13, s17
	s_lshl_b32 s16, s6, 6
	s_ashr_i32 s27, s15, 31
	v_add_nc_u32_e32 v35, s16, v0
	s_lshr_b32 s0, s27, 26
	s_add_i32 s12, s26, -1
	s_add_i32 s1, s15, s0
	v_cmp_ne_u32_e64 s0, 0, v2
	v_mul_lo_u32 v3, s11, v35
	s_andn2_b32 s1, s1, 63
	s_sub_i32 s13, s15, s1
	v_cmp_eq_u32_e64 s1, 0, v2
	s_cmp_eq_u32 s6, s12
	s_cselect_b32 s18, s13, 0
	v_ashrrev_i32_e32 v4, 31, v3
	v_lshlrev_b64 v[3:4], 3, v[3:4]
	v_add_co_u32 v19, vcc_lo, s7, v3
	v_add_co_ci_u32_e64 v20, null, s10, v4, vcc_lo
	s_and_saveexec_b32 s7, s1
	s_cbranch_execz .LBB178_10
; %bb.7:
	v_cmp_gt_i32_e32 vcc_lo, s18, v0
	s_cmp_eq_u32 s18, 0
	v_mov_b32_e32 v3, 0
	v_mov_b32_e32 v4, 0
	s_cselect_b32 s10, -1, 0
	s_or_b32 s12, s10, vcc_lo
	s_and_saveexec_b32 s10, s12
	s_cbranch_execz .LBB178_9
; %bb.8:
	flat_load_dwordx2 v[3:4], v[19:20]
.LBB178_9:
	s_or_b32 exec_lo, exec_lo, s10
	v_lshlrev_b32_e32 v1, 3, v0
	s_waitcnt vmcnt(0) lgkmcnt(0)
	ds_write_b64 v1, v[3:4] offset:9088
.LBB178_10:
	s_or_b32 exec_lo, exec_lo, s7
	s_load_dword s12, s[4:5], 0x28
	v_lshl_add_u32 v25, v2, 6, v0
	v_and_b32_e32 v1, 31, v0
	s_lshl_b64 s[2:3], s[2:3], 3
	s_add_u32 s7, s8, s2
	v_lshrrev_b32_e32 v13, 5, v25
	s_addc_u32 s8, s9, s3
	s_ashr_i32 s17, s16, 31
	s_lshl_b64 s[2:3], s[16:17], 3
	s_add_u32 s7, s7, s2
	s_addc_u32 s8, s8, s3
	s_waitcnt lgkmcnt(0)
	v_mad_u64_u32 v[3:4], null, s12, v13, v[1:2]
	s_mul_i32 s2, s12, s16
	s_ashr_i32 s3, s2, 31
	s_lshl_b64 s[20:21], s[2:3], 3
	s_cmp_lg_u32 s18, 0
	v_ashrrev_i32_e32 v4, 31, v3
	s_cselect_b32 s17, -1, 0
	s_cmp_eq_u32 s18, 0
	s_mov_b32 s2, -1
	s_cselect_b32 s10, -1, 0
	v_lshlrev_b64 v[21:22], 3, v[3:4]
	v_add_co_u32 v3, vcc_lo, s7, v21
	v_add_co_ci_u32_e64 v4, null, s8, v22, vcc_lo
	v_add_co_u32 v3, vcc_lo, v3, s20
	v_add_co_ci_u32_e64 v4, null, s21, v4, vcc_lo
	s_and_b32 vcc_lo, exec_lo, s17
	s_cbranch_vccnz .LBB178_12
; %bb.11:
	s_lshl_b32 s2, s12, 3
	s_ashr_i32 s13, s12, 31
	s_ashr_i32 s3, s2, 31
	v_mul_u32_u24_e32 v14, 0x108, v13
	s_lshl_b64 s[2:3], s[2:3], 3
	v_add_co_u32 v5, vcc_lo, v3, s2
	v_add_co_ci_u32_e64 v6, null, s3, v4, vcc_lo
	s_lshl_b64 s[2:3], s[12:13], 6
	v_lshl_add_u32 v14, v1, 3, v14
	v_add_co_u32 v7, vcc_lo, v5, s2
	v_add_co_ci_u32_e64 v8, null, s3, v6, vcc_lo
	v_add_co_u32 v9, vcc_lo, v7, s2
	v_add_co_ci_u32_e64 v10, null, s3, v8, vcc_lo
	s_clause 0x3
	flat_load_dwordx2 v[11:12], v[3:4]
	flat_load_dwordx2 v[5:6], v[5:6]
	;; [unrolled: 1-line block ×4, first 2 shown]
	s_mov_b32 s2, 0
	s_waitcnt vmcnt(3) lgkmcnt(3)
	ds_write_b64 v14, v[11:12]
	s_waitcnt vmcnt(2) lgkmcnt(3)
	ds_write_b64 v14, v[5:6] offset:2112
	s_waitcnt vmcnt(1) lgkmcnt(3)
	ds_write_b64 v14, v[7:8] offset:4224
	;; [unrolled: 2-line block ×3, first 2 shown]
.LBB178_12:
	v_lshlrev_b32_e32 v14, 3, v1
	s_andn2_b32 vcc_lo, exec_lo, s2
	s_cbranch_vccnz .LBB178_22
; %bb.13:
	v_sub_co_u32 v5, vcc_lo, v3, v14
	s_ashr_i32 s19, s18, 31
	v_subrev_co_ci_u32_e64 v6, null, 0, v4, vcc_lo
	s_lshl_b64 s[8:9], s[18:19], 3
	v_mov_b32_e32 v9, 0
	v_add_co_u32 v5, vcc_lo, v5, s8
	v_add_co_ci_u32_e64 v6, null, s9, v6, vcc_lo
	v_mov_b32_e32 v7, 0
	v_add_co_u32 v5, vcc_lo, v5, -8
	v_add_co_ci_u32_e64 v6, null, -1, v6, vcc_lo
	v_cmp_gt_i32_e32 vcc_lo, s18, v1
	v_mov_b32_e32 v10, 0
	v_mov_b32_e32 v8, 0
	s_mov_b32 s3, exec_lo
	v_cndmask_b32_e32 v6, v6, v4, vcc_lo
	v_cndmask_b32_e32 v5, v5, v3, vcc_lo
	v_cmpx_gt_i32_e64 s18, v13
	s_cbranch_execz .LBB178_15
; %bb.14:
	flat_load_dwordx2 v[7:8], v[5:6]
.LBB178_15:
	s_or_b32 exec_lo, exec_lo, s3
	v_add_nc_u32_e32 v12, 8, v13
	v_mul_u32_u24_e32 v11, 0x108, v13
	v_mad_u32_u24 v15, 0x108, v13, v14
	s_mov_b32 s3, exec_lo
	s_waitcnt vmcnt(0) lgkmcnt(0)
	ds_write_b64 v15, v[7:8]
	v_cmpx_gt_i32_e64 s18, v12
	s_cbranch_execz .LBB178_17
; %bb.16:
	s_lshl_b32 s22, s12, 3
	s_ashr_i32 s23, s22, 31
	s_lshl_b64 s[22:23], s[22:23], 3
	v_add_co_u32 v7, s2, v5, s22
	v_add_co_ci_u32_e64 v8, null, s23, v6, s2
	flat_load_dwordx2 v[9:10], v[7:8]
.LBB178_17:
	s_or_b32 exec_lo, exec_lo, s3
	v_add_nc_u32_e32 v15, v11, v14
	v_mov_b32_e32 v7, 0
	v_mov_b32_e32 v11, 0
	v_add_nc_u32_e32 v16, 16, v13
	v_mov_b32_e32 v8, 0
	v_mov_b32_e32 v12, 0
	s_mov_b32 s3, exec_lo
	s_waitcnt vmcnt(0) lgkmcnt(0)
	ds_write_b64 v15, v[9:10] offset:2112
	v_cmpx_gt_i32_e64 s18, v16
	s_cbranch_execz .LBB178_19
; %bb.18:
	s_lshl_b32 s22, s12, 4
	s_ashr_i32 s23, s22, 31
	s_lshl_b64 s[22:23], s[22:23], 3
	v_add_co_u32 v9, s2, v5, s22
	v_add_co_ci_u32_e64 v10, null, s23, v6, s2
	flat_load_dwordx2 v[11:12], v[9:10]
.LBB178_19:
	s_or_b32 exec_lo, exec_lo, s3
	v_add_nc_u32_e32 v9, 24, v13
	s_mov_b32 s3, exec_lo
	s_waitcnt vmcnt(0) lgkmcnt(0)
	ds_write_b64 v15, v[11:12] offset:4224
	v_cmpx_gt_i32_e64 s18, v9
	s_cbranch_execz .LBB178_21
; %bb.20:
	s_mul_i32 s22, s12, 24
	s_ashr_i32 s23, s22, 31
	s_lshl_b64 s[22:23], s[22:23], 3
	v_add_co_u32 v7, s2, v5, s22
	v_add_co_ci_u32_e64 v8, null, s23, v6, s2
	flat_load_dwordx2 v[7:8], v[7:8]
.LBB178_21:
	s_or_b32 exec_lo, exec_lo, s3
	v_add_co_u32 v5, s2, v5, v14
	v_add_co_ci_u32_e64 v6, null, 0, v6, s2
	s_waitcnt vmcnt(0) lgkmcnt(0)
	ds_write_b64 v15, v[7:8] offset:6336
	v_sub_co_u32 v5, s2, v5, s8
	v_subrev_co_ci_u32_e64 v6, null, s9, v6, s2
	v_add_co_u32 v5, s2, v5, 8
	v_add_co_ci_u32_e64 v6, null, 0, v6, s2
	v_cndmask_b32_e32 v3, v5, v3, vcc_lo
	v_cndmask_b32_e32 v4, v6, v4, vcc_lo
.LBB178_22:
	v_lshlrev_b32_e32 v11, 2, v13
	v_lshl_or_b32 v7, v1, 8, v14
	v_mad_u32_u24 v6, 0x420, v13, v14
	s_waitcnt lgkmcnt(0)
	s_barrier
	v_cmp_lt_u32_e64 s3, v11, v1
	buffer_gl0_inv
	s_and_saveexec_b32 s2, s3
	s_cbranch_execz .LBB178_24
; %bb.23:
	ds_read_b64 v[8:9], v6
	v_lshl_add_u32 v5, v11, 3, v7
	s_waitcnt lgkmcnt(0)
	ds_write_b64 v5, v[8:9]
.LBB178_24:
	s_or_b32 exec_lo, exec_lo, s2
	v_or_b32_e32 v12, 1, v11
	v_cmp_lt_u32_e64 s7, v12, v1
	v_mad_u32_u24 v5, 0x108, v12, v14
	s_and_saveexec_b32 s2, s7
	s_cbranch_execz .LBB178_26
; %bb.25:
	ds_read_b64 v[8:9], v5
	v_lshl_add_u32 v10, v11, 3, v7
	s_waitcnt lgkmcnt(0)
	ds_write_b64 v10, v[8:9] offset:8
.LBB178_26:
	s_or_b32 exec_lo, exec_lo, s2
	v_or_b32_e32 v8, 2, v11
	v_cmp_lt_u32_e64 s8, v8, v1
	s_and_saveexec_b32 s2, s8
	s_cbranch_execz .LBB178_28
; %bb.27:
	v_mad_u32_u24 v8, 0x108, v8, v14
	v_lshl_add_u32 v10, v11, 3, v7
	ds_read_b64 v[8:9], v8
	s_waitcnt lgkmcnt(0)
	ds_write_b64 v10, v[8:9] offset:16
.LBB178_28:
	s_or_b32 exec_lo, exec_lo, s2
	v_or_b32_e32 v9, 3, v11
	s_mov_b32 s2, exec_lo
                                        ; implicit-def: $vgpr8
	v_cmp_lt_u32_e64 s9, v9, v1
	v_cmpx_ge_u32_e64 v9, v1
	s_xor_b32 s2, exec_lo, s2
; %bb.29:
	v_mul_u32_u24_e32 v8, 0x108, v9
                                        ; implicit-def: $vgpr7
                                        ; implicit-def: $vgpr9
; %bb.30:
	s_andn2_saveexec_b32 s2, s2
	s_cbranch_execz .LBB178_32
; %bb.31:
	v_mad_u32_u24 v8, 0x108, v9, v14
	v_lshl_add_u32 v7, v11, 3, v7
	ds_read_b64 v[15:16], v8
	v_mul_u32_u24_e32 v8, 0x108, v9
	s_waitcnt lgkmcnt(0)
	ds_write_b64 v7, v[15:16] offset:24
.LBB178_32:
	s_or_b32 exec_lo, exec_lo, s2
	v_lshlrev_b32_e32 v15, 3, v11
	s_waitcnt lgkmcnt(0)
	s_barrier
	buffer_gl0_inv
	ds_read_b64 v[17:18], v6
	ds_read_b128 v[26:29], v15 offset:9088
	v_add_nc_u32_e32 v16, v14, v8
	ds_read_b128 v[6:9], v15 offset:9104
	ds_read_b64 v[23:24], v16
	ds_read2_b64 v[30:33], v5 offset1:33
	v_mov_b32_e32 v36, 0
	v_mov_b32_e32 v37, 0
	v_cmp_gt_u32_e64 s2, 32, v25
	s_waitcnt lgkmcnt(0)
	s_barrier
	buffer_gl0_inv
	v_fma_f64 v[17:18], v[17:18], v[26:27], 0
	v_fma_f64 v[17:18], v[30:31], v[28:29], v[17:18]
	;; [unrolled: 1-line block ×3, first 2 shown]
	v_mul_u32_u24_e32 v7, 33, v1
	v_lshlrev_b32_e32 v26, 3, v7
	v_lshl_add_u32 v27, v13, 3, v26
	v_fma_f64 v[5:6], v[23:24], v[8:9], v[5:6]
	ds_write_b64 v27, v[5:6]
	s_waitcnt lgkmcnt(0)
	s_barrier
	buffer_gl0_inv
	s_and_saveexec_b32 s13, s2
	s_cbranch_execz .LBB178_34
; %bb.33:
	ds_read2_b64 v[5:8], v26 offset1:1
	ds_read2_b64 v[28:31], v26 offset0:2 offset1:3
	s_waitcnt lgkmcnt(1)
	v_add_f64 v[5:6], v[5:6], v[7:8]
	s_waitcnt lgkmcnt(0)
	v_add_f64 v[5:6], v[5:6], v[28:29]
	v_add_f64 v[9:10], v[5:6], v[30:31]
	ds_read2_b64 v[5:8], v26 offset0:4 offset1:5
	ds_read2_b64 v[28:31], v26 offset0:6 offset1:7
	s_waitcnt lgkmcnt(1)
	v_add_f64 v[5:6], v[9:10], v[5:6]
	v_add_f64 v[5:6], v[5:6], v[7:8]
	s_waitcnt lgkmcnt(0)
	v_add_f64 v[5:6], v[5:6], v[28:29]
	v_add_f64 v[36:37], v[5:6], v[30:31]
.LBB178_34:
	s_or_b32 exec_lo, exec_lo, s13
	s_lshl_b32 s22, s12, 5
	v_cndmask_b32_e64 v17, 0, 1, s10
	s_ashr_i32 s23, s22, 31
	s_lshl_b64 s[22:23], s[22:23], 3
	s_barrier
	v_add_co_u32 v3, vcc_lo, v3, s22
	v_add_co_ci_u32_e64 v4, null, s23, v4, vcc_lo
	buffer_gl0_inv
	v_add_co_u32 v18, vcc_lo, 0x100, v3
	v_add_co_ci_u32_e64 v24, null, 0, v4, vcc_lo
	s_andn2_b32 vcc_lo, exec_lo, s10
	s_mov_b32 s10, -1
	s_cbranch_vccnz .LBB178_36
; %bb.35:
	s_lshl_b32 s24, s12, 3
	s_ashr_i32 s13, s12, 31
	s_ashr_i32 s25, s24, 31
	v_mad_u32_u24 v23, 0x108, v13, v14
	s_lshl_b64 s[24:25], s[24:25], 3
	s_mov_b32 s10, 0
	v_add_co_u32 v5, vcc_lo, v3, s24
	v_add_co_ci_u32_e64 v6, null, s25, v4, vcc_lo
	s_lshl_b64 s[24:25], s[12:13], 6
	v_add_co_u32 v7, vcc_lo, v5, s24
	v_add_co_ci_u32_e64 v8, null, s25, v6, vcc_lo
	v_add_co_u32 v9, vcc_lo, v7, s24
	v_add_co_ci_u32_e64 v10, null, s25, v8, vcc_lo
	s_clause 0x3
	flat_load_dwordx2 v[28:29], v[3:4] offset:256
	flat_load_dwordx2 v[5:6], v[5:6] offset:256
	;; [unrolled: 1-line block ×4, first 2 shown]
	s_waitcnt vmcnt(3) lgkmcnt(3)
	ds_write_b64 v23, v[28:29]
	s_waitcnt vmcnt(2) lgkmcnt(3)
	ds_write_b64 v23, v[5:6] offset:2112
	s_waitcnt vmcnt(1) lgkmcnt(3)
	ds_write_b64 v23, v[7:8] offset:4224
	s_waitcnt vmcnt(0) lgkmcnt(3)
	ds_write_b64 v23, v[9:10] offset:6336
.LBB178_36:
	s_andn2_b32 vcc_lo, exec_lo, s10
	s_cbranch_vccnz .LBB178_46
; %bb.37:
	v_sub_co_u32 v3, vcc_lo, v3, v14
	s_ashr_i32 s19, s18, 31
	v_subrev_co_ci_u32_e64 v4, null, 0, v4, vcc_lo
	s_lshl_b64 s[24:25], s[18:19], 3
	v_or_b32_e32 v5, 32, v1
	v_add_co_u32 v3, vcc_lo, v3, s24
	v_add_co_ci_u32_e64 v4, null, s25, v4, vcc_lo
	v_mov_b32_e32 v7, 0
	v_add_co_u32 v3, vcc_lo, v3, -8
	v_add_co_ci_u32_e64 v4, null, -1, v4, vcc_lo
	v_cmp_gt_i32_e32 vcc_lo, s18, v5
	v_mov_b32_e32 v5, 0
	v_mov_b32_e32 v8, 0
	;; [unrolled: 1-line block ×3, first 2 shown]
	s_sub_i32 s13, s18, 32
	v_cndmask_b32_e32 v4, v4, v24, vcc_lo
	v_cndmask_b32_e32 v3, v3, v18, vcc_lo
	s_mov_b32 s19, exec_lo
	v_cmpx_gt_i32_e64 s13, v13
	s_cbranch_execz .LBB178_39
; %bb.38:
	flat_load_dwordx2 v[5:6], v[3:4]
.LBB178_39:
	s_or_b32 exec_lo, exec_lo, s19
	v_add_nc_u32_e32 v10, 8, v13
	v_mul_u32_u24_e32 v9, 0x108, v13
	v_mad_u32_u24 v23, 0x108, v13, v14
	s_mov_b32 s19, exec_lo
	s_waitcnt vmcnt(0) lgkmcnt(0)
	ds_write_b64 v23, v[5:6]
	v_cmpx_gt_i32_e64 s13, v10
	s_cbranch_execz .LBB178_41
; %bb.40:
	s_lshl_b32 s28, s12, 3
	s_ashr_i32 s29, s28, 31
	s_lshl_b64 s[28:29], s[28:29], 3
	v_add_co_u32 v5, s10, v3, s28
	v_add_co_ci_u32_e64 v6, null, s29, v4, s10
	flat_load_dwordx2 v[7:8], v[5:6]
.LBB178_41:
	s_or_b32 exec_lo, exec_lo, s19
	v_add_nc_u32_e32 v23, v9, v14
	v_mov_b32_e32 v5, 0
	v_mov_b32_e32 v9, 0
	v_add_nc_u32_e32 v28, 16, v13
	v_mov_b32_e32 v6, 0
	v_mov_b32_e32 v10, 0
	s_mov_b32 s19, exec_lo
	s_waitcnt vmcnt(0) lgkmcnt(0)
	ds_write_b64 v23, v[7:8] offset:2112
	v_cmpx_gt_i32_e64 s13, v28
	s_cbranch_execz .LBB178_43
; %bb.42:
	s_lshl_b32 s28, s12, 4
	s_ashr_i32 s29, s28, 31
	s_lshl_b64 s[28:29], s[28:29], 3
	v_add_co_u32 v7, s10, v3, s28
	v_add_co_ci_u32_e64 v8, null, s29, v4, s10
	flat_load_dwordx2 v[9:10], v[7:8]
.LBB178_43:
	s_or_b32 exec_lo, exec_lo, s19
	v_add_nc_u32_e32 v7, 24, v13
	s_waitcnt vmcnt(0) lgkmcnt(0)
	ds_write_b64 v23, v[9:10] offset:4224
	v_cmp_gt_i32_e64 s10, s13, v7
	s_and_saveexec_b32 s13, s10
	s_cbranch_execz .LBB178_45
; %bb.44:
	s_mul_i32 s28, s12, 24
	s_ashr_i32 s29, s28, 31
	s_lshl_b64 s[28:29], s[28:29], 3
	v_add_co_u32 v5, s10, v3, s28
	v_add_co_ci_u32_e64 v6, null, s29, v4, s10
	flat_load_dwordx2 v[5:6], v[5:6]
.LBB178_45:
	s_or_b32 exec_lo, exec_lo, s13
	v_add_co_u32 v3, s10, v3, v14
	v_add_co_ci_u32_e64 v4, null, 0, v4, s10
	s_waitcnt vmcnt(0) lgkmcnt(0)
	ds_write_b64 v23, v[5:6] offset:6336
	v_sub_co_u32 v3, s10, v3, s24
	v_subrev_co_ci_u32_e64 v4, null, s25, v4, s10
	v_add_co_u32 v3, s10, 0x108, v3
	v_add_co_ci_u32_e64 v4, null, 0, v4, s10
	v_cndmask_b32_e32 v18, v3, v18, vcc_lo
	v_cndmask_b32_e32 v24, v4, v24, vcc_lo
.LBB178_46:
	v_mul_u32_u24_e32 v4, 0x420, v13
	v_add_nc_u32_e32 v15, 0x2380, v15
	v_mul_u32_u24_e32 v3, 0x108, v12
	s_waitcnt lgkmcnt(0)
	s_barrier
	v_add_nc_u32_e32 v4, v14, v4
	buffer_gl0_inv
	s_and_saveexec_b32 s10, s3
	s_cbranch_execnz .LBB178_55
; %bb.47:
	s_or_b32 exec_lo, exec_lo, s10
	v_add_nc_u32_e32 v3, v14, v3
	s_and_saveexec_b32 s3, s7
	s_cbranch_execnz .LBB178_56
.LBB178_48:
	s_or_b32 exec_lo, exec_lo, s3
	s_and_saveexec_b32 s3, s8
	s_cbranch_execnz .LBB178_57
.LBB178_49:
	s_or_b32 exec_lo, exec_lo, s3
	s_and_saveexec_b32 s3, s9
	s_cbranch_execz .LBB178_51
.LBB178_50:
	ds_read_b64 v[5:6], v16
	v_lshl_add_u32 v7, v11, 3, v26
	s_waitcnt lgkmcnt(0)
	ds_write_b64 v7, v[5:6] offset:24
.LBB178_51:
	s_or_b32 exec_lo, exec_lo, s3
	s_waitcnt lgkmcnt(0)
	s_barrier
	buffer_gl0_inv
	ds_read_b64 v[8:9], v4
	ds_read_b128 v[4:7], v15 offset:256
	ds_read_b128 v[28:31], v15 offset:272
	ds_read_b64 v[32:33], v16
	ds_read2_b64 v[38:41], v3 offset1:33
	v_cmp_eq_u32_e64 s3, 1, v13
	s_waitcnt lgkmcnt(0)
	s_barrier
	buffer_gl0_inv
	v_fma_f64 v[4:5], v[8:9], v[4:5], 0
	v_fma_f64 v[3:4], v[38:39], v[6:7], v[4:5]
	;; [unrolled: 1-line block ×4, first 2 shown]
	ds_write_b64 v27, v[3:4]
	s_waitcnt lgkmcnt(0)
	s_barrier
	buffer_gl0_inv
	s_and_saveexec_b32 s7, s3
	s_cbranch_execz .LBB178_53
; %bb.52:
	ds_read2_b64 v[3:6], v26 offset1:1
	ds_read2_b64 v[7:10], v26 offset0:2 offset1:3
	s_waitcnt lgkmcnt(1)
	v_add_f64 v[3:4], v[3:4], v[5:6]
	s_waitcnt lgkmcnt(0)
	v_add_f64 v[3:4], v[3:4], v[7:8]
	v_add_f64 v[28:29], v[3:4], v[9:10]
	ds_read2_b64 v[3:6], v26 offset0:4 offset1:5
	ds_read2_b64 v[7:10], v26 offset0:6 offset1:7
	s_waitcnt lgkmcnt(1)
	v_add_f64 v[3:4], v[28:29], v[3:4]
	v_add_f64 v[3:4], v[3:4], v[5:6]
	s_waitcnt lgkmcnt(0)
	v_add_f64 v[3:4], v[3:4], v[7:8]
	v_add_f64 v[36:37], v[3:4], v[9:10]
.LBB178_53:
	s_or_b32 exec_lo, exec_lo, s7
	v_cmp_ne_u32_e32 vcc_lo, 1, v17
	v_sub_co_u32 v23, s7, v18, s22
	v_subrev_co_ci_u32_e64 v24, null, s23, v24, s7
	s_barrier
	buffer_gl0_inv
	s_cbranch_vccnz .LBB178_58
; %bb.54:
	s_lshl_b32 s8, s12, 3
	s_ashr_i32 s13, s12, 31
	s_ashr_i32 s9, s8, 31
	flat_load_dwordx2 v[3:4], v[23:24]
	s_lshl_b64 s[8:9], s[8:9], 3
	s_movk_i32 s7, 0x840
	v_add_co_u32 v5, vcc_lo, v23, s8
	v_add_co_ci_u32_e64 v6, null, s9, v24, vcc_lo
	s_lshl_b64 s[8:9], s[12:13], 6
	v_mad_u32_u24 v18, 0x108, v13, s7
	v_add_co_u32 v7, vcc_lo, v5, s8
	v_add_co_ci_u32_e64 v8, null, s9, v6, vcc_lo
	s_movk_i32 s7, 0x18c0
	v_add_co_u32 v9, vcc_lo, v7, s8
	v_add_co_ci_u32_e64 v10, null, s9, v8, vcc_lo
	s_clause 0x2
	flat_load_dwordx2 v[5:6], v[5:6]
	flat_load_dwordx2 v[28:29], v[7:8]
	;; [unrolled: 1-line block ×3, first 2 shown]
	v_mad_u32_u24 v8, 0x108, v13, v14
	s_movk_i32 s8, 0x1080
	v_mul_u32_u24_e32 v12, 0x108, v13
	v_mad_u32_u24 v7, 0x108, v13, s8
	v_add_nc_u32_e32 v16, 8, v13
	v_add_nc_u32_e32 v17, 16, v13
	;; [unrolled: 1-line block ×3, first 2 shown]
	s_waitcnt vmcnt(3) lgkmcnt(3)
	ds_write_b64 v8, v[3:4]
	v_mad_u32_u24 v3, 0x108, v13, s7
	v_add_nc_u32_e32 v4, v14, v18
	v_add_nc_u32_e32 v8, 24, v13
	s_waitcnt vmcnt(2) lgkmcnt(3)
	ds_write_b64 v4, v[5:6]
	s_waitcnt vmcnt(1) lgkmcnt(3)
	ds_write_b64 v30, v[28:29]
	v_add_nc_u32_e32 v31, v14, v3
	s_waitcnt vmcnt(0) lgkmcnt(3)
	ds_write_b64 v31, v[9:10]
	s_cbranch_execz .LBB178_59
	s_branch .LBB178_68
.LBB178_55:
	ds_read_b64 v[5:6], v4
	v_lshl_add_u32 v7, v11, 3, v26
	s_waitcnt lgkmcnt(0)
	ds_write_b64 v7, v[5:6]
	s_or_b32 exec_lo, exec_lo, s10
	v_add_nc_u32_e32 v3, v14, v3
	s_and_saveexec_b32 s3, s7
	s_cbranch_execz .LBB178_48
.LBB178_56:
	ds_read_b64 v[5:6], v3
	v_lshl_add_u32 v7, v11, 3, v26
	s_waitcnt lgkmcnt(0)
	ds_write_b64 v7, v[5:6] offset:8
	s_or_b32 exec_lo, exec_lo, s3
	s_and_saveexec_b32 s3, s8
	s_cbranch_execz .LBB178_49
.LBB178_57:
	ds_read_b64 v[5:6], v3 offset:264
	v_lshl_add_u32 v7, v11, 3, v26
	s_waitcnt lgkmcnt(0)
	ds_write_b64 v7, v[5:6] offset:16
	s_or_b32 exec_lo, exec_lo, s3
	s_and_saveexec_b32 s3, s9
	s_cbranch_execnz .LBB178_50
	s_branch .LBB178_51
.LBB178_58:
                                        ; implicit-def: $vgpr12
                                        ; implicit-def: $vgpr16
                                        ; implicit-def: $vgpr18
                                        ; implicit-def: $vgpr17
                                        ; implicit-def: $vgpr7
                                        ; implicit-def: $vgpr8
                                        ; implicit-def: $vgpr3
.LBB178_59:
	v_or_b32_e32 v1, 32, v1
	s_ashr_i32 s19, s18, 31
	v_mov_b32_e32 v7, 0
	s_lshl_b64 s[8:9], s[18:19], 3
	v_mov_b32_e32 v5, 0
	v_lshlrev_b32_e32 v3, 3, v1
	v_mov_b32_e32 v8, 0
	v_mov_b32_e32 v6, 0
	s_mov_b32 s10, exec_lo
	v_sub_co_u32 v3, vcc_lo, v23, v3
	v_subrev_co_ci_u32_e64 v4, null, 0, v24, vcc_lo
	v_add_co_u32 v3, vcc_lo, v3, s8
	v_add_co_ci_u32_e64 v4, null, s9, v4, vcc_lo
	v_add_co_u32 v3, vcc_lo, v3, -8
	v_add_co_ci_u32_e64 v4, null, -1, v4, vcc_lo
	v_cmp_gt_i32_e32 vcc_lo, s18, v1
	v_cndmask_b32_e32 v4, v4, v24, vcc_lo
	v_cndmask_b32_e32 v3, v3, v23, vcc_lo
	v_cmpx_gt_i32_e64 s18, v13
	s_cbranch_execz .LBB178_61
; %bb.60:
	flat_load_dwordx2 v[5:6], v[3:4]
.LBB178_61:
	s_or_b32 exec_lo, exec_lo, s10
	v_add_nc_u32_e32 v16, 8, v13
	v_mul_u32_u24_e32 v12, 0x108, v13
	v_mad_u32_u24 v1, 0x108, v13, v14
	s_mov_b32 s10, exec_lo
	s_waitcnt vmcnt(0) lgkmcnt(0)
	ds_write_b64 v1, v[5:6]
	v_cmpx_gt_i32_e64 s18, v16
	s_cbranch_execz .LBB178_63
; %bb.62:
	s_lshl_b32 s22, s12, 3
	s_ashr_i32 s23, s22, 31
	s_lshl_b64 s[22:23], s[22:23], 3
	v_add_co_u32 v5, s7, v3, s22
	v_add_co_ci_u32_e64 v6, null, s23, v4, s7
	flat_load_dwordx2 v[7:8], v[5:6]
.LBB178_63:
	s_or_b32 exec_lo, exec_lo, s10
	v_add_nc_u32_e32 v18, 0x840, v12
	v_mov_b32_e32 v5, 0
	v_mov_b32_e32 v9, 0
	v_add_nc_u32_e32 v17, 16, v13
	v_mov_b32_e32 v6, 0
	v_add_nc_u32_e32 v1, v14, v18
	v_mov_b32_e32 v10, 0
	s_mov_b32 s10, exec_lo
	s_waitcnt vmcnt(0) lgkmcnt(0)
	ds_write_b64 v1, v[7:8]
	v_cmpx_gt_i32_e64 s18, v17
	s_cbranch_execz .LBB178_65
; %bb.64:
	s_lshl_b32 s22, s12, 4
	s_ashr_i32 s23, s22, 31
	s_lshl_b64 s[22:23], s[22:23], 3
	v_add_co_u32 v7, s7, v3, s22
	v_add_co_ci_u32_e64 v8, null, s23, v4, s7
	flat_load_dwordx2 v[9:10], v[7:8]
.LBB178_65:
	s_or_b32 exec_lo, exec_lo, s10
	v_add_nc_u32_e32 v7, 0x840, v18
	v_add_nc_u32_e32 v8, 24, v13
	s_mov_b32 s10, exec_lo
	v_add_nc_u32_e32 v1, v14, v7
	s_waitcnt vmcnt(0) lgkmcnt(0)
	ds_write_b64 v1, v[9:10]
	v_cmpx_gt_i32_e64 s18, v8
	s_cbranch_execz .LBB178_67
; %bb.66:
	s_mul_i32 s22, s12, 24
	s_ashr_i32 s23, s22, 31
	s_lshl_b64 s[22:23], s[22:23], 3
	v_add_co_u32 v5, s7, v3, s22
	v_add_co_ci_u32_e64 v6, null, s23, v4, s7
	flat_load_dwordx2 v[5:6], v[5:6]
.LBB178_67:
	s_or_b32 exec_lo, exec_lo, s10
	v_add_co_u32 v1, s7, v3, v14
	v_add_co_ci_u32_e64 v3, null, 0, v4, s7
	v_sub_co_u32 v1, s7, v1, s8
	v_subrev_co_ci_u32_e64 v4, null, s9, v3, s7
	v_add_nc_u32_e32 v3, 0x840, v7
	v_add_co_u32 v1, s7, 0x108, v1
	v_add_co_ci_u32_e64 v4, null, 0, v4, s7
	v_add_nc_u32_e32 v9, v14, v3
	v_cndmask_b32_e32 v23, v1, v23, vcc_lo
	v_cndmask_b32_e32 v24, v4, v24, vcc_lo
	s_waitcnt vmcnt(0) lgkmcnt(0)
	ds_write_b64 v9, v[5:6]
.LBB178_68:
	v_add_nc_u32_e32 v1, v14, v12
	v_lshlrev_b32_e32 v6, 3, v13
	s_waitcnt lgkmcnt(0)
	s_barrier
	buffer_gl0_inv
	ds_read_b64 v[4:5], v1
	ds_read_b64 v[9:10], v6 offset:9088
	v_add_nc_u32_e32 v1, v14, v18
	v_lshlrev_b32_e32 v6, 3, v16
	ds_read_b64 v[12:13], v1
	ds_read_b64 v[28:29], v6 offset:9088
	v_add_nc_u32_e32 v1, v14, v7
	s_waitcnt lgkmcnt(2)
	v_fma_f64 v[4:5], v[4:5], v[9:10], 0
	v_lshlrev_b32_e32 v9, 3, v17
	ds_read_b64 v[6:7], v1
	ds_read_b64 v[9:10], v9 offset:9088
	v_add_nc_u32_e32 v1, v14, v3
	v_lshlrev_b32_e32 v3, 3, v8
	s_waitcnt lgkmcnt(2)
	v_fma_f64 v[4:5], v[12:13], v[28:29], v[4:5]
	ds_read_b64 v[12:13], v1
	ds_read_b64 v[16:17], v3 offset:9088
	v_lshl_add_u32 v1, v11, 3, v26
	s_waitcnt lgkmcnt(2)
	v_fma_f64 v[3:4], v[6:7], v[9:10], v[4:5]
	s_waitcnt lgkmcnt(0)
	v_fma_f64 v[28:29], v[12:13], v[16:17], v[3:4]
	ds_read_b128 v[11:14], v15 offset:256
	ds_read_b128 v[3:6], v15 offset:272
	ds_read2_b64 v[15:18], v1 offset1:1
	ds_read2_b64 v[7:10], v1 offset0:2 offset1:3
	s_waitcnt lgkmcnt(0)
	s_barrier
	buffer_gl0_inv
	ds_write_b64 v27, v[28:29]
	s_waitcnt lgkmcnt(0)
	s_barrier
	buffer_gl0_inv
	s_and_saveexec_b32 s7, s3
	s_cbranch_execz .LBB178_70
; %bb.69:
	ds_read2_b64 v[28:31], v26 offset1:1
	ds_read2_b64 v[38:41], v26 offset0:2 offset1:3
	s_waitcnt lgkmcnt(1)
	v_add_f64 v[28:29], v[36:37], v[28:29]
	v_add_f64 v[28:29], v[28:29], v[30:31]
	s_waitcnt lgkmcnt(0)
	v_add_f64 v[28:29], v[28:29], v[38:39]
	v_add_f64 v[32:33], v[28:29], v[40:41]
	ds_read2_b64 v[28:31], v26 offset0:4 offset1:5
	ds_read2_b64 v[36:39], v26 offset0:6 offset1:7
	s_waitcnt lgkmcnt(1)
	v_add_f64 v[28:29], v[32:33], v[28:29]
	v_add_f64 v[28:29], v[28:29], v[30:31]
	s_waitcnt lgkmcnt(0)
	v_add_f64 v[28:29], v[28:29], v[36:37]
	v_add_f64 v[36:37], v[28:29], v[38:39]
.LBB178_70:
	s_or_b32 exec_lo, exec_lo, s7
	v_fma_f64 v[11:12], v[15:16], v[11:12], 0
	s_barrier
	buffer_gl0_inv
	v_fma_f64 v[11:12], v[17:18], v[13:14], v[11:12]
	v_fma_f64 v[3:4], v[7:8], v[3:4], v[11:12]
	;; [unrolled: 1-line block ×3, first 2 shown]
	ds_write_b64 v27, v[3:4]
	s_waitcnt lgkmcnt(0)
	s_barrier
	buffer_gl0_inv
	s_and_saveexec_b32 s3, s2
	s_cbranch_execz .LBB178_72
; %bb.71:
	ds_read2_b64 v[3:6], v26 offset1:1
	ds_read2_b64 v[7:10], v26 offset0:2 offset1:3
	s_waitcnt lgkmcnt(1)
	v_add_f64 v[3:4], v[36:37], v[3:4]
	v_add_f64 v[3:4], v[3:4], v[5:6]
	s_waitcnt lgkmcnt(0)
	v_add_f64 v[3:4], v[3:4], v[7:8]
	v_add_f64 v[11:12], v[3:4], v[9:10]
	ds_read2_b64 v[3:6], v26 offset0:4 offset1:5
	ds_read2_b64 v[7:10], v26 offset0:6 offset1:7
	s_waitcnt lgkmcnt(1)
	v_add_f64 v[3:4], v[11:12], v[3:4]
	v_add_f64 v[3:4], v[3:4], v[5:6]
	s_waitcnt lgkmcnt(0)
	v_add_f64 v[3:4], v[3:4], v[7:8]
	v_add_f64 v[36:37], v[3:4], v[9:10]
.LBB178_72:
	s_or_b32 exec_lo, exec_lo, s3
	s_load_dwordx2 s[2:3], s[4:5], 0x68
	s_mul_hi_u32 s4, s15, s14
	s_mul_i32 s27, s27, s14
	s_mul_i32 s5, s15, s14
	s_add_i32 s4, s4, s27
	s_mul_hi_u32 s7, s5, s26
	s_mul_i32 s8, s4, s26
	s_mul_i32 s4, s5, s26
	s_add_i32 s5, s7, s8
	s_mul_i32 s8, s15, s6
	s_lshl_b64 s[4:5], s[4:5], 3
	v_cmp_le_i32_e32 vcc_lo, s18, v0
	v_lshlrev_b32_e32 v72, 3, v0
	s_waitcnt lgkmcnt(0)
	s_barrier
	buffer_gl0_inv
	s_add_u32 s4, s2, s4
	s_addc_u32 s5, s3, s5
	s_ashr_i32 s9, s8, 31
	s_lshl_b64 s[2:3], s[8:9], 3
	s_add_u32 s7, s4, s2
	s_addc_u32 s22, s5, s3
	s_and_b32 vcc_lo, s17, vcc_lo
	s_cmp_lt_i32 s6, 1
	s_cbranch_scc1 .LBB178_79
; %bb.73:
	v_mul_lo_u32 v1, v2, s12
	v_sub_co_u32 v7, s2, v23, s20
	v_subrev_co_ci_u32_e64 v8, null, s21, v24, s2
	s_ashr_i32 s19, s18, 31
	v_add_co_u32 v7, s2, 0xffffff00, v7
	v_lshl_add_u32 v3, v1, 2, v0
	v_add_co_ci_u32_e64 v8, null, -1, v8, s2
	v_sub_co_u32 v7, s2, v7, v21
	v_ashrrev_i32_e32 v4, 31, v3
	v_sub_co_ci_u32_e64 v8, null, v8, v22, s2
	v_lshrrev_b32_e32 v5, 4, v25
	v_and_b32_e32 v6, 15, v0
	v_lshlrev_b64 v[3:4], 3, v[3:4]
	s_mul_i32 s4, s11, s16
	v_mov_b32_e32 v1, 0
	s_ashr_i32 s5, s4, 31
	v_add_nc_u32_e32 v75, 0x2180, v72
	s_lshl_b64 s[4:5], s[4:5], 3
	v_add_co_u32 v3, s2, v7, v3
	v_add_co_ci_u32_e64 v4, null, v8, v4, s2
	v_lshl_add_u32 v76, v2, 5, 0x2180
	v_sub_co_u32 v7, s2, v3, v72
	v_subrev_co_ci_u32_e64 v8, null, 0, v4, s2
	s_lshl_b64 s[2:3], s[18:19], 3
	v_add_nc_u32_e32 v77, 0x2380, v72
	v_add_co_u32 v7, s2, v7, s2
	v_add_co_ci_u32_e64 v8, null, s3, v8, s2
	v_mad_u32_u24 v78, 0x860, v2, v72
	v_add_co_u32 v7, s2, v7, -8
	v_add_co_ci_u32_e64 v8, null, -1, v8, s2
	v_sub_co_u32 v73, s2, v19, s4
	v_cndmask_b32_e32 v38, v3, v7, vcc_lo
	v_cndmask_b32_e32 v39, v4, v8, vcc_lo
	v_and_b32_e32 v3, 48, v0
	v_lshlrev_b32_e32 v4, 5, v5
	v_mul_i32_i24_e32 v5, 0xffffffe8, v5
	v_subrev_co_ci_u32_e64 v74, null, s5, v20, s2
	v_lshlrev_b32_e32 v3, 3, v3
	v_mad_u32_u24 v79, 0x218, v6, v4
	v_or_b32_e32 v4, 0x78, v72
	v_cmp_gt_u32_e64 s2, 64, v25
	s_ashr_i32 s13, s12, 31
	v_mad_u32_u24 v80, 0x218, v6, v3
	v_add_nc_u32_e32 v82, v79, v5
	v_mad_u32_u24 v81, 0x218, v6, v4
	s_lshl_b32 s18, s11, 6
	s_lshl_b64 s[4:5], s[12:13], 3
	s_lshl_b64 s[8:9], s[12:13], 4
	;; [unrolled: 1-line block ×3, first 2 shown]
	s_mul_hi_i32 s19, s12, 24
	s_mul_i32 s20, s12, 24
	s_lshl_b64 s[14:15], s[12:13], 7
	s_mul_hi_i32 s21, s12, 0x90
	s_mul_i32 s23, s12, 0x90
	s_mul_hi_i32 s24, s12, 0x98
	s_mul_i32 s25, s12, 0x98
	s_lshl_b64 s[16:17], s[12:13], 8
	s_mul_hi_i32 s26, s12, 0x110
	s_mul_i32 s27, s12, 0x110
	s_mul_hi_i32 s28, s12, 0x118
	s_mul_i32 s29, s12, 0x118
	;; [unrolled: 2-line block ×8, first 2 shown]
	s_mov_b32 s12, 0
	s_branch .LBB178_75
.LBB178_74:                             ;   in Loop: Header=BB178_75 Depth=1
	s_or_b32 exec_lo, exec_lo, s13
	v_fma_f64 v[7:8], v[40:41], v[7:8], v[36:37]
	v_add_co_u32 v38, s3, v38, s10
	v_add_co_ci_u32_e64 v39, null, s11, v39, s3
	v_add_nc_u32_e32 v0, 64, v0
	s_add_i32 s6, s6, -1
	s_add_i32 s12, s12, s18
	s_cmp_eq_u32 s6, 0
	s_waitcnt_vscnt null, 0x0
	s_barrier
	buffer_gl0_inv
	v_fma_f64 v[7:8], v[42:43], v[9:10], v[7:8]
	v_fma_f64 v[3:4], v[44:45], v[3:4], v[7:8]
	;; [unrolled: 1-line block ×15, first 2 shown]
	s_cbranch_scc1 .LBB178_79
.LBB178_75:                             ; =>This Inner Loop Header: Depth=1
	s_and_saveexec_b32 s43, s1
	s_cbranch_execz .LBB178_77
; %bb.76:                               ;   in Loop: Header=BB178_75 Depth=1
	s_ashr_i32 s13, s12, 31
	s_lshl_b64 s[44:45], s[12:13], 3
	v_add_co_u32 v3, s3, v73, s44
	v_add_co_ci_u32_e64 v4, null, s45, v74, s3
	flat_load_dwordx2 v[3:4], v[3:4]
	s_waitcnt vmcnt(0) lgkmcnt(0)
	ds_write_b64 v75, v[3:4]
.LBB178_77:                             ;   in Loop: Header=BB178_75 Depth=1
	s_or_b32 exec_lo, exec_lo, s43
	v_add_co_u32 v3, s3, v38, s4
	v_add_co_ci_u32_e64 v4, null, s5, v39, s3
	v_add_co_u32 v5, s3, v38, s8
	v_add_co_ci_u32_e64 v6, null, s9, v39, s3
	;; [unrolled: 2-line block ×3, first 2 shown]
	s_waitcnt lgkmcnt(0)
	s_barrier
	buffer_gl0_inv
	s_clause 0x3
	flat_load_dwordx2 v[40:41], v[38:39]
	flat_load_dwordx2 v[42:43], v[3:4]
	;; [unrolled: 1-line block ×4, first 2 shown]
	ds_read_b64 v[3:4], v77
	v_add_co_u32 v19, s3, v38, s14
	v_add_co_ci_u32_e64 v20, null, s15, v39, s3
	v_add_co_u32 v21, s3, v38, s42
	v_add_co_ci_u32_e64 v22, null, s41, v39, s3
	;; [unrolled: 2-line block ×12, first 2 shown]
	s_waitcnt vmcnt(3) lgkmcnt(0)
	v_mul_f64 v[11:12], v[40:41], v[3:4]
	s_waitcnt vmcnt(2)
	v_mul_f64 v[13:14], v[42:43], v[3:4]
	s_waitcnt vmcnt(1)
	;; [unrolled: 2-line block ×3, first 2 shown]
	v_mul_f64 v[17:18], v[46:47], v[3:4]
	ds_read_b128 v[7:10], v76
	ds_read_b128 v[3:6], v76 offset:16
	ds_write2_b64 v78, v[11:12], v[13:14] offset1:67
	ds_write2_b64 v78, v[15:16], v[17:18] offset0:134 offset1:201
	s_waitcnt lgkmcnt(0)
	s_barrier
	buffer_gl0_inv
	ds_read2_b64 v[83:86], v79 offset1:1
	ds_read2_b64 v[87:90], v79 offset0:2 offset1:3
	s_waitcnt lgkmcnt(0)
	s_barrier
	buffer_gl0_inv
	s_clause 0x3
	flat_load_dwordx2 v[48:49], v[19:20]
	flat_load_dwordx2 v[50:51], v[21:22]
	;; [unrolled: 1-line block ×4, first 2 shown]
	ds_read_b64 v[11:12], v77
	v_add_f64 v[83:84], v[83:84], 0
	s_waitcnt vmcnt(3) lgkmcnt(0)
	v_mul_f64 v[19:20], v[48:49], v[11:12]
	s_waitcnt vmcnt(2)
	v_mul_f64 v[21:22], v[50:51], v[11:12]
	s_waitcnt vmcnt(1)
	;; [unrolled: 2-line block ×3, first 2 shown]
	v_mul_f64 v[25:26], v[54:55], v[11:12]
	ds_read_b128 v[15:18], v76 offset:128
	ds_read_b128 v[11:14], v76 offset:144
	ds_write2_b64 v78, v[19:20], v[21:22] offset1:67
	ds_write2_b64 v78, v[23:24], v[25:26] offset0:134 offset1:201
	s_waitcnt lgkmcnt(0)
	s_barrier
	buffer_gl0_inv
	ds_read2_b64 v[91:94], v79 offset1:1
	ds_read2_b64 v[95:98], v79 offset0:2 offset1:3
	s_waitcnt lgkmcnt(0)
	s_barrier
	buffer_gl0_inv
	s_clause 0x3
	flat_load_dwordx2 v[56:57], v[27:28]
	flat_load_dwordx2 v[58:59], v[29:30]
	;; [unrolled: 1-line block ×4, first 2 shown]
	ds_read_b64 v[19:20], v77
	v_add_f64 v[91:92], v[91:92], 0
	v_add_f64 v[91:92], v[91:92], v[93:94]
	v_add_f64 v[91:92], v[91:92], v[95:96]
	s_waitcnt vmcnt(3) lgkmcnt(0)
	v_mul_f64 v[27:28], v[56:57], v[19:20]
	s_waitcnt vmcnt(2)
	v_mul_f64 v[29:30], v[58:59], v[19:20]
	s_waitcnt vmcnt(1)
	;; [unrolled: 2-line block ×3, first 2 shown]
	v_mul_f64 v[33:34], v[62:63], v[19:20]
	ds_read_b128 v[19:22], v76 offset:256
	ds_read_b128 v[23:26], v76 offset:272
	ds_write2_b64 v78, v[27:28], v[29:30] offset1:67
	ds_write2_b64 v78, v[31:32], v[33:34] offset0:134 offset1:201
	s_waitcnt lgkmcnt(0)
	s_barrier
	buffer_gl0_inv
	ds_read2_b64 v[99:102], v79 offset1:1
	ds_read2_b64 v[103:106], v79 offset0:2 offset1:3
	s_waitcnt lgkmcnt(0)
	s_barrier
	buffer_gl0_inv
	s_clause 0x3
	flat_load_dwordx2 v[64:65], v[64:65]
	flat_load_dwordx2 v[66:67], v[66:67]
	flat_load_dwordx2 v[68:69], v[68:69]
	flat_load_dwordx2 v[70:71], v[70:71]
	ds_read_b64 v[27:28], v77
	v_add_f64 v[99:100], v[99:100], 0
	v_add_f64 v[93:94], v[99:100], v[101:102]
	;; [unrolled: 1-line block ×3, first 2 shown]
	s_waitcnt vmcnt(3) lgkmcnt(0)
	v_mul_f64 v[107:108], v[64:65], v[27:28]
	s_waitcnt vmcnt(2)
	v_mul_f64 v[109:110], v[66:67], v[27:28]
	s_waitcnt vmcnt(1)
	;; [unrolled: 2-line block ×3, first 2 shown]
	v_mul_f64 v[113:114], v[70:71], v[27:28]
	ds_read_b128 v[27:30], v76 offset:384
	ds_read_b128 v[31:34], v76 offset:400
	ds_write2_b64 v78, v[107:108], v[109:110] offset1:67
	ds_write2_b64 v78, v[111:112], v[113:114] offset0:134 offset1:201
	s_waitcnt lgkmcnt(0)
	s_barrier
	buffer_gl0_inv
	ds_read2_b64 v[107:110], v79 offset1:1
	v_add_f64 v[111:112], v[83:84], v[85:86]
	ds_read2_b64 v[83:86], v79 offset0:2 offset1:3
	s_waitcnt lgkmcnt(0)
	s_barrier
	buffer_gl0_inv
	v_add_f64 v[107:108], v[107:108], 0
	v_add_f64 v[87:88], v[111:112], v[87:88]
	;; [unrolled: 1-line block ×8, first 2 shown]
	ds_write2_b64 v82, v[87:88], v[89:90] offset1:16
	ds_write2_b64 v82, v[91:92], v[83:84] offset0:32 offset1:48
	s_waitcnt lgkmcnt(0)
	s_barrier
	buffer_gl0_inv
	s_and_saveexec_b32 s13, s2
	s_cbranch_execz .LBB178_74
; %bb.78:                               ;   in Loop: Header=BB178_75 Depth=1
	ds_read2_b64 v[83:86], v80 offset1:1
	ds_read2_b64 v[87:90], v80 offset0:2 offset1:3
	s_waitcnt lgkmcnt(1)
	v_add_f64 v[83:84], v[83:84], v[85:86]
	s_waitcnt lgkmcnt(0)
	v_add_f64 v[83:84], v[83:84], v[87:88]
	v_add_f64 v[91:92], v[83:84], v[89:90]
	ds_read2_b64 v[83:86], v80 offset0:4 offset1:5
	ds_read2_b64 v[87:90], v80 offset0:6 offset1:7
	s_waitcnt lgkmcnt(1)
	v_add_f64 v[83:84], v[91:92], v[83:84]
	v_add_f64 v[83:84], v[83:84], v[85:86]
	s_waitcnt lgkmcnt(0)
	v_add_f64 v[83:84], v[83:84], v[87:88]
	v_add_f64 v[91:92], v[83:84], v[89:90]
	ds_read2_b64 v[83:86], v80 offset0:8 offset1:9
	ds_read2_b64 v[87:90], v80 offset0:10 offset1:11
	s_waitcnt lgkmcnt(1)
	v_add_f64 v[83:84], v[91:92], v[83:84]
	v_add_f64 v[83:84], v[83:84], v[85:86]
	s_waitcnt lgkmcnt(0)
	v_add_f64 v[83:84], v[83:84], v[87:88]
	v_add_f64 v[87:88], v[83:84], v[89:90]
	ds_read2_b64 v[83:86], v80 offset0:12 offset1:13
	ds_read_b64 v[89:90], v80 offset:112
	s_waitcnt lgkmcnt(1)
	v_add_f64 v[83:84], v[87:88], v[83:84]
	v_add_f64 v[83:84], v[83:84], v[85:86]
	ds_read_b64 v[85:86], v81
	s_waitcnt lgkmcnt(1)
	v_add_f64 v[83:84], v[83:84], v[89:90]
	s_waitcnt lgkmcnt(0)
	v_add_f64 v[83:84], v[83:84], v[85:86]
	v_lshlrev_b64 v[85:86], 3, v[0:1]
	v_add_co_u32 v85, s3, s7, v85
	v_add_co_ci_u32_e64 v86, null, s22, v86, s3
	global_store_dwordx2 v[85:86], v[83:84], off
	s_branch .LBB178_74
.LBB178_79:
	v_mad_u32_u24 v0, 0x218, v2, v72
	s_nor_b32 s0, s0, vcc_lo
	ds_write_b64 v0, v[36:37]
	s_waitcnt lgkmcnt(0)
	s_barrier
	buffer_gl0_inv
	s_and_saveexec_b32 s1, s0
	s_cbranch_execz .LBB178_4
; %bb.80:
	ds_read2_b64 v[0:3], v72 offset1:67
	v_ashrrev_i32_e32 v36, 31, v35
	s_waitcnt lgkmcnt(0)
	v_add_f64 v[4:5], v[0:1], v[2:3]
	ds_read2_b64 v[0:3], v72 offset0:134 offset1:201
	s_waitcnt lgkmcnt(0)
	v_add_f64 v[0:1], v[4:5], v[0:1]
	v_add_f64 v[0:1], v[0:1], v[2:3]
	v_lshlrev_b64 v[2:3], 3, v[35:36]
	v_add_co_u32 v2, vcc_lo, s7, v2
	v_add_co_ci_u32_e64 v3, null, s22, v3, vcc_lo
	global_store_dwordx2 v[2:3], v[0:1], off
	s_endpgm
	.section	.rodata,"a",@progbits
	.p2align	6, 0x0
	.amdhsa_kernel _ZL26rocblas_hemvn_kernel_lowerILb0ELi64ELi4ELi33ELi32ELi16EidPKPKdPdEviT6_lT7_lT5_lS6_lS7_lS5_lT8_i
		.amdhsa_group_segment_fixed_size 9600
		.amdhsa_private_segment_fixed_size 0
		.amdhsa_kernarg_size 376
		.amdhsa_user_sgpr_count 6
		.amdhsa_user_sgpr_private_segment_buffer 1
		.amdhsa_user_sgpr_dispatch_ptr 0
		.amdhsa_user_sgpr_queue_ptr 0
		.amdhsa_user_sgpr_kernarg_segment_ptr 1
		.amdhsa_user_sgpr_dispatch_id 0
		.amdhsa_user_sgpr_flat_scratch_init 0
		.amdhsa_user_sgpr_private_segment_size 0
		.amdhsa_wavefront_size32 1
		.amdhsa_uses_dynamic_stack 0
		.amdhsa_system_sgpr_private_segment_wavefront_offset 0
		.amdhsa_system_sgpr_workgroup_id_x 1
		.amdhsa_system_sgpr_workgroup_id_y 0
		.amdhsa_system_sgpr_workgroup_id_z 1
		.amdhsa_system_sgpr_workgroup_info 0
		.amdhsa_system_vgpr_workitem_id 1
		.amdhsa_next_free_vgpr 115
		.amdhsa_next_free_sgpr 46
		.amdhsa_reserve_vcc 1
		.amdhsa_reserve_flat_scratch 1
		.amdhsa_float_round_mode_32 0
		.amdhsa_float_round_mode_16_64 0
		.amdhsa_float_denorm_mode_32 3
		.amdhsa_float_denorm_mode_16_64 3
		.amdhsa_dx10_clamp 1
		.amdhsa_ieee_mode 1
		.amdhsa_fp16_overflow 0
		.amdhsa_workgroup_processor_mode 1
		.amdhsa_memory_ordered 1
		.amdhsa_forward_progress 1
		.amdhsa_shared_vgpr_count 0
		.amdhsa_exception_fp_ieee_invalid_op 0
		.amdhsa_exception_fp_denorm_src 0
		.amdhsa_exception_fp_ieee_div_zero 0
		.amdhsa_exception_fp_ieee_overflow 0
		.amdhsa_exception_fp_ieee_underflow 0
		.amdhsa_exception_fp_ieee_inexact 0
		.amdhsa_exception_int_div_zero 0
	.end_amdhsa_kernel
	.section	.text._ZL26rocblas_hemvn_kernel_lowerILb0ELi64ELi4ELi33ELi32ELi16EidPKPKdPdEviT6_lT7_lT5_lS6_lS7_lS5_lT8_i,"axG",@progbits,_ZL26rocblas_hemvn_kernel_lowerILb0ELi64ELi4ELi33ELi32ELi16EidPKPKdPdEviT6_lT7_lT5_lS6_lS7_lS5_lT8_i,comdat
.Lfunc_end178:
	.size	_ZL26rocblas_hemvn_kernel_lowerILb0ELi64ELi4ELi33ELi32ELi16EidPKPKdPdEviT6_lT7_lT5_lS6_lS7_lS5_lT8_i, .Lfunc_end178-_ZL26rocblas_hemvn_kernel_lowerILb0ELi64ELi4ELi33ELi32ELi16EidPKPKdPdEviT6_lT7_lT5_lS6_lS7_lS5_lT8_i
                                        ; -- End function
	.set _ZL26rocblas_hemvn_kernel_lowerILb0ELi64ELi4ELi33ELi32ELi16EidPKPKdPdEviT6_lT7_lT5_lS6_lS7_lS5_lT8_i.num_vgpr, 115
	.set _ZL26rocblas_hemvn_kernel_lowerILb0ELi64ELi4ELi33ELi32ELi16EidPKPKdPdEviT6_lT7_lT5_lS6_lS7_lS5_lT8_i.num_agpr, 0
	.set _ZL26rocblas_hemvn_kernel_lowerILb0ELi64ELi4ELi33ELi32ELi16EidPKPKdPdEviT6_lT7_lT5_lS6_lS7_lS5_lT8_i.numbered_sgpr, 46
	.set _ZL26rocblas_hemvn_kernel_lowerILb0ELi64ELi4ELi33ELi32ELi16EidPKPKdPdEviT6_lT7_lT5_lS6_lS7_lS5_lT8_i.num_named_barrier, 0
	.set _ZL26rocblas_hemvn_kernel_lowerILb0ELi64ELi4ELi33ELi32ELi16EidPKPKdPdEviT6_lT7_lT5_lS6_lS7_lS5_lT8_i.private_seg_size, 0
	.set _ZL26rocblas_hemvn_kernel_lowerILb0ELi64ELi4ELi33ELi32ELi16EidPKPKdPdEviT6_lT7_lT5_lS6_lS7_lS5_lT8_i.uses_vcc, 1
	.set _ZL26rocblas_hemvn_kernel_lowerILb0ELi64ELi4ELi33ELi32ELi16EidPKPKdPdEviT6_lT7_lT5_lS6_lS7_lS5_lT8_i.uses_flat_scratch, 1
	.set _ZL26rocblas_hemvn_kernel_lowerILb0ELi64ELi4ELi33ELi32ELi16EidPKPKdPdEviT6_lT7_lT5_lS6_lS7_lS5_lT8_i.has_dyn_sized_stack, 0
	.set _ZL26rocblas_hemvn_kernel_lowerILb0ELi64ELi4ELi33ELi32ELi16EidPKPKdPdEviT6_lT7_lT5_lS6_lS7_lS5_lT8_i.has_recursion, 0
	.set _ZL26rocblas_hemvn_kernel_lowerILb0ELi64ELi4ELi33ELi32ELi16EidPKPKdPdEviT6_lT7_lT5_lS6_lS7_lS5_lT8_i.has_indirect_call, 0
	.section	.AMDGPU.csdata,"",@progbits
; Kernel info:
; codeLenInByte = 6680
; TotalNumSgprs: 48
; NumVgprs: 115
; ScratchSize: 0
; MemoryBound: 0
; FloatMode: 240
; IeeeMode: 1
; LDSByteSize: 9600 bytes/workgroup (compile time only)
; SGPRBlocks: 0
; VGPRBlocks: 14
; NumSGPRsForWavesPerEU: 48
; NumVGPRsForWavesPerEU: 115
; Occupancy: 8
; WaveLimiterHint : 1
; COMPUTE_PGM_RSRC2:SCRATCH_EN: 0
; COMPUTE_PGM_RSRC2:USER_SGPR: 6
; COMPUTE_PGM_RSRC2:TRAP_HANDLER: 0
; COMPUTE_PGM_RSRC2:TGID_X_EN: 1
; COMPUTE_PGM_RSRC2:TGID_Y_EN: 0
; COMPUTE_PGM_RSRC2:TGID_Z_EN: 1
; COMPUTE_PGM_RSRC2:TIDIG_COMP_CNT: 1
	.section	.text._ZL36rocblas_hemvn_kernel_lower_block_sumILi64EidPKPddEviT1_lS3_lT2_lT0_lPT3_i,"axG",@progbits,_ZL36rocblas_hemvn_kernel_lower_block_sumILi64EidPKPddEviT1_lS3_lT2_lT0_lPT3_i,comdat
	.globl	_ZL36rocblas_hemvn_kernel_lower_block_sumILi64EidPKPddEviT1_lS3_lT2_lT0_lPT3_i ; -- Begin function _ZL36rocblas_hemvn_kernel_lower_block_sumILi64EidPKPddEviT1_lS3_lT2_lT0_lPT3_i
	.p2align	8
	.type	_ZL36rocblas_hemvn_kernel_lower_block_sumILi64EidPKPddEviT1_lS3_lT2_lT0_lPT3_i,@function
_ZL36rocblas_hemvn_kernel_lower_block_sumILi64EidPKPddEviT1_lS3_lT2_lT0_lPT3_i: ; @_ZL36rocblas_hemvn_kernel_lower_block_sumILi64EidPKPddEviT1_lS3_lT2_lT0_lPT3_i
; %bb.0:
	s_clause 0x1
	s_load_dwordx2 s[8:9], s[4:5], 0x8
	s_load_dwordx2 s[10:11], s[4:5], 0x18
	s_waitcnt lgkmcnt(0)
	v_cmp_eq_f64_e64 s0, s[8:9], 0
	v_cmp_eq_f64_e64 s1, s[10:11], 1.0
	s_and_b32 s0, s0, s1
	s_and_b32 vcc_lo, exec_lo, s0
	s_cbranch_vccnz .LBB179_19
; %bb.1:
	s_load_dwordx4 s[16:19], s[4:5], 0x28
	s_mov_b32 s2, s7
	s_mov_b32 s3, 0
	s_clause 0x1
	s_load_dword s15, s[4:5], 0x38
	s_load_dword s12, s[4:5], 0x0
	s_lshl_b64 s[0:1], s[2:3], 3
	v_cmp_neq_f64_e64 s13, s[8:9], 0
	v_lshl_or_b32 v0, s6, 6, v0
	s_waitcnt lgkmcnt(0)
	s_add_u32 s0, s16, s0
	s_addc_u32 s1, s17, s1
	s_lshl_b64 s[16:17], s[18:19], 3
	s_load_dwordx2 s[0:1], s[0:1], 0x0
	s_waitcnt lgkmcnt(0)
	s_add_u32 s7, s0, s16
	v_cmp_gt_i32_e64 s0, s12, v0
	s_addc_u32 s14, s1, s17
	s_and_b32 vcc_lo, exec_lo, s13
	s_cbranch_vccnz .LBB179_6
; %bb.2:
	s_mov_b32 s1, 0
                                        ; implicit-def: $vgpr3_vgpr4
                                        ; implicit-def: $vgpr1_vgpr2
	s_and_saveexec_b32 s13, s0
	s_cbranch_execz .LBB179_7
; %bb.3:
	v_cmp_eq_f64_e64 s0, s[10:11], 0
	v_mul_lo_u32 v1, s15, v0
	v_mov_b32_e32 v3, 0
	v_mov_b32_e32 v4, 0
	v_ashrrev_i32_e32 v2, 31, v1
	s_and_b32 vcc_lo, exec_lo, s0
	s_cbranch_vccnz .LBB179_5
; %bb.4:
	v_lshlrev_b64 v[3:4], 3, v[1:2]
	v_add_co_u32 v3, vcc_lo, s7, v3
	v_add_co_ci_u32_e64 v4, null, s14, v4, vcc_lo
	flat_load_dwordx2 v[3:4], v[3:4]
	s_waitcnt vmcnt(0) lgkmcnt(0)
	v_mul_f64 v[3:4], s[10:11], v[3:4]
.LBB179_5:
	s_mov_b32 s3, exec_lo
	s_or_b32 exec_lo, exec_lo, s13
	s_and_b32 vcc_lo, exec_lo, s1
	s_cbranch_vccnz .LBB179_8
	s_branch .LBB179_17
.LBB179_6:
                                        ; implicit-def: $vgpr3_vgpr4
                                        ; implicit-def: $vgpr1_vgpr2
	s_cbranch_execnz .LBB179_8
	s_branch .LBB179_17
.LBB179_7:
	s_or_b32 exec_lo, exec_lo, s13
	s_and_b32 vcc_lo, exec_lo, s1
	s_cbranch_vccz .LBB179_17
.LBB179_8:
	s_mov_b32 s16, exec_lo
                                        ; implicit-def: $vgpr3_vgpr4
                                        ; implicit-def: $vgpr1_vgpr2
	v_cmpx_gt_i32_e64 s12, v0
	s_cbranch_execz .LBB179_16
; %bb.9:
	s_load_dword s17, s[4:5], 0x58
	v_mov_b32_e32 v5, 0
	v_mov_b32_e32 v6, 0
	s_waitcnt lgkmcnt(0)
	s_cmp_ge_i32 s6, s17
	s_cbranch_scc1 .LBB179_12
; %bb.10:
	s_load_dwordx2 s[0:1], s[4:5], 0x48
	v_mad_u64_u32 v[1:2], null, s12, s6, v[0:1]
	s_ashr_i32 s13, s12, 31
	s_mul_hi_u32 s4, s12, s2
	s_mul_i32 s5, s13, s2
	s_mul_i32 s2, s12, s2
	s_add_i32 s4, s4, s5
	s_mul_hi_u32 s5, s2, s17
	v_ashrrev_i32_e32 v2, 31, v1
	s_mul_i32 s18, s4, s17
	s_mul_i32 s4, s2, s17
	s_add_i32 s5, s5, s18
	v_mov_b32_e32 v5, 0
	v_lshlrev_b64 v[1:2], 3, v[1:2]
	s_lshl_b64 s[4:5], s[4:5], 3
	v_mov_b32_e32 v6, 0
	s_waitcnt lgkmcnt(0)
	s_add_u32 s0, s0, s4
	s_addc_u32 s1, s1, s5
	v_add_co_u32 v1, vcc_lo, s0, v1
	v_add_co_ci_u32_e64 v2, null, s1, v2, vcc_lo
	s_lshl_b64 s[0:1], s[12:13], 3
.LBB179_11:                             ; =>This Inner Loop Header: Depth=1
	global_load_dwordx2 v[3:4], v[1:2], off
	v_add_co_u32 v1, vcc_lo, v1, s0
	v_add_co_ci_u32_e64 v2, null, s1, v2, vcc_lo
	s_add_i32 s6, s6, 1
	s_cmp_ge_i32 s6, s17
	s_waitcnt vmcnt(0)
	v_add_f64 v[5:6], v[5:6], v[3:4]
	s_cbranch_scc0 .LBB179_11
.LBB179_12:
	v_cmp_eq_f64_e64 s0, s[10:11], 0
	v_mul_lo_u32 v1, s15, v0
	v_ashrrev_i32_e32 v2, 31, v1
	s_and_b32 vcc_lo, exec_lo, s0
	s_cbranch_vccz .LBB179_20
; %bb.13:
	v_mul_f64 v[3:4], s[8:9], v[5:6]
	s_cbranch_execnz .LBB179_15
.LBB179_14:
	v_lshlrev_b64 v[3:4], 3, v[1:2]
	v_add_co_u32 v3, vcc_lo, s7, v3
	v_add_co_ci_u32_e64 v4, null, s14, v4, vcc_lo
	flat_load_dwordx2 v[3:4], v[3:4]
	s_waitcnt vmcnt(0) lgkmcnt(0)
	v_mul_f64 v[3:4], s[10:11], v[3:4]
	v_fma_f64 v[3:4], s[8:9], v[5:6], v[3:4]
.LBB179_15:
	s_or_b32 s3, s3, exec_lo
.LBB179_16:
	s_or_b32 exec_lo, exec_lo, s16
.LBB179_17:
	s_and_saveexec_b32 s0, s3
	s_cbranch_execz .LBB179_19
; %bb.18:
	v_lshlrev_b64 v[0:1], 3, v[1:2]
	v_add_co_u32 v0, vcc_lo, s7, v0
	v_add_co_ci_u32_e64 v1, null, s14, v1, vcc_lo
	flat_store_dwordx2 v[0:1], v[3:4]
.LBB179_19:
	s_endpgm
.LBB179_20:
                                        ; implicit-def: $vgpr3_vgpr4
	s_branch .LBB179_14
	.section	.rodata,"a",@progbits
	.p2align	6, 0x0
	.amdhsa_kernel _ZL36rocblas_hemvn_kernel_lower_block_sumILi64EidPKPddEviT1_lS3_lT2_lT0_lPT3_i
		.amdhsa_group_segment_fixed_size 0
		.amdhsa_private_segment_fixed_size 0
		.amdhsa_kernarg_size 344
		.amdhsa_user_sgpr_count 6
		.amdhsa_user_sgpr_private_segment_buffer 1
		.amdhsa_user_sgpr_dispatch_ptr 0
		.amdhsa_user_sgpr_queue_ptr 0
		.amdhsa_user_sgpr_kernarg_segment_ptr 1
		.amdhsa_user_sgpr_dispatch_id 0
		.amdhsa_user_sgpr_flat_scratch_init 0
		.amdhsa_user_sgpr_private_segment_size 0
		.amdhsa_wavefront_size32 1
		.amdhsa_uses_dynamic_stack 0
		.amdhsa_system_sgpr_private_segment_wavefront_offset 0
		.amdhsa_system_sgpr_workgroup_id_x 1
		.amdhsa_system_sgpr_workgroup_id_y 0
		.amdhsa_system_sgpr_workgroup_id_z 1
		.amdhsa_system_sgpr_workgroup_info 0
		.amdhsa_system_vgpr_workitem_id 0
		.amdhsa_next_free_vgpr 7
		.amdhsa_next_free_sgpr 20
		.amdhsa_reserve_vcc 1
		.amdhsa_reserve_flat_scratch 0
		.amdhsa_float_round_mode_32 0
		.amdhsa_float_round_mode_16_64 0
		.amdhsa_float_denorm_mode_32 3
		.amdhsa_float_denorm_mode_16_64 3
		.amdhsa_dx10_clamp 1
		.amdhsa_ieee_mode 1
		.amdhsa_fp16_overflow 0
		.amdhsa_workgroup_processor_mode 1
		.amdhsa_memory_ordered 1
		.amdhsa_forward_progress 1
		.amdhsa_shared_vgpr_count 0
		.amdhsa_exception_fp_ieee_invalid_op 0
		.amdhsa_exception_fp_denorm_src 0
		.amdhsa_exception_fp_ieee_div_zero 0
		.amdhsa_exception_fp_ieee_overflow 0
		.amdhsa_exception_fp_ieee_underflow 0
		.amdhsa_exception_fp_ieee_inexact 0
		.amdhsa_exception_int_div_zero 0
	.end_amdhsa_kernel
	.section	.text._ZL36rocblas_hemvn_kernel_lower_block_sumILi64EidPKPddEviT1_lS3_lT2_lT0_lPT3_i,"axG",@progbits,_ZL36rocblas_hemvn_kernel_lower_block_sumILi64EidPKPddEviT1_lS3_lT2_lT0_lPT3_i,comdat
.Lfunc_end179:
	.size	_ZL36rocblas_hemvn_kernel_lower_block_sumILi64EidPKPddEviT1_lS3_lT2_lT0_lPT3_i, .Lfunc_end179-_ZL36rocblas_hemvn_kernel_lower_block_sumILi64EidPKPddEviT1_lS3_lT2_lT0_lPT3_i
                                        ; -- End function
	.set _ZL36rocblas_hemvn_kernel_lower_block_sumILi64EidPKPddEviT1_lS3_lT2_lT0_lPT3_i.num_vgpr, 7
	.set _ZL36rocblas_hemvn_kernel_lower_block_sumILi64EidPKPddEviT1_lS3_lT2_lT0_lPT3_i.num_agpr, 0
	.set _ZL36rocblas_hemvn_kernel_lower_block_sumILi64EidPKPddEviT1_lS3_lT2_lT0_lPT3_i.numbered_sgpr, 20
	.set _ZL36rocblas_hemvn_kernel_lower_block_sumILi64EidPKPddEviT1_lS3_lT2_lT0_lPT3_i.num_named_barrier, 0
	.set _ZL36rocblas_hemvn_kernel_lower_block_sumILi64EidPKPddEviT1_lS3_lT2_lT0_lPT3_i.private_seg_size, 0
	.set _ZL36rocblas_hemvn_kernel_lower_block_sumILi64EidPKPddEviT1_lS3_lT2_lT0_lPT3_i.uses_vcc, 1
	.set _ZL36rocblas_hemvn_kernel_lower_block_sumILi64EidPKPddEviT1_lS3_lT2_lT0_lPT3_i.uses_flat_scratch, 0
	.set _ZL36rocblas_hemvn_kernel_lower_block_sumILi64EidPKPddEviT1_lS3_lT2_lT0_lPT3_i.has_dyn_sized_stack, 0
	.set _ZL36rocblas_hemvn_kernel_lower_block_sumILi64EidPKPddEviT1_lS3_lT2_lT0_lPT3_i.has_recursion, 0
	.set _ZL36rocblas_hemvn_kernel_lower_block_sumILi64EidPKPddEviT1_lS3_lT2_lT0_lPT3_i.has_indirect_call, 0
	.section	.AMDGPU.csdata,"",@progbits
; Kernel info:
; codeLenInByte = 640
; TotalNumSgprs: 22
; NumVgprs: 7
; ScratchSize: 0
; MemoryBound: 0
; FloatMode: 240
; IeeeMode: 1
; LDSByteSize: 0 bytes/workgroup (compile time only)
; SGPRBlocks: 0
; VGPRBlocks: 0
; NumSGPRsForWavesPerEU: 22
; NumVGPRsForWavesPerEU: 7
; Occupancy: 16
; WaveLimiterHint : 1
; COMPUTE_PGM_RSRC2:SCRATCH_EN: 0
; COMPUTE_PGM_RSRC2:USER_SGPR: 6
; COMPUTE_PGM_RSRC2:TRAP_HANDLER: 0
; COMPUTE_PGM_RSRC2:TGID_X_EN: 1
; COMPUTE_PGM_RSRC2:TGID_Y_EN: 0
; COMPUTE_PGM_RSRC2:TGID_Z_EN: 1
; COMPUTE_PGM_RSRC2:TIDIG_COMP_CNT: 0
	.section	.text._ZL26rocblas_hemvn_kernel_upperILb0ELi64ELi4ELi33ELi32ELi16ElPK19rocblas_complex_numIfEPKS3_PS1_EviT6_lT7_lT5_lS8_lS9_lS7_lT8_i,"axG",@progbits,_ZL26rocblas_hemvn_kernel_upperILb0ELi64ELi4ELi33ELi32ELi16ElPK19rocblas_complex_numIfEPKS3_PS1_EviT6_lT7_lT5_lS8_lS9_lS7_lT8_i,comdat
	.globl	_ZL26rocblas_hemvn_kernel_upperILb0ELi64ELi4ELi33ELi32ELi16ElPK19rocblas_complex_numIfEPKS3_PS1_EviT6_lT7_lT5_lS8_lS9_lS7_lT8_i ; -- Begin function _ZL26rocblas_hemvn_kernel_upperILb0ELi64ELi4ELi33ELi32ELi16ElPK19rocblas_complex_numIfEPKS3_PS1_EviT6_lT7_lT5_lS8_lS9_lS7_lT8_i
	.p2align	8
	.type	_ZL26rocblas_hemvn_kernel_upperILb0ELi64ELi4ELi33ELi32ELi16ElPK19rocblas_complex_numIfEPKS3_PS1_EviT6_lT7_lT5_lS8_lS9_lS7_lT8_i,@function
_ZL26rocblas_hemvn_kernel_upperILb0ELi64ELi4ELi33ELi32ELi16ElPK19rocblas_complex_numIfEPKS3_PS1_EviT6_lT7_lT5_lS8_lS9_lS7_lT8_i: ; @_ZL26rocblas_hemvn_kernel_upperILb0ELi64ELi4ELi33ELi32ELi16ElPK19rocblas_complex_numIfEPKS3_PS1_EviT6_lT7_lT5_lS8_lS9_lS7_lT8_i
; %bb.0:
	s_load_dwordx2 s[0:1], s[4:5], 0x84
	s_add_u32 s16, s4, 0x78
	s_addc_u32 s17, s5, 0
	s_waitcnt lgkmcnt(0)
	s_lshr_b32 s2, s0, 16
	s_and_b32 s0, s0, 0xffff
	s_and_b32 s1, s1, 0xffff
	s_mul_i32 s0, s2, s0
	s_mul_i32 s0, s0, s1
	s_cmpk_lg_i32 s0, 0x100
	s_cbranch_scc1 .LBB180_155
; %bb.1:
	s_load_dwordx8 s[8:15], s[4:5], 0x8
	s_mov_b32 s18, s7
	s_mov_b32 s19, 0
	s_waitcnt lgkmcnt(0)
	s_mul_i32 s0, s11, s7
	s_mul_hi_u32 s1, s10, s7
	s_add_i32 s1, s1, s0
	s_mul_i32 s0, s10, s7
	s_lshl_b64 s[0:1], s[0:1], 3
	s_add_u32 s0, s8, s0
	s_addc_u32 s1, s9, s1
	s_load_dwordx2 s[8:9], s[0:1], 0x0
	s_clause 0x1
	s_load_dwordx2 s[20:21], s[4:5], 0x68
	s_load_dwordx4 s[0:3], s[4:5], 0x58
	s_waitcnt lgkmcnt(0)
	s_or_b32 s7, s8, s9
	s_bitset0_b32 s7, 31
	s_cmp_lg_u32 s7, 0
	s_mov_b32 s7, -1
	s_cbranch_scc1 .LBB180_3
; %bb.2:
	s_mul_i32 s3, s3, s18
	s_mul_hi_u32 s7, s2, s18
	s_mul_i32 s2, s2, s18
	s_add_i32 s3, s7, s3
	s_mov_b32 s7, 0
	s_lshl_b64 s[2:3], s[2:3], 3
	s_add_u32 s0, s0, s2
	s_addc_u32 s1, s1, s3
	s_load_dwordx2 s[0:1], s[0:1], 0x0
	s_waitcnt lgkmcnt(0)
	v_cmp_eq_f32_e64 s0, s0, 1.0
	v_cmp_eq_f32_e64 s1, s1, 0
	s_and_b32 s0, s0, s1
	s_andn2_b32 vcc_lo, exec_lo, s0
.LBB180_3:
	s_andn2_b32 vcc_lo, exec_lo, s7
	s_cbranch_vccnz .LBB180_155
; %bb.4:
	s_clause 0x1
	s_load_dwordx4 s[0:3], s[4:5], 0x38
	s_load_dword s24, s[4:5], 0x0
	s_lshl_b64 s[10:11], s[18:19], 3
	s_load_dwordx2 s[8:9], s[4:5], 0x48
	s_add_u32 s22, s12, s10
	s_addc_u32 s23, s13, s11
	s_load_dword s19, s[16:17], 0x0
	s_waitcnt lgkmcnt(0)
	s_add_u32 s0, s0, s10
	s_addc_u32 s1, s1, s11
	s_lshl_b64 s[2:3], s[2:3], 3
	s_load_dwordx2 s[0:1], s[0:1], 0x0
	s_waitcnt lgkmcnt(0)
	s_add_u32 s0, s0, s2
	s_addc_u32 s1, s1, s3
	s_lshl_b32 s12, s6, 6
	s_load_dwordx2 s[16:17], s[4:5], 0x28
	s_load_dwordx2 s[2:3], s[22:23], 0x0
	v_add_nc_u32_e32 v58, s12, v0
	s_ashr_i32 s25, s24, 31
	s_add_i32 s5, s19, -1
	s_lshr_b32 s4, s25, 26
	v_ashrrev_i32_e32 v59, 31, v58
	v_mul_lo_u32 v4, s9, v58
	v_mad_u64_u32 v[2:3], null, s8, v58, 0
	s_add_i32 s4, s24, s4
	v_mul_lo_u32 v5, s8, v59
	s_andn2_b32 s4, s4, 63
	s_sub_i32 s22, s24, s4
	s_cmp_eq_u32 s6, s5
	s_mov_b32 s4, -1
	s_cselect_b32 s10, s22, 0
	v_add3_u32 v3, v3, v5, v4
	v_lshlrev_b64 v[2:3], 3, v[2:3]
	v_add_co_u32 v16, vcc_lo, s0, v2
	v_add_co_ci_u32_e64 v17, null, s1, v3, vcc_lo
	v_cmp_eq_u32_e64 s0, 0, v1
	s_and_saveexec_b32 s1, s0
	s_cbranch_execz .LBB180_9
; %bb.5:
	v_cmp_le_i32_e32 vcc_lo, s10, v0
	s_cmp_lg_u32 s10, 0
	v_lshl_add_u32 v2, v0, 3, 0x2380
	s_cselect_b32 s5, -1, 0
	s_and_b32 s5, s5, vcc_lo
	s_and_saveexec_b32 s7, s5
	s_xor_b32 s5, exec_lo, s7
; %bb.6:
	v_mov_b32_e32 v3, 0
	v_mov_b32_e32 v4, v3
	ds_write_b64 v2, v[3:4]
                                        ; implicit-def: $vgpr2
; %bb.7:
	s_andn2_saveexec_b32 s5, s5
	s_cbranch_execz .LBB180_9
; %bb.8:
	flat_load_dwordx2 v[3:4], v[16:17]
	s_waitcnt vmcnt(0) lgkmcnt(0)
	ds_write_b64 v2, v[3:4]
.LBB180_9:
	s_or_b32 exec_lo, exec_lo, s1
	v_lshl_add_u32 v24, v1, 6, v0
	v_and_b32_e32 v2, 31, v0
	v_mov_b32_e32 v3, 0
	s_lshl_b64 s[14:15], s[14:15], 3
	s_waitcnt lgkmcnt(0)
	s_mul_hi_u32 s5, s16, s12
	v_lshrrev_b32_e32 v9, 5, v24
	s_add_u32 s11, s2, s14
	s_addc_u32 s3, s3, s15
	s_ashr_i32 s13, s12, 31
	s_mul_i32 s7, s17, s12
	v_mad_u64_u32 v[3:4], null, s16, v9, v[2:3]
	s_lshl_b64 s[14:15], s[12:13], 3
	s_mul_i32 s23, s16, s13
	s_add_u32 s11, s11, s14
	s_addc_u32 s14, s3, s15
	s_add_i32 s3, s5, s23
	s_mul_i32 s2, s16, s12
	v_mad_u64_u32 v[4:5], null, s17, v9, v[4:5]
	s_add_i32 s3, s3, s7
	v_cmp_gt_i32_e64 s1, s10, v2
	s_lshl_b64 s[2:3], s[2:3], 3
	s_cmp_eq_u32 s10, 0
	v_lshlrev_b32_e32 v10, 3, v2
	s_cselect_b32 s23, -1, 0
	v_lshlrev_b64 v[14:15], 3, v[3:4]
	s_cmp_lg_u32 s10, 0
	v_lshlrev_b32_e32 v11, 3, v2
	v_mul_u32_u24_e32 v12, 0x108, v9
	s_cselect_b32 s26, -1, 0
	v_add_co_u32 v3, vcc_lo, s11, v14
	v_add_co_ci_u32_e64 v4, null, s14, v15, vcc_lo
	s_and_b32 vcc_lo, exec_lo, s26
	v_add_co_u32 v5, s2, v3, s2
	v_add_co_ci_u32_e64 v6, null, s3, v4, s2
                                        ; implicit-def: $vgpr3_vgpr4
	s_cbranch_vccz .LBB180_27
; %bb.10:
	v_sub_co_u32 v3, vcc_lo, v5, v10
	s_ashr_i32 s11, s10, 31
	v_subrev_co_ci_u32_e64 v4, null, 0, v6, vcc_lo
	s_lshl_b64 s[2:3], s[10:11], 3
	v_add_nc_u32_e32 v7, v11, v12
	v_add_co_u32 v3, vcc_lo, v3, s2
	v_add_co_ci_u32_e64 v4, null, s3, v4, vcc_lo
	s_mov_b32 s4, exec_lo
	v_add_co_u32 v3, vcc_lo, v3, -8
	v_add_co_ci_u32_e64 v4, null, -1, v4, vcc_lo
	v_cndmask_b32_e64 v3, v3, v5, s1
	v_cndmask_b32_e64 v4, v4, v6, s1
	v_cmpx_le_i32_e64 s10, v9
	s_xor_b32 s4, exec_lo, s4
; %bb.11:
	v_mov_b32_e32 v18, 0
	v_mov_b32_e32 v19, v18
	ds_write_b64 v7, v[18:19]
; %bb.12:
	s_andn2_saveexec_b32 s4, s4
	s_cbranch_execz .LBB180_14
; %bb.13:
	flat_load_dwordx2 v[18:19], v[3:4]
	s_waitcnt vmcnt(0) lgkmcnt(0)
	ds_write_b64 v7, v[18:19]
.LBB180_14:
	s_or_b32 exec_lo, exec_lo, s4
	v_add_nc_u32_e32 v8, 8, v9
	s_mov_b32 s4, exec_lo
	v_cmpx_le_i32_e64 s10, v8
	s_xor_b32 s4, exec_lo, s4
; %bb.15:
	v_mov_b32_e32 v18, 0
	v_mov_b32_e32 v19, v18
	ds_write_b64 v7, v[18:19] offset:2112
; %bb.16:
	s_andn2_saveexec_b32 s4, s4
	s_cbranch_execz .LBB180_18
; %bb.17:
	s_lshl_b64 s[14:15], s[16:17], 6
	v_add_co_u32 v18, vcc_lo, v3, s14
	v_add_co_ci_u32_e64 v19, null, s15, v4, vcc_lo
	flat_load_dwordx2 v[18:19], v[18:19]
	s_waitcnt vmcnt(0) lgkmcnt(0)
	ds_write_b64 v7, v[18:19] offset:2112
.LBB180_18:
	s_or_b32 exec_lo, exec_lo, s4
	v_add_nc_u32_e32 v8, 16, v9
	s_mov_b32 s4, exec_lo
	v_cmpx_le_i32_e64 s10, v8
	s_xor_b32 s4, exec_lo, s4
; %bb.19:
	v_mov_b32_e32 v18, 0
	v_mov_b32_e32 v19, v18
	ds_write_b64 v7, v[18:19] offset:4224
; %bb.20:
	s_andn2_saveexec_b32 s4, s4
	s_cbranch_execz .LBB180_22
; %bb.21:
	s_lshl_b64 s[14:15], s[16:17], 7
	v_add_co_u32 v18, vcc_lo, v3, s14
	v_add_co_ci_u32_e64 v19, null, s15, v4, vcc_lo
	flat_load_dwordx2 v[18:19], v[18:19]
	s_waitcnt vmcnt(0) lgkmcnt(0)
	ds_write_b64 v7, v[18:19] offset:4224
.LBB180_22:
	s_or_b32 exec_lo, exec_lo, s4
	v_add_nc_u32_e32 v8, 24, v9
	s_mov_b32 s4, exec_lo
	v_cmpx_le_i32_e64 s10, v8
	s_xor_b32 s4, exec_lo, s4
; %bb.23:
	v_mov_b32_e32 v18, 0
	v_mov_b32_e32 v19, v18
	ds_write_b64 v7, v[18:19] offset:6336
                                        ; implicit-def: $vgpr7
; %bb.24:
	s_andn2_saveexec_b32 s4, s4
	s_cbranch_execz .LBB180_26
; %bb.25:
	v_mad_u64_u32 v[18:19], null, 0xc0, s16, v[3:4]
	v_mov_b32_e32 v8, v19
	v_mad_u64_u32 v[19:20], null, 0xc0, s17, v[8:9]
	flat_load_dwordx2 v[18:19], v[18:19]
	s_waitcnt vmcnt(0) lgkmcnt(0)
	ds_write_b64 v7, v[18:19] offset:6336
.LBB180_26:
	s_or_b32 exec_lo, exec_lo, s4
	v_add_co_u32 v3, vcc_lo, v3, v10
	v_add_co_ci_u32_e64 v4, null, 0, v4, vcc_lo
	s_mov_b32 s4, 0
	v_sub_co_u32 v3, vcc_lo, v3, s2
	v_subrev_co_ci_u32_e64 v4, null, s3, v4, vcc_lo
	v_add_co_u32 v3, vcc_lo, v3, 8
	v_add_co_ci_u32_e64 v4, null, 0, v4, vcc_lo
	v_cndmask_b32_e64 v3, v3, v5, s1
	v_cndmask_b32_e64 v4, v4, v6, s1
.LBB180_27:
	s_and_b32 vcc_lo, exec_lo, s4
	s_cbranch_vccz .LBB180_29
; %bb.28:
	s_lshl_b64 s[2:3], s[16:17], 6
	v_lshl_add_u32 v13, v2, 3, v12
	v_add_co_u32 v3, vcc_lo, v5, s2
	v_add_co_ci_u32_e64 v4, null, s3, v6, vcc_lo
	v_add_co_u32 v7, vcc_lo, v3, s2
	v_add_co_ci_u32_e64 v8, null, s3, v4, vcc_lo
	v_add_co_u32 v18, vcc_lo, v7, s2
	v_add_co_ci_u32_e64 v19, null, s3, v8, vcc_lo
	s_clause 0x3
	flat_load_dwordx2 v[20:21], v[5:6]
	flat_load_dwordx2 v[22:23], v[3:4]
	;; [unrolled: 1-line block ×4, first 2 shown]
	v_mov_b32_e32 v3, v5
	v_mov_b32_e32 v4, v6
	s_waitcnt vmcnt(3) lgkmcnt(3)
	ds_write_b64 v13, v[20:21]
	s_waitcnt vmcnt(2) lgkmcnt(3)
	ds_write_b64 v13, v[22:23] offset:2112
	s_waitcnt vmcnt(1) lgkmcnt(3)
	ds_write_b64 v13, v[7:8] offset:4224
	;; [unrolled: 2-line block ×3, first 2 shown]
.LBB180_29:
	v_lshlrev_b32_e32 v13, 2, v9
	v_lshl_or_b32 v5, v2, 8, v11
	s_waitcnt lgkmcnt(0)
	s_barrier
	buffer_gl0_inv
	v_cmp_gt_u32_e64 s2, v13, v2
	v_lshl_add_u32 v7, v13, 3, v5
	v_mad_u32_u24 v5, 0x420, v9, v11
	s_and_saveexec_b32 s1, s2
	s_cbranch_execz .LBB180_31
; %bb.30:
	ds_read_b64 v[18:19], v5
	s_waitcnt lgkmcnt(0)
	ds_write_b64 v7, v[18:19]
.LBB180_31:
	s_or_b32 exec_lo, exec_lo, s1
	v_or_b32_e32 v18, 1, v13
	v_cmp_ge_u32_e64 s3, v13, v2
	v_mad_u32_u24 v6, 0x108, v18, v11
	s_and_saveexec_b32 s1, s3
	s_cbranch_execz .LBB180_33
; %bb.32:
	ds_read_b64 v[19:20], v6
	s_waitcnt lgkmcnt(0)
	ds_write_b64 v7, v[19:20] offset:8
.LBB180_33:
	s_or_b32 exec_lo, exec_lo, s1
	v_or_b32_e32 v8, 2, v13
	v_cmp_gt_u32_e64 s4, v8, v2
	s_and_saveexec_b32 s1, s4
	s_cbranch_execz .LBB180_35
; %bb.34:
	v_mad_u32_u24 v8, 0x108, v8, v11
	ds_read_b64 v[19:20], v8
	s_waitcnt lgkmcnt(0)
	ds_write_b64 v7, v[19:20] offset:16
.LBB180_35:
	s_or_b32 exec_lo, exec_lo, s1
	v_or_b32_e32 v19, 3, v13
	s_mov_b32 s1, exec_lo
	v_cmp_gt_u32_e64 s5, v19, v2
	v_mul_u32_u24_e32 v8, 0x108, v19
	v_cmpx_le_u32_e64 v19, v2
	s_xor_b32 s1, exec_lo, s1
; %bb.36:
	v_mul_u32_u24_e32 v8, 0x108, v19
                                        ; implicit-def: $vgpr19
                                        ; implicit-def: $vgpr7
; %bb.37:
	s_andn2_saveexec_b32 s1, s1
	s_cbranch_execz .LBB180_39
; %bb.38:
	v_mad_u32_u24 v19, 0x108, v19, v11
	ds_read_b64 v[19:20], v19
	s_waitcnt lgkmcnt(0)
	ds_write_b64 v7, v[19:20] offset:24
.LBB180_39:
	s_or_b32 exec_lo, exec_lo, s1
	v_lshlrev_b32_e32 v19, 3, v13
	s_waitcnt lgkmcnt(0)
	s_barrier
	buffer_gl0_inv
	ds_read_b64 v[21:22], v5
	ds_read_b128 v[25:28], v19 offset:9088
	ds_read2_b64 v[29:32], v6 offset1:33
	v_add_nc_u32_e32 v20, v11, v8
	ds_read_b128 v[5:8], v19 offset:9104
	ds_read_b64 v[33:34], v20
	v_mul_u32_u24_e32 v23, 33, v2
	v_mov_b32_e32 v60, 0
	v_cmp_gt_u32_e64 s1, 32, v24
	v_mov_b32_e32 v61, 0
	s_waitcnt lgkmcnt(0)
	s_barrier
	buffer_gl0_inv
	v_mul_f32_e32 v35, v26, v22
	v_mul_f32_e32 v22, v25, v22
	v_mul_f32_e32 v36, v28, v30
	v_mul_f32_e32 v30, v27, v30
	v_mul_f32_e32 v37, v6, v32
	v_fma_f32 v25, v25, v21, -v35
	v_fmac_f32_e32 v22, v26, v21
	v_mul_f32_e32 v32, v5, v32
	v_fma_f32 v26, v27, v29, -v36
	v_fmac_f32_e32 v30, v28, v29
	v_add_f32_e32 v25, 0, v25
	v_add_f32_e32 v22, 0, v22
	v_mul_f32_e32 v21, v8, v34
	v_mul_f32_e32 v27, v7, v34
	v_fma_f32 v5, v5, v31, -v37
	v_fmac_f32_e32 v32, v6, v31
	v_add_f32_e32 v6, v25, v26
	v_add_f32_e32 v22, v22, v30
	v_lshlrev_b32_e32 v25, 3, v23
	v_fma_f32 v7, v7, v33, -v21
	v_fmac_f32_e32 v27, v8, v33
	v_add_f32_e32 v5, v6, v5
	v_add_f32_e32 v6, v22, v32
	v_lshl_add_u32 v26, v9, 3, v25
	v_add_f32_e32 v5, v5, v7
	v_add_f32_e32 v6, v6, v27
	ds_write_b64 v26, v[5:6]
	s_waitcnt lgkmcnt(0)
	s_barrier
	buffer_gl0_inv
	s_and_saveexec_b32 s7, s1
	s_cbranch_execz .LBB180_41
; %bb.40:
	ds_read2_b64 v[5:8], v25 offset1:7
	ds_read2_b64 v[27:30], v25 offset0:1 offset1:2
	ds_read2_b64 v[31:34], v25 offset0:3 offset1:4
	ds_read2_b64 v[35:38], v25 offset0:5 offset1:6
	s_waitcnt lgkmcnt(2)
	v_add_f32_e32 v5, v27, v5
	v_add_f32_e32 v6, v28, v6
	v_add_f32_e32 v5, v29, v5
	v_add_f32_e32 v6, v30, v6
	s_waitcnt lgkmcnt(1)
	v_add_f32_e32 v5, v5, v31
	v_add_f32_e32 v6, v6, v32
	v_add_f32_e32 v5, v5, v33
	v_add_f32_e32 v6, v6, v34
	;; [unrolled: 5-line block ×3, first 2 shown]
	v_add_f32_e32 v60, v5, v7
	v_add_f32_e32 v61, v6, v8
.LBB180_41:
	s_or_b32 exec_lo, exec_lo, s7
	s_lshl_b64 s[14:15], s[16:17], 8
	v_add_co_u32 v5, vcc_lo, v3, s14
	v_add_co_ci_u32_e64 v6, null, s15, v4, vcc_lo
	s_barrier
	v_add_co_u32 v3, vcc_lo, 0x100, v5
	v_add_co_ci_u32_e64 v4, null, 0, v6, vcc_lo
	s_and_b32 vcc_lo, exec_lo, s26
	buffer_gl0_inv
	s_cbranch_vccz .LBB180_59
; %bb.42:
	v_sub_co_u32 v7, vcc_lo, v5, v10
	s_ashr_i32 s11, s10, 31
	v_subrev_co_ci_u32_e64 v8, null, 0, v6, vcc_lo
	s_lshl_b64 s[14:15], s[10:11], 3
	v_or_b32_e32 v21, 32, v2
	v_add_co_u32 v7, vcc_lo, v7, s14
	v_add_co_ci_u32_e64 v8, null, s15, v8, vcc_lo
	s_sub_i32 s11, s10, 32
	v_add_co_u32 v7, vcc_lo, v7, -8
	v_add_co_ci_u32_e64 v8, null, -1, v8, vcc_lo
	v_cmp_gt_i32_e32 vcc_lo, s10, v21
	v_cmp_le_i32_e64 s7, s11, v9
	v_add_nc_u32_e32 v21, v11, v12
	v_cndmask_b32_e32 v8, v8, v4, vcc_lo
	v_cndmask_b32_e32 v7, v7, v3, vcc_lo
	s_and_saveexec_b32 s27, s7
	s_xor_b32 s7, exec_lo, s27
; %bb.43:
	v_mov_b32_e32 v22, 0
	v_mov_b32_e32 v23, v22
	ds_write_b64 v21, v[22:23]
; %bb.44:
	s_andn2_saveexec_b32 s7, s7
	s_cbranch_execz .LBB180_46
; %bb.45:
	flat_load_dwordx2 v[22:23], v[7:8]
	s_waitcnt vmcnt(0) lgkmcnt(0)
	ds_write_b64 v21, v[22:23]
.LBB180_46:
	s_or_b32 exec_lo, exec_lo, s7
	v_add_nc_u32_e32 v22, 8, v9
	v_cmp_le_i32_e64 s7, s11, v22
	s_and_saveexec_b32 s27, s7
	s_xor_b32 s7, exec_lo, s27
; %bb.47:
	v_mov_b32_e32 v22, 0
	v_mov_b32_e32 v23, v22
	ds_write_b64 v21, v[22:23] offset:2112
; %bb.48:
	s_andn2_saveexec_b32 s27, s7
	s_cbranch_execz .LBB180_50
; %bb.49:
	s_lshl_b64 s[28:29], s[16:17], 6
	v_add_co_u32 v22, s7, v7, s28
	v_add_co_ci_u32_e64 v23, null, s29, v8, s7
	flat_load_dwordx2 v[22:23], v[22:23]
	s_waitcnt vmcnt(0) lgkmcnt(0)
	ds_write_b64 v21, v[22:23] offset:2112
.LBB180_50:
	s_or_b32 exec_lo, exec_lo, s27
	v_add_nc_u32_e32 v22, 16, v9
	v_cmp_le_i32_e64 s7, s11, v22
	s_and_saveexec_b32 s27, s7
	s_xor_b32 s7, exec_lo, s27
; %bb.51:
	v_mov_b32_e32 v22, 0
	v_mov_b32_e32 v23, v22
	ds_write_b64 v21, v[22:23] offset:4224
; %bb.52:
	s_andn2_saveexec_b32 s27, s7
	s_cbranch_execz .LBB180_54
; %bb.53:
	s_lshl_b64 s[28:29], s[16:17], 7
	v_add_co_u32 v22, s7, v7, s28
	v_add_co_ci_u32_e64 v23, null, s29, v8, s7
	flat_load_dwordx2 v[22:23], v[22:23]
	s_waitcnt vmcnt(0) lgkmcnt(0)
	ds_write_b64 v21, v[22:23] offset:4224
.LBB180_54:
	s_or_b32 exec_lo, exec_lo, s27
	v_add_nc_u32_e32 v22, 24, v9
	v_cmp_le_i32_e64 s7, s11, v22
	s_and_saveexec_b32 s11, s7
	s_xor_b32 s7, exec_lo, s11
; %bb.55:
	v_mov_b32_e32 v22, 0
	v_mov_b32_e32 v23, v22
	ds_write_b64 v21, v[22:23] offset:6336
                                        ; implicit-def: $vgpr21
; %bb.56:
	s_andn2_saveexec_b32 s7, s7
	s_cbranch_execz .LBB180_58
; %bb.57:
	v_mad_u64_u32 v[22:23], null, 0xc0, s16, v[7:8]
	v_mad_u64_u32 v[27:28], null, 0xc0, s17, v[23:24]
	v_mov_b32_e32 v23, v27
	flat_load_dwordx2 v[22:23], v[22:23]
	s_waitcnt vmcnt(0) lgkmcnt(0)
	ds_write_b64 v21, v[22:23] offset:6336
.LBB180_58:
	s_or_b32 exec_lo, exec_lo, s7
	v_add_co_u32 v7, s7, v7, v10
	v_add_co_ci_u32_e64 v8, null, 0, v8, s7
	v_sub_co_u32 v7, s7, v7, s14
	v_subrev_co_ci_u32_e64 v8, null, s15, v8, s7
	v_add_co_u32 v7, s7, 0x108, v7
	v_add_co_ci_u32_e64 v8, null, 0, v8, s7
	v_cndmask_b32_e32 v7, v7, v3, vcc_lo
	v_cndmask_b32_e32 v8, v8, v4, vcc_lo
	v_mul_u32_u24_e32 v21, 0x420, v9
	v_mad_u32_u24 v22, 0x108, v9, v11
	s_branch .LBB180_61
.LBB180_59:
                                        ; implicit-def: $vgpr7_vgpr8
	v_mul_u32_u24_e32 v21, 0x420, v9
	v_mad_u32_u24 v22, 0x108, v9, v11
	s_cbranch_execz .LBB180_61
; %bb.60:
	s_lshl_b64 s[14:15], s[16:17], 6
	v_add_co_u32 v7, vcc_lo, v5, s14
	v_add_co_ci_u32_e64 v8, null, s15, v6, vcc_lo
	v_add_co_u32 v27, vcc_lo, v7, s14
	v_add_co_ci_u32_e64 v28, null, s15, v8, vcc_lo
	;; [unrolled: 2-line block ×3, first 2 shown]
	s_clause 0x3
	flat_load_dwordx2 v[5:6], v[5:6] offset:256
	flat_load_dwordx2 v[31:32], v[7:8] offset:256
	;; [unrolled: 1-line block ×4, first 2 shown]
	v_mov_b32_e32 v8, v4
	v_mov_b32_e32 v7, v3
	s_waitcnt vmcnt(3) lgkmcnt(3)
	ds_write_b64 v22, v[5:6]
	s_waitcnt vmcnt(2) lgkmcnt(3)
	ds_write_b64 v22, v[31:32] offset:2112
	s_waitcnt vmcnt(1) lgkmcnt(3)
	ds_write_b64 v22, v[27:28] offset:4224
	;; [unrolled: 2-line block ×3, first 2 shown]
.LBB180_61:
	v_mul_u32_u24_e32 v4, 0x108, v18
	v_add_nc_u32_e32 v21, v11, v21
	v_lshl_add_u32 v3, v13, 3, v25
	s_waitcnt lgkmcnt(0)
	s_barrier
	buffer_gl0_inv
	s_and_saveexec_b32 s7, s2
	s_cbranch_execz .LBB180_65
; %bb.62:
	ds_read_b64 v[5:6], v21
	s_waitcnt lgkmcnt(0)
	ds_write_b64 v3, v[5:6]
	s_or_b32 exec_lo, exec_lo, s7
	v_add_nc_u32_e32 v23, v11, v4
	s_and_saveexec_b32 s2, s3
	s_cbranch_execnz .LBB180_66
.LBB180_63:
	s_or_b32 exec_lo, exec_lo, s2
	s_and_saveexec_b32 s2, s4
	s_cbranch_execz .LBB180_67
.LBB180_64:
	ds_read_b64 v[4:5], v23 offset:264
	s_waitcnt lgkmcnt(0)
	ds_write_b64 v3, v[4:5] offset:16
	s_or_b32 exec_lo, exec_lo, s2
	v_add_nc_u32_e32 v27, 0x2380, v19
	s_and_saveexec_b32 s2, s5
	s_cbranch_execnz .LBB180_68
	s_branch .LBB180_69
.LBB180_65:
	s_or_b32 exec_lo, exec_lo, s7
	v_add_nc_u32_e32 v23, v11, v4
	s_and_saveexec_b32 s2, s3
	s_cbranch_execz .LBB180_63
.LBB180_66:
	ds_read_b64 v[4:5], v23
	s_waitcnt lgkmcnt(0)
	ds_write_b64 v3, v[4:5] offset:8
	s_or_b32 exec_lo, exec_lo, s2
	s_and_saveexec_b32 s2, s4
	s_cbranch_execnz .LBB180_64
.LBB180_67:
	s_or_b32 exec_lo, exec_lo, s2
	v_add_nc_u32_e32 v27, 0x2380, v19
	s_and_saveexec_b32 s2, s5
	s_cbranch_execz .LBB180_69
.LBB180_68:
	ds_read_b64 v[4:5], v20
	s_waitcnt lgkmcnt(0)
	ds_write_b64 v3, v[4:5] offset:24
.LBB180_69:
	s_or_b32 exec_lo, exec_lo, s2
	s_waitcnt lgkmcnt(0)
	s_barrier
	buffer_gl0_inv
	ds_read_b64 v[18:19], v21
	ds_read_b128 v[3:6], v27 offset:256
	ds_read2_b64 v[28:31], v23 offset1:33
	ds_read_b128 v[32:35], v27 offset:272
	ds_read_b64 v[36:37], v20
	v_cmp_eq_u32_e64 s2, 1, v9
	s_waitcnt lgkmcnt(0)
	s_barrier
	buffer_gl0_inv
	v_mul_f32_e32 v13, v4, v19
	v_mul_f32_e32 v19, v3, v19
	;; [unrolled: 1-line block ×5, first 2 shown]
	v_fma_f32 v3, v3, v18, -v13
	v_fmac_f32_e32 v19, v4, v18
	v_mul_f32_e32 v31, v32, v31
	v_fma_f32 v5, v5, v28, -v38
	v_fmac_f32_e32 v29, v6, v28
	v_add_f32_e32 v3, 0, v3
	v_add_f32_e32 v6, 0, v19
	v_mul_f32_e32 v4, v35, v37
	v_mul_f32_e32 v13, v34, v37
	v_fma_f32 v18, v32, v30, -v39
	v_fmac_f32_e32 v31, v33, v30
	v_add_f32_e32 v3, v3, v5
	v_add_f32_e32 v5, v6, v29
	v_fma_f32 v4, v34, v36, -v4
	v_fmac_f32_e32 v13, v35, v36
	v_add_f32_e32 v3, v3, v18
	v_add_f32_e32 v5, v5, v31
	v_add_f32_e32 v3, v3, v4
	v_add_f32_e32 v4, v5, v13
	ds_write_b64 v26, v[3:4]
	s_waitcnt lgkmcnt(0)
	s_barrier
	buffer_gl0_inv
	s_and_saveexec_b32 s3, s2
	s_cbranch_execz .LBB180_71
; %bb.70:
	ds_read2_b64 v[3:6], v25 offset1:7
	ds_read2_b64 v[28:31], v25 offset0:1 offset1:2
	ds_read2_b64 v[32:35], v25 offset0:3 offset1:4
	;; [unrolled: 1-line block ×3, first 2 shown]
	s_waitcnt lgkmcnt(2)
	v_add_f32_e32 v3, v28, v3
	v_add_f32_e32 v4, v29, v4
	v_add_f32_e32 v3, v30, v3
	v_add_f32_e32 v4, v31, v4
	s_waitcnt lgkmcnt(1)
	v_add_f32_e32 v3, v3, v32
	v_add_f32_e32 v4, v4, v33
	v_add_f32_e32 v3, v3, v34
	v_add_f32_e32 v4, v4, v35
	s_waitcnt lgkmcnt(0)
	v_add_f32_e32 v3, v3, v36
	v_add_f32_e32 v4, v4, v37
	v_add_f32_e32 v3, v3, v38
	v_add_f32_e32 v4, v4, v39
	v_add_f32_e32 v60, v3, v5
	v_add_f32_e32 v61, v4, v6
.LBB180_71:
	s_or_b32 exec_lo, exec_lo, s3
	v_add_co_u32 v3, vcc_lo, 0xffffff00, v7
	v_add_co_ci_u32_e64 v4, null, -1, v8, vcc_lo
	s_and_b32 vcc_lo, exec_lo, s26
	s_barrier
	buffer_gl0_inv
	s_cbranch_vccz .LBB180_89
; %bb.72:
	v_sub_co_u32 v5, vcc_lo, v3, v10
	s_ashr_i32 s11, s10, 31
	v_subrev_co_ci_u32_e64 v6, null, 0, v4, vcc_lo
	s_lshl_b64 s[4:5], s[10:11], 3
	s_sub_i32 s7, s10, 32
	v_add_co_u32 v5, vcc_lo, v5, s4
	v_add_co_ci_u32_e64 v6, null, s5, v6, vcc_lo
	v_cmp_le_i32_e64 s3, s7, v9
	v_add_co_u32 v5, vcc_lo, v5, -8
	v_add_co_ci_u32_e64 v6, null, -1, v6, vcc_lo
	v_cmp_gt_i32_e32 vcc_lo, s10, v2
	v_add_nc_u32_e32 v8, v11, v12
	v_cndmask_b32_e32 v6, v6, v4, vcc_lo
	v_cndmask_b32_e32 v5, v5, v3, vcc_lo
	s_and_saveexec_b32 s11, s3
	s_xor_b32 s3, exec_lo, s11
; %bb.73:
	v_mov_b32_e32 v11, 0
	v_mov_b32_e32 v12, v11
	ds_write_b64 v8, v[11:12]
; %bb.74:
	s_andn2_saveexec_b32 s3, s3
	s_cbranch_execz .LBB180_76
; %bb.75:
	flat_load_dwordx2 v[11:12], v[5:6]
	s_waitcnt vmcnt(0) lgkmcnt(0)
	ds_write_b64 v8, v[11:12]
.LBB180_76:
	s_or_b32 exec_lo, exec_lo, s3
	v_add_nc_u32_e32 v2, 8, v9
	v_cmp_le_i32_e64 s3, s7, v2
	s_and_saveexec_b32 s11, s3
	s_xor_b32 s3, exec_lo, s11
; %bb.77:
	v_mov_b32_e32 v11, 0
	v_mov_b32_e32 v12, v11
	ds_write_b64 v8, v[11:12] offset:2112
; %bb.78:
	s_andn2_saveexec_b32 s11, s3
	s_cbranch_execz .LBB180_80
; %bb.79:
	s_lshl_b64 s[14:15], s[16:17], 6
	v_add_co_u32 v11, s3, v5, s14
	v_add_co_ci_u32_e64 v12, null, s15, v6, s3
	flat_load_dwordx2 v[11:12], v[11:12]
	s_waitcnt vmcnt(0) lgkmcnt(0)
	ds_write_b64 v8, v[11:12] offset:2112
.LBB180_80:
	s_or_b32 exec_lo, exec_lo, s11
	v_add_nc_u32_e32 v7, 16, v9
	v_cmp_le_i32_e64 s3, s7, v7
	s_and_saveexec_b32 s11, s3
	s_xor_b32 s3, exec_lo, s11
; %bb.81:
	v_mov_b32_e32 v11, 0
	v_mov_b32_e32 v12, v11
	ds_write_b64 v8, v[11:12] offset:4224
; %bb.82:
	s_andn2_saveexec_b32 s11, s3
	s_cbranch_execz .LBB180_84
; %bb.83:
	s_lshl_b64 s[14:15], s[16:17], 7
	v_add_co_u32 v11, s3, v5, s14
	v_add_co_ci_u32_e64 v12, null, s15, v6, s3
	flat_load_dwordx2 v[11:12], v[11:12]
	s_waitcnt vmcnt(0) lgkmcnt(0)
	ds_write_b64 v8, v[11:12] offset:4224
.LBB180_84:
	s_or_b32 exec_lo, exec_lo, s11
	v_add_nc_u32_e32 v11, 24, v9
	v_cmp_le_i32_e64 s3, s7, v11
	s_and_saveexec_b32 s7, s3
	s_xor_b32 s3, exec_lo, s7
; %bb.85:
	v_mov_b32_e32 v12, 0
	v_mov_b32_e32 v13, v12
	ds_write_b64 v8, v[12:13] offset:6336
                                        ; implicit-def: $vgpr8
; %bb.86:
	s_andn2_saveexec_b32 s3, s3
	s_cbranch_execz .LBB180_88
; %bb.87:
	v_mad_u64_u32 v[12:13], null, 0xc0, s16, v[5:6]
	v_mad_u64_u32 v[18:19], null, 0xc0, s17, v[13:14]
	v_mov_b32_e32 v13, v18
	flat_load_dwordx2 v[12:13], v[12:13]
	s_waitcnt vmcnt(0) lgkmcnt(0)
	ds_write_b64 v8, v[12:13] offset:6336
.LBB180_88:
	s_or_b32 exec_lo, exec_lo, s3
	v_add_co_u32 v5, s3, v5, v10
	v_add_co_ci_u32_e64 v6, null, 0, v6, s3
	v_sub_co_u32 v5, s3, v5, s4
	v_subrev_co_ci_u32_e64 v6, null, s5, v6, s3
	v_add_co_u32 v5, s3, v5, 8
	v_add_co_ci_u32_e64 v6, null, 0, v6, s3
	v_cndmask_b32_e32 v18, v5, v3, vcc_lo
	v_cndmask_b32_e32 v19, v6, v4, vcc_lo
	s_branch .LBB180_91
.LBB180_89:
                                        ; implicit-def: $vgpr18_vgpr19
                                        ; implicit-def: $vgpr2
                                        ; implicit-def: $vgpr7
                                        ; implicit-def: $vgpr11
	s_cbranch_execz .LBB180_91
; %bb.90:
	s_lshl_b64 s[4:5], s[16:17], 6
	v_mov_b32_e32 v19, v4
	v_add_co_u32 v5, vcc_lo, v3, s4
	v_add_co_ci_u32_e64 v6, null, s5, v4, vcc_lo
	v_add_nc_u32_e32 v2, 8, v9
	v_add_co_u32 v7, vcc_lo, v5, s4
	v_add_co_ci_u32_e64 v8, null, s5, v6, vcc_lo
	v_mov_b32_e32 v18, v3
	v_add_co_u32 v10, vcc_lo, v7, s4
	v_add_co_ci_u32_e64 v11, null, s5, v8, vcc_lo
	s_clause 0x3
	flat_load_dwordx2 v[12:13], v[3:4]
	flat_load_dwordx2 v[5:6], v[5:6]
	;; [unrolled: 1-line block ×4, first 2 shown]
	v_add_nc_u32_e32 v7, 16, v9
	v_add_nc_u32_e32 v11, 24, v9
	s_waitcnt vmcnt(3) lgkmcnt(3)
	ds_write_b64 v22, v[12:13]
	s_waitcnt vmcnt(2) lgkmcnt(3)
	ds_write_b64 v22, v[5:6] offset:2112
	s_waitcnt vmcnt(1) lgkmcnt(3)
	ds_write_b64 v22, v[28:29] offset:4224
	;; [unrolled: 2-line block ×3, first 2 shown]
.LBB180_91:
	v_lshlrev_b32_e32 v3, 3, v9
	v_lshlrev_b32_e32 v2, 3, v2
	s_waitcnt lgkmcnt(0)
	s_barrier
	buffer_gl0_inv
	v_add_nc_u32_e32 v5, v25, v3
	v_lshlrev_b32_e32 v4, 3, v7
	v_lshlrev_b32_e32 v6, 3, v11
	v_add_nc_u32_e32 v7, v25, v2
	ds_read_b64 v[28:29], v5
	ds_read_b64 v[30:31], v2 offset:9088
	ds_read_b64 v[32:33], v3 offset:9088
	v_add_nc_u32_e32 v8, v25, v4
	v_add_nc_u32_e32 v2, v25, v6
	ds_read_b64 v[34:35], v7
	ds_read_b64 v[36:37], v8
	ds_read_b64 v[38:39], v6 offset:9088
	ds_read_b64 v[40:41], v4 offset:9088
	ds_read_b64 v[42:43], v2
	ds_read_b128 v[10:13], v27 offset:256
	ds_read_b128 v[2:5], v27 offset:272
	ds_read2_b64 v[6:9], v23 offset1:33
	ds_read_b64 v[22:23], v21
	ds_read_b64 v[20:21], v20
	s_waitcnt lgkmcnt(0)
	s_barrier
	buffer_gl0_inv
	v_mul_f32_e32 v45, v41, v37
	v_mul_f32_e32 v27, v33, v29
	;; [unrolled: 1-line block ×6, first 2 shown]
	v_fma_f32 v27, v32, v28, -v27
	v_fmac_f32_e32 v29, v33, v28
	v_mul_f32_e32 v28, v40, v37
	v_fma_f32 v30, v30, v34, -v44
	v_fmac_f32_e32 v35, v31, v34
	v_add_f32_e32 v27, 0, v27
	v_add_f32_e32 v29, 0, v29
	v_mul_f32_e32 v31, v38, v43
	v_fma_f32 v32, v40, v36, -v45
	v_fmac_f32_e32 v28, v41, v36
	v_add_f32_e32 v27, v27, v30
	v_add_f32_e32 v29, v29, v35
	v_fma_f32 v30, v38, v42, -v46
	v_fmac_f32_e32 v31, v39, v42
	v_add_f32_e32 v27, v27, v32
	v_add_f32_e32 v28, v29, v28
	;; [unrolled: 1-line block ×4, first 2 shown]
	ds_write_b64 v26, v[27:28]
	s_waitcnt lgkmcnt(0)
	s_barrier
	buffer_gl0_inv
	s_and_saveexec_b32 s3, s2
	s_cbranch_execz .LBB180_93
; %bb.92:
	ds_read2_b64 v[27:30], v25 offset1:1
	ds_read2_b64 v[31:34], v25 offset0:2 offset1:3
	ds_read2_b64 v[35:38], v25 offset0:4 offset1:5
	s_waitcnt lgkmcnt(2)
	v_add_f32_e32 v27, v60, v27
	v_add_f32_e32 v28, v61, v28
	;; [unrolled: 1-line block ×4, first 2 shown]
	ds_read2_b64 v[27:30], v25 offset0:6 offset1:7
	s_waitcnt lgkmcnt(2)
	v_add_f32_e32 v31, v39, v31
	v_add_f32_e32 v32, v40, v32
	v_add_f32_e32 v31, v31, v33
	v_add_f32_e32 v32, v32, v34
	s_waitcnt lgkmcnt(1)
	v_add_f32_e32 v31, v31, v35
	v_add_f32_e32 v32, v32, v36
	v_add_f32_e32 v31, v31, v37
	v_add_f32_e32 v32, v32, v38
	;; [unrolled: 5-line block ×3, first 2 shown]
.LBB180_93:
	s_or_b32 exec_lo, exec_lo, s3
	v_mul_f32_e32 v27, v11, v23
	v_mul_f32_e32 v23, v10, v23
	;; [unrolled: 1-line block ×5, first 2 shown]
	v_fma_f32 v10, v10, v22, -v27
	v_fmac_f32_e32 v23, v11, v22
	v_mul_f32_e32 v9, v2, v9
	v_fma_f32 v12, v12, v6, -v28
	v_fmac_f32_e32 v7, v13, v6
	v_add_f32_e32 v10, 0, v10
	v_add_f32_e32 v6, 0, v23
	v_mul_f32_e32 v11, v5, v21
	v_mul_f32_e32 v13, v4, v21
	v_fma_f32 v2, v2, v8, -v29
	v_add_f32_e32 v10, v10, v12
	v_fmac_f32_e32 v9, v3, v8
	v_add_f32_e32 v3, v6, v7
	v_fma_f32 v4, v4, v20, -v11
	v_fmac_f32_e32 v13, v5, v20
	v_add_f32_e32 v2, v10, v2
	v_add_f32_e32 v3, v3, v9
	s_barrier
	buffer_gl0_inv
	v_add_f32_e32 v2, v2, v4
	v_add_f32_e32 v3, v3, v13
	ds_write_b64 v26, v[2:3]
	s_waitcnt lgkmcnt(0)
	s_barrier
	buffer_gl0_inv
	s_and_saveexec_b32 s2, s1
	s_cbranch_execz .LBB180_95
; %bb.94:
	ds_read2_b64 v[2:5], v25 offset1:1
	ds_read2_b64 v[6:9], v25 offset0:2 offset1:3
	ds_read2_b64 v[10:13], v25 offset0:4 offset1:5
	s_waitcnt lgkmcnt(2)
	v_add_f32_e32 v2, v60, v2
	v_add_f32_e32 v3, v61, v3
	v_add_f32_e32 v20, v2, v4
	v_add_f32_e32 v21, v3, v5
	ds_read2_b64 v[2:5], v25 offset0:6 offset1:7
	s_waitcnt lgkmcnt(2)
	v_add_f32_e32 v6, v20, v6
	v_add_f32_e32 v7, v21, v7
	v_add_f32_e32 v6, v6, v8
	v_add_f32_e32 v7, v7, v9
	s_waitcnt lgkmcnt(1)
	v_add_f32_e32 v6, v6, v10
	v_add_f32_e32 v7, v7, v11
	v_add_f32_e32 v6, v6, v12
	v_add_f32_e32 v7, v7, v13
	;; [unrolled: 5-line block ×3, first 2 shown]
.LBB180_95:
	s_or_b32 exec_lo, exec_lo, s2
	s_mul_hi_u32 s1, s24, s18
	s_mul_i32 s25, s25, s18
	s_mul_i32 s2, s24, s18
	s_add_i32 s1, s1, s25
	s_mul_hi_u32 s3, s2, s19
	s_mul_i32 s1, s1, s19
	s_mul_i32 s2, s2, s19
	s_add_i32 s3, s3, s1
	s_mul_hi_i32 s5, s24, s6
	s_lshl_b64 s[2:3], s[2:3], 3
	s_mul_i32 s4, s24, s6
	s_add_u32 s1, s20, s2
	s_addc_u32 s2, s21, s3
	s_lshl_b64 s[4:5], s[4:5], 3
	v_lshlrev_b32_e32 v95, 3, v0
	s_add_u32 s3, s1, s4
	s_addc_u32 s7, s2, s5
	s_add_i32 s1, s6, 1
	s_cmp_ge_u32 s1, s19
	s_barrier
	buffer_gl0_inv
	s_cbranch_scc1 .LBB180_153
; %bb.96:
	v_lshrrev_b32_e32 v2, 4, v24
	v_lshlrev_b32_e32 v12, 5, v1
	v_and_b32_e32 v4, 48, v0
	v_and_b32_e32 v6, 15, v0
	s_mul_i32 s1, s8, s13
	v_lshlrev_b32_e32 v3, 5, v2
	v_add_nc_u32_e32 v7, 0x110, v12
	v_lshlrev_b32_e32 v4, 3, v4
	v_add_nc_u32_e32 v9, 0x108, v12
	s_mul_hi_u32 s2, s8, s12
	v_mad_u32_u24 v103, 0x218, v6, v3
	v_mul_i32_i24_e32 v13, 0xffffffe8, v2
	v_mad_u64_u32 v[2:3], null, s16, v7, 0
	v_mad_u32_u24 v104, 0x218, v6, v4
	v_mad_u64_u32 v[4:5], null, s16, v9, 0
	s_mul_i32 s4, s9, s12
	s_add_i32 s1, s2, s1
	v_or_b32_e32 v8, 0x78, v95
	s_add_i32 s5, s1, s4
	s_mul_i32 s4, s8, s12
	v_cmp_gt_u32_e64 s1, 64, v24
	s_lshl_b64 s[4:5], s[4:5], 3
	v_mad_u32_u24 v105, 0x218, v6, v8
	v_sub_co_u32 v97, vcc_lo, v16, s4
	v_mad_u64_u32 v[6:7], null, s17, v7, v[3:4]
	v_mov_b32_e32 v3, v5
	v_subrev_co_ci_u32_e64 v98, null, s5, v17, vcc_lo
	v_add_nc_u32_e32 v16, 0x100, v12
	v_add_nc_u32_e32 v17, 0x118, v12
	v_mad_u64_u32 v[9:10], null, s17, v9, v[3:4]
	v_sub_co_u32 v20, vcc_lo, v2, v14
	v_mad_u64_u32 v[7:8], null, s16, v16, 0
	v_mad_u64_u32 v[10:11], null, s16, v17, 0
	v_sub_co_ci_u32_e64 v21, null, v6, v15, vcc_lo
	v_sub_co_u32 v22, vcc_lo, v4, v14
	v_mov_b32_e32 v2, v8
	v_add_nc_u32_e32 v8, 0x190, v12
	v_mov_b32_e32 v3, v11
	v_sub_co_ci_u32_e64 v23, null, v9, v15, vcc_lo
	v_add_nc_u32_e32 v9, 0x188, v12
	v_sub_co_u32 v11, vcc_lo, v7, v14
	v_mad_u64_u32 v[4:5], null, s17, v16, v[2:3]
	v_mad_u64_u32 v[5:6], null, s16, v8, 0
	v_add_nc_u32_e32 v25, 0x180, v12
	v_add_nc_u32_e32 v26, 0x198, v12
	;; [unrolled: 1-line block ×4, first 2 shown]
	v_mad_u64_u32 v[2:3], null, s17, v17, v[3:4]
	v_mov_b32_e32 v3, v6
	v_mad_u64_u32 v[6:7], null, s16, v9, 0
	v_sub_co_ci_u32_e64 v16, null, v4, v15, vcc_lo
	v_sub_co_u32 v17, vcc_lo, v10, v14
	v_sub_co_ci_u32_e64 v24, null, v2, v15, vcc_lo
	v_mad_u64_u32 v[2:3], null, s17, v8, v[3:4]
	v_mov_b32_e32 v3, v7
	v_mad_u64_u32 v[7:8], null, s16, v25, 0
	v_sub_co_u32 v27, vcc_lo, v5, v14
	v_mad_u64_u32 v[3:4], null, s17, v9, v[3:4]
	v_mad_u64_u32 v[9:10], null, s16, v26, 0
	v_sub_co_ci_u32_e64 v28, null, v2, v15, vcc_lo
	v_sub_co_u32 v29, vcc_lo, v6, v14
	v_mov_b32_e32 v2, v8
	v_sub_co_ci_u32_e64 v30, null, v3, v15, vcc_lo
	v_mov_b32_e32 v3, v10
	v_add_nc_u32_e32 v8, 0x210, v12
	v_add_nc_u32_e32 v10, 0x208, v12
	;; [unrolled: 1-line block ×4, first 2 shown]
	v_mad_u64_u32 v[4:5], null, s17, v25, v[2:3]
	v_mad_u64_u32 v[5:6], null, s16, v8, 0
	v_sub_co_u32 v25, vcc_lo, v7, v14
	v_lshlrev_b32_e32 v96, 2, v1
	v_add_nc_u32_e32 v99, 0x2180, v95
	v_mad_u64_u32 v[2:3], null, s17, v26, v[3:4]
	v_mov_b32_e32 v3, v6
	v_mad_u64_u32 v[6:7], null, s16, v10, 0
	v_sub_co_ci_u32_e64 v26, null, v4, v15, vcc_lo
	v_sub_co_u32 v31, vcc_lo, v9, v14
	v_sub_co_ci_u32_e64 v32, null, v2, v15, vcc_lo
	v_mad_u64_u32 v[2:3], null, s17, v8, v[3:4]
	v_mov_b32_e32 v3, v7
	v_mad_u64_u32 v[7:8], null, s16, v33, 0
	v_sub_co_u32 v35, vcc_lo, v5, v14
	v_mad_u64_u32 v[3:4], null, s17, v10, v[3:4]
	v_mad_u64_u32 v[9:10], null, s16, v34, 0
	v_sub_co_ci_u32_e64 v36, null, v2, v15, vcc_lo
	v_sub_co_u32 v37, vcc_lo, v6, v14
	v_mov_b32_e32 v2, v8
	v_sub_co_ci_u32_e64 v38, null, v3, v15, vcc_lo
	v_mov_b32_e32 v3, v10
	v_add_nc_u32_e32 v8, 0x290, v12
	v_add_nc_u32_e32 v10, 0x288, v12
	;; [unrolled: 1-line block ×4, first 2 shown]
	v_mad_u64_u32 v[4:5], null, s17, v33, v[2:3]
	v_mad_u64_u32 v[5:6], null, s16, v8, 0
	v_sub_co_u32 v33, vcc_lo, v7, v14
	v_mad_u32_u24 v102, 0x860, v1, v95
	v_or_b32_e32 v106, 3, v96
	v_mad_u64_u32 v[2:3], null, s17, v34, v[3:4]
	v_mov_b32_e32 v3, v6
	v_mad_u64_u32 v[6:7], null, s16, v10, 0
	v_sub_co_ci_u32_e64 v34, null, v4, v15, vcc_lo
	v_sub_co_u32 v39, vcc_lo, v9, v14
	v_sub_co_ci_u32_e64 v40, null, v2, v15, vcc_lo
	v_mad_u64_u32 v[2:3], null, s17, v8, v[3:4]
	v_mov_b32_e32 v3, v7
	v_mad_u64_u32 v[7:8], null, s16, v41, 0
	v_sub_co_u32 v42, vcc_lo, v5, v14
	v_mad_u64_u32 v[3:4], null, s17, v10, v[3:4]
	v_mad_u64_u32 v[9:10], null, s16, v12, 0
	v_sub_co_ci_u32_e64 v43, null, v2, v15, vcc_lo
	v_sub_co_u32 v6, vcc_lo, v6, v14
	v_mov_b32_e32 v2, v8
	v_sub_co_ci_u32_e64 v8, null, v3, v15, vcc_lo
	v_mov_b32_e32 v3, v10
	v_add_nc_u32_e32 v107, 16, v96
	v_add_nc_u32_e32 v108, 17, v96
	;; [unrolled: 1-line block ×4, first 2 shown]
	v_mad_u64_u32 v[4:5], null, s17, v41, v[2:3]
	v_add_nc_u32_e32 v111, 32, v96
	v_add_nc_u32_e32 v112, 33, v96
	;; [unrolled: 1-line block ×6, first 2 shown]
	v_mad_u64_u32 v[2:3], null, s17, v12, v[3:4]
	v_sub_co_u32 v3, vcc_lo, v7, v14
	v_sub_co_ci_u32_e64 v4, null, v4, v15, vcc_lo
	v_sub_co_u32 v5, vcc_lo, v9, v14
	v_sub_co_ci_u32_e64 v2, null, v2, v15, vcc_lo
	v_add_co_u32 v116, vcc_lo, v18, v20
	v_add_co_ci_u32_e64 v117, null, v19, v21, vcc_lo
	v_add_co_u32 v118, vcc_lo, v18, v22
	v_add_co_ci_u32_e64 v119, null, v19, v23, vcc_lo
	;; [unrolled: 2-line block ×16, first 2 shown]
	v_add_nc_u32_e32 v149, 50, v96
	v_add_nc_u32_e32 v150, v103, v13
	;; [unrolled: 1-line block ×3, first 2 shown]
	v_mov_b32_e32 v62, 0
	s_add_i32 s11, s19, -2
	s_add_i32 s12, s12, 64
	s_lshl_b64 s[4:5], s[16:17], 9
	s_cmp_eq_u32 s11, s6
	s_cselect_b32 s13, s22, 0
	s_and_saveexec_b32 s2, s0
	s_cbranch_execz .LBB180_102
	s_branch .LBB180_98
.LBB180_97:                             ;   in Loop: Header=BB180_102 Depth=1
	s_mov_b32 s6, s2
	s_cmp_eq_u32 s11, s6
	s_cselect_b32 s13, s22, 0
	s_and_saveexec_b32 s2, s0
	s_cbranch_execz .LBB180_102
.LBB180_98:
	v_cmp_le_i32_e32 vcc_lo, s13, v0
	s_cmp_lg_u32 s13, 0
	s_cselect_b32 s14, -1, 0
	s_and_b32 s14, s14, vcc_lo
	s_and_saveexec_b32 s15, s14
	s_xor_b32 s14, exec_lo, s15
; %bb.99:
	v_mov_b32_e32 v63, v62
	ds_write_b64 v99, v[62:63]
; %bb.100:
	s_andn2_saveexec_b32 s14, s14
	s_cbranch_execz .LBB180_102
; %bb.101:
	s_ashr_i32 s14, s12, 31
	s_mul_hi_u32 s15, s8, s12
	s_mul_i32 s14, s8, s14
	s_mul_i32 s16, s9, s12
	s_add_i32 s15, s15, s14
	s_mul_i32 s14, s8, s12
	s_add_i32 s15, s15, s16
	s_lshl_b64 s[14:15], s[14:15], 3
	v_add_co_u32 v2, vcc_lo, v97, s14
	v_add_co_ci_u32_e64 v3, null, s15, v98, vcc_lo
	flat_load_dwordx2 v[2:3], v[2:3]
	s_waitcnt vmcnt(0) lgkmcnt(0)
	ds_write_b64 v99, v[2:3]
.LBB180_102:                            ; =>This Inner Loop Header: Depth=1
	s_or_b32 exec_lo, exec_lo, s2
	s_cmp_eq_u32 s13, 0
	v_add_co_u32 v2, vcc_lo, v120, v95
	s_cselect_b32 s14, -1, 0
	s_cmp_lg_u32 s13, 0
	v_add_co_ci_u32_e64 v3, null, 0, v121, vcc_lo
	s_cselect_b32 s2, -1, 0
	s_waitcnt lgkmcnt(0)
	s_and_b32 vcc_lo, exec_lo, s2
	s_barrier
	buffer_gl0_inv
	s_cbranch_vccz .LBB180_110
; %bb.103:                              ;   in Loop: Header=BB180_102 Depth=1
	v_mov_b32_e32 v63, 0
	v_mov_b32_e32 v65, 0
	;; [unrolled: 1-line block ×4, first 2 shown]
	s_mov_b32 s15, exec_lo
	v_cmpx_gt_i32_e64 s13, v96
	s_cbranch_execz .LBB180_105
; %bb.104:                              ;   in Loop: Header=BB180_102 Depth=1
	flat_load_dwordx2 v[65:66], v[2:3]
.LBB180_105:                            ;   in Loop: Header=BB180_102 Depth=1
	s_or_b32 exec_lo, exec_lo, s15
	v_or_b32_e32 v4, 1, v96
	s_mov_b32 s15, exec_lo
	v_cmpx_gt_i32_e64 s13, v4
	s_cbranch_execz .LBB180_107
; %bb.106:                              ;   in Loop: Header=BB180_102 Depth=1
	v_add_co_u32 v4, vcc_lo, v118, v95
	v_add_co_ci_u32_e64 v5, null, 0, v119, vcc_lo
	flat_load_dwordx2 v[63:64], v[4:5]
.LBB180_107:                            ;   in Loop: Header=BB180_102 Depth=1
	s_or_b32 exec_lo, exec_lo, s15
	v_mov_b32_e32 v67, 0
	v_or_b32_e32 v4, 2, v96
	v_mov_b32_e32 v68, 0
	s_mov_b32 s15, exec_lo
	v_cmpx_gt_i32_e64 s13, v4
	s_cbranch_execz .LBB180_109
; %bb.108:                              ;   in Loop: Header=BB180_102 Depth=1
	v_add_co_u32 v4, vcc_lo, v116, v95
	v_add_co_ci_u32_e64 v5, null, 0, v117, vcc_lo
	flat_load_dwordx2 v[67:68], v[4:5]
.LBB180_109:                            ;   in Loop: Header=BB180_102 Depth=1
	s_or_b32 exec_lo, exec_lo, s15
	v_cmp_gt_i32_e64 s15, s13, v106
	s_branch .LBB180_112
.LBB180_110:                            ;   in Loop: Header=BB180_102 Depth=1
	s_mov_b32 s15, 0
                                        ; implicit-def: $vgpr67_vgpr68
                                        ; implicit-def: $vgpr63_vgpr64
                                        ; implicit-def: $vgpr65_vgpr66
	s_cbranch_execz .LBB180_112
; %bb.111:                              ;   in Loop: Header=BB180_102 Depth=1
	v_add_co_u32 v4, vcc_lo, v118, v95
	v_add_co_ci_u32_e64 v5, null, 0, v119, vcc_lo
	v_add_co_u32 v6, vcc_lo, v116, v95
	v_add_co_ci_u32_e64 v7, null, 0, v117, vcc_lo
	s_waitcnt vmcnt(0) lgkmcnt(0)
	flat_load_dwordx2 v[65:66], v[2:3]
	flat_load_dwordx2 v[63:64], v[4:5]
	;; [unrolled: 1-line block ×3, first 2 shown]
	s_or_b32 s15, s15, exec_lo
.LBB180_112:                            ;   in Loop: Header=BB180_102 Depth=1
	v_mov_b32_e32 v69, 0
	v_mov_b32_e32 v70, 0
	s_and_saveexec_b32 s16, s15
	s_cbranch_execz .LBB180_114
; %bb.113:                              ;   in Loop: Header=BB180_102 Depth=1
	v_add_co_u32 v2, vcc_lo, v122, v95
	v_add_co_ci_u32_e64 v3, null, 0, v123, vcc_lo
	flat_load_dwordx2 v[69:70], v[2:3]
.LBB180_114:                            ;   in Loop: Header=BB180_102 Depth=1
	s_or_b32 exec_lo, exec_lo, s16
	ds_read_b64 v[2:3], v101
	v_cndmask_b32_e64 v42, 0, 1, s2
	s_waitcnt vmcnt(0) lgkmcnt(0)
	v_mul_f32_e32 v4, v3, v66
	v_mul_f32_e32 v11, v3, v65
	v_mul_f32_e32 v5, v3, v64
	v_mul_f32_e32 v13, v3, v63
	v_mul_f32_e32 v6, v3, v68
	v_mul_f32_e32 v15, v3, v67
	v_mul_f32_e32 v7, v3, v70
	v_mul_f32_e32 v17, v2, v70
	v_fma_f32 v10, v2, v65, -v4
	v_fmac_f32_e32 v11, v2, v66
	v_fma_f32 v12, v2, v63, -v5
	v_fmac_f32_e32 v13, v2, v64
	;; [unrolled: 2-line block ×4, first 2 shown]
	ds_read_b128 v[6:9], v100
	ds_read_b128 v[2:5], v100 offset:16
	ds_write2_b64 v102, v[10:11], v[12:13] offset1:67
	ds_write2_b64 v102, v[14:15], v[16:17] offset0:134 offset1:201
	s_waitcnt lgkmcnt(0)
	s_barrier
	buffer_gl0_inv
	ds_read2_b64 v[22:25], v103 offset1:1
	ds_read2_b64 v[14:17], v103 offset0:2 offset1:3
	v_add_co_u32 v10, vcc_lo, v128, v95
	v_add_co_ci_u32_e64 v11, null, 0, v129, vcc_lo
	s_andn2_b32 vcc_lo, exec_lo, s2
	s_waitcnt lgkmcnt(0)
	s_barrier
	buffer_gl0_inv
	s_cbranch_vccnz .LBB180_122
; %bb.115:                              ;   in Loop: Header=BB180_102 Depth=1
	v_mov_b32_e32 v71, 0
	v_mov_b32_e32 v73, 0
	;; [unrolled: 1-line block ×4, first 2 shown]
	s_mov_b32 s2, exec_lo
	v_cmpx_gt_i32_e64 s13, v107
	s_cbranch_execz .LBB180_117
; %bb.116:                              ;   in Loop: Header=BB180_102 Depth=1
	flat_load_dwordx2 v[73:74], v[10:11]
.LBB180_117:                            ;   in Loop: Header=BB180_102 Depth=1
	s_or_b32 exec_lo, exec_lo, s2
	s_mov_b32 s2, exec_lo
	v_cmpx_gt_i32_e64 s13, v108
	s_cbranch_execz .LBB180_119
; %bb.118:                              ;   in Loop: Header=BB180_102 Depth=1
	v_add_co_u32 v12, vcc_lo, v126, v95
	v_add_co_ci_u32_e64 v13, null, 0, v127, vcc_lo
	flat_load_dwordx2 v[71:72], v[12:13]
.LBB180_119:                            ;   in Loop: Header=BB180_102 Depth=1
	s_or_b32 exec_lo, exec_lo, s2
	v_mov_b32_e32 v75, 0
	v_mov_b32_e32 v76, 0
	s_mov_b32 s2, exec_lo
	v_cmpx_gt_i32_e64 s13, v109
	s_cbranch_execz .LBB180_121
; %bb.120:                              ;   in Loop: Header=BB180_102 Depth=1
	v_add_co_u32 v12, vcc_lo, v124, v95
	v_add_co_ci_u32_e64 v13, null, 0, v125, vcc_lo
	flat_load_dwordx2 v[75:76], v[12:13]
.LBB180_121:                            ;   in Loop: Header=BB180_102 Depth=1
	s_or_b32 exec_lo, exec_lo, s2
	v_cmp_gt_i32_e64 s2, s13, v110
	s_branch .LBB180_124
.LBB180_122:                            ;   in Loop: Header=BB180_102 Depth=1
	s_mov_b32 s2, 0
                                        ; implicit-def: $vgpr75_vgpr76
                                        ; implicit-def: $vgpr71_vgpr72
                                        ; implicit-def: $vgpr73_vgpr74
	s_cbranch_execz .LBB180_124
; %bb.123:                              ;   in Loop: Header=BB180_102 Depth=1
	v_add_co_u32 v12, vcc_lo, v126, v95
	v_add_co_ci_u32_e64 v13, null, 0, v127, vcc_lo
	v_add_co_u32 v18, vcc_lo, v124, v95
	v_add_co_ci_u32_e64 v19, null, 0, v125, vcc_lo
	s_waitcnt vmcnt(0) lgkmcnt(0)
	flat_load_dwordx2 v[73:74], v[10:11]
	flat_load_dwordx2 v[71:72], v[12:13]
	flat_load_dwordx2 v[75:76], v[18:19]
	s_or_b32 s2, s2, exec_lo
.LBB180_124:                            ;   in Loop: Header=BB180_102 Depth=1
	v_mov_b32_e32 v77, 0
	v_mov_b32_e32 v78, 0
	s_and_saveexec_b32 s15, s2
	s_cbranch_execz .LBB180_126
; %bb.125:                              ;   in Loop: Header=BB180_102 Depth=1
	v_add_co_u32 v10, vcc_lo, v130, v95
	v_add_co_ci_u32_e64 v11, null, 0, v131, vcc_lo
	flat_load_dwordx2 v[77:78], v[10:11]
.LBB180_126:                            ;   in Loop: Header=BB180_102 Depth=1
	s_or_b32 exec_lo, exec_lo, s15
	ds_read_b64 v[10:11], v101
	v_cmp_ne_u32_e32 vcc_lo, 1, v42
	s_and_b32 vcc_lo, exec_lo, vcc_lo
	s_waitcnt vmcnt(0) lgkmcnt(0)
	v_mul_f32_e32 v12, v11, v74
	v_mul_f32_e32 v27, v11, v73
	;; [unrolled: 1-line block ×8, first 2 shown]
	v_fma_f32 v26, v10, v73, -v12
	v_fmac_f32_e32 v27, v10, v74
	v_fma_f32 v28, v10, v71, -v13
	v_fmac_f32_e32 v29, v10, v72
	;; [unrolled: 2-line block ×4, first 2 shown]
	ds_read_b128 v[18:21], v100 offset:128
	ds_read_b128 v[10:13], v100 offset:144
	ds_write2_b64 v102, v[26:27], v[28:29] offset1:67
	ds_write2_b64 v102, v[30:31], v[32:33] offset0:134 offset1:201
	s_waitcnt lgkmcnt(0)
	s_barrier
	buffer_gl0_inv
	ds_read2_b64 v[38:41], v103 offset1:1
	ds_read2_b64 v[34:37], v103 offset0:2 offset1:3
	v_add_co_u32 v26, s2, v136, v95
	v_add_co_ci_u32_e64 v27, null, 0, v137, s2
	s_waitcnt lgkmcnt(0)
	s_barrier
	buffer_gl0_inv
	s_cbranch_vccnz .LBB180_134
; %bb.127:                              ;   in Loop: Header=BB180_102 Depth=1
	v_mov_b32_e32 v79, 0
	v_mov_b32_e32 v81, 0
	;; [unrolled: 1-line block ×4, first 2 shown]
	s_mov_b32 s2, exec_lo
	v_cmpx_gt_i32_e64 s13, v111
	s_cbranch_execz .LBB180_129
; %bb.128:                              ;   in Loop: Header=BB180_102 Depth=1
	flat_load_dwordx2 v[81:82], v[26:27]
.LBB180_129:                            ;   in Loop: Header=BB180_102 Depth=1
	s_or_b32 exec_lo, exec_lo, s2
	s_mov_b32 s2, exec_lo
	v_cmpx_gt_i32_e64 s13, v112
	s_cbranch_execz .LBB180_131
; %bb.130:                              ;   in Loop: Header=BB180_102 Depth=1
	v_add_co_u32 v28, vcc_lo, v134, v95
	v_add_co_ci_u32_e64 v29, null, 0, v135, vcc_lo
	flat_load_dwordx2 v[79:80], v[28:29]
.LBB180_131:                            ;   in Loop: Header=BB180_102 Depth=1
	s_or_b32 exec_lo, exec_lo, s2
	v_mov_b32_e32 v83, 0
	v_mov_b32_e32 v84, 0
	s_mov_b32 s2, exec_lo
	v_cmpx_gt_i32_e64 s13, v113
	s_cbranch_execz .LBB180_133
; %bb.132:                              ;   in Loop: Header=BB180_102 Depth=1
	v_add_co_u32 v28, vcc_lo, v132, v95
	v_add_co_ci_u32_e64 v29, null, 0, v133, vcc_lo
	flat_load_dwordx2 v[83:84], v[28:29]
.LBB180_133:                            ;   in Loop: Header=BB180_102 Depth=1
	s_or_b32 exec_lo, exec_lo, s2
	v_cmp_gt_i32_e64 s2, s13, v114
	s_branch .LBB180_136
.LBB180_134:                            ;   in Loop: Header=BB180_102 Depth=1
	s_mov_b32 s2, 0
                                        ; implicit-def: $vgpr83_vgpr84
                                        ; implicit-def: $vgpr79_vgpr80
                                        ; implicit-def: $vgpr81_vgpr82
	s_cbranch_execz .LBB180_136
; %bb.135:                              ;   in Loop: Header=BB180_102 Depth=1
	v_add_co_u32 v28, vcc_lo, v134, v95
	v_add_co_ci_u32_e64 v29, null, 0, v135, vcc_lo
	v_add_co_u32 v30, vcc_lo, v132, v95
	v_add_co_ci_u32_e64 v31, null, 0, v133, vcc_lo
	s_waitcnt vmcnt(0) lgkmcnt(0)
	flat_load_dwordx2 v[81:82], v[26:27]
	flat_load_dwordx2 v[79:80], v[28:29]
	;; [unrolled: 1-line block ×3, first 2 shown]
	s_or_b32 s2, s2, exec_lo
.LBB180_136:                            ;   in Loop: Header=BB180_102 Depth=1
	v_mov_b32_e32 v85, 0
	v_mov_b32_e32 v86, 0
	s_and_saveexec_b32 s15, s2
	s_cbranch_execz .LBB180_138
; %bb.137:                              ;   in Loop: Header=BB180_102 Depth=1
	v_add_co_u32 v26, vcc_lo, v138, v95
	v_add_co_ci_u32_e64 v27, null, 0, v139, vcc_lo
	flat_load_dwordx2 v[85:86], v[26:27]
.LBB180_138:                            ;   in Loop: Header=BB180_102 Depth=1
	s_or_b32 exec_lo, exec_lo, s15
	ds_read_b64 v[26:27], v101
	v_cmp_ne_u32_e32 vcc_lo, 1, v42
	v_add_co_u32 v42, s2, v144, v95
	s_and_b32 vcc_lo, exec_lo, vcc_lo
	s_waitcnt vmcnt(0) lgkmcnt(0)
	v_mul_f32_e32 v28, v27, v82
	v_mul_f32_e32 v44, v27, v81
	;; [unrolled: 1-line block ×8, first 2 shown]
	v_fma_f32 v43, v26, v81, -v28
	v_fmac_f32_e32 v44, v26, v82
	v_fma_f32 v45, v26, v79, -v29
	v_fmac_f32_e32 v46, v26, v80
	;; [unrolled: 2-line block ×4, first 2 shown]
	ds_read_b128 v[30:33], v100 offset:256
	ds_read_b128 v[26:29], v100 offset:272
	ds_write2_b64 v102, v[43:44], v[45:46] offset1:67
	ds_write2_b64 v102, v[47:48], v[49:50] offset0:134 offset1:201
	s_waitcnt lgkmcnt(0)
	s_barrier
	buffer_gl0_inv
	ds_read2_b64 v[54:57], v103 offset1:1
	ds_read2_b64 v[50:53], v103 offset0:2 offset1:3
	v_add_co_ci_u32_e64 v43, null, 0, v145, s2
	s_waitcnt lgkmcnt(0)
	s_barrier
	buffer_gl0_inv
	s_cbranch_vccnz .LBB180_146
; %bb.139:                              ;   in Loop: Header=BB180_102 Depth=1
	v_mov_b32_e32 v87, 0
	v_mov_b32_e32 v89, 0
	;; [unrolled: 1-line block ×4, first 2 shown]
	s_mov_b32 s2, exec_lo
	v_cmpx_gt_i32_e64 s13, v115
	s_cbranch_execz .LBB180_141
; %bb.140:                              ;   in Loop: Header=BB180_102 Depth=1
	flat_load_dwordx2 v[89:90], v[42:43]
.LBB180_141:                            ;   in Loop: Header=BB180_102 Depth=1
	s_or_b32 exec_lo, exec_lo, s2
	s_mov_b32 s2, exec_lo
	v_cmpx_gt_i32_e64 s13, v148
	s_cbranch_execz .LBB180_143
; %bb.142:                              ;   in Loop: Header=BB180_102 Depth=1
	v_add_co_u32 v44, vcc_lo, v142, v95
	v_add_co_ci_u32_e64 v45, null, 0, v143, vcc_lo
	flat_load_dwordx2 v[87:88], v[44:45]
.LBB180_143:                            ;   in Loop: Header=BB180_102 Depth=1
	s_or_b32 exec_lo, exec_lo, s2
	v_mov_b32_e32 v91, 0
	v_mov_b32_e32 v92, 0
	s_mov_b32 s2, exec_lo
	v_cmpx_gt_i32_e64 s13, v149
	s_cbranch_execz .LBB180_145
; %bb.144:                              ;   in Loop: Header=BB180_102 Depth=1
	v_add_co_u32 v44, vcc_lo, v140, v95
	v_add_co_ci_u32_e64 v45, null, 0, v141, vcc_lo
	flat_load_dwordx2 v[91:92], v[44:45]
.LBB180_145:                            ;   in Loop: Header=BB180_102 Depth=1
	s_or_b32 exec_lo, exec_lo, s2
	v_cmp_gt_i32_e64 s2, s13, v151
	s_branch .LBB180_148
.LBB180_146:                            ;   in Loop: Header=BB180_102 Depth=1
	s_mov_b32 s2, 0
                                        ; implicit-def: $vgpr91_vgpr92
                                        ; implicit-def: $vgpr87_vgpr88
                                        ; implicit-def: $vgpr89_vgpr90
	s_cbranch_execz .LBB180_148
; %bb.147:                              ;   in Loop: Header=BB180_102 Depth=1
	v_add_co_u32 v44, vcc_lo, v142, v95
	v_add_co_ci_u32_e64 v45, null, 0, v143, vcc_lo
	v_add_co_u32 v46, vcc_lo, v140, v95
	v_add_co_ci_u32_e64 v47, null, 0, v141, vcc_lo
	s_waitcnt vmcnt(0) lgkmcnt(0)
	flat_load_dwordx2 v[89:90], v[42:43]
	flat_load_dwordx2 v[87:88], v[44:45]
	;; [unrolled: 1-line block ×3, first 2 shown]
	s_or_b32 s2, s2, exec_lo
.LBB180_148:                            ;   in Loop: Header=BB180_102 Depth=1
	v_mov_b32_e32 v93, 0
	v_mov_b32_e32 v94, 0
	s_and_saveexec_b32 s15, s2
	s_cbranch_execz .LBB180_150
; %bb.149:                              ;   in Loop: Header=BB180_102 Depth=1
	v_add_co_u32 v42, vcc_lo, v146, v95
	v_add_co_ci_u32_e64 v43, null, 0, v147, vcc_lo
	flat_load_dwordx2 v[93:94], v[42:43]
.LBB180_150:                            ;   in Loop: Header=BB180_102 Depth=1
	s_or_b32 exec_lo, exec_lo, s15
	ds_read_b64 v[42:43], v101
	v_add_f32_e32 v54, 0, v54
	v_add_f32_e32 v55, 0, v55
	;; [unrolled: 1-line block ×6, first 2 shown]
	v_cmp_gt_i32_e32 vcc_lo, s13, v0
	v_add_f32_e32 v38, v38, v40
	v_add_f32_e32 v23, v23, v25
	;; [unrolled: 1-line block ×4, first 2 shown]
	s_or_b32 s2, s14, vcc_lo
	v_add_f32_e32 v34, v38, v34
	v_add_f32_e32 v41, v23, v15
	;; [unrolled: 1-line block ×4, first 2 shown]
	s_and_b32 s13, s1, s2
	v_add_f32_e32 v22, v34, v36
	v_add_f32_e32 v17, v41, v17
	s_waitcnt vmcnt(0) lgkmcnt(0)
	v_mul_f32_e32 v44, v43, v90
	v_mul_f32_e32 v153, v43, v89
	;; [unrolled: 1-line block ×8, first 2 shown]
	v_fma_f32 v152, v42, v89, -v44
	v_fmac_f32_e32 v153, v42, v90
	v_fma_f32 v154, v42, v87, -v45
	v_fmac_f32_e32 v155, v42, v88
	;; [unrolled: 2-line block ×4, first 2 shown]
	ds_read_b128 v[46:49], v100 offset:384
	ds_read_b128 v[42:45], v100 offset:400
	ds_write2_b64 v102, v[152:153], v[154:155] offset1:67
	ds_write2_b64 v102, v[156:157], v[158:159] offset0:134 offset1:201
	s_waitcnt lgkmcnt(0)
	s_barrier
	buffer_gl0_inv
	ds_read2_b64 v[152:155], v103 offset1:1
	v_add_f32_e32 v156, v54, v56
	v_add_f32_e32 v157, v55, v57
	ds_read2_b64 v[54:57], v103 offset0:2 offset1:3
	v_add_f32_e32 v16, v39, v16
	s_waitcnt lgkmcnt(0)
	v_add_f32_e32 v24, v156, v50
	v_add_f32_e32 v25, v157, v51
	s_barrier
	buffer_gl0_inv
	v_add_f32_e32 v14, v24, v52
	v_add_f32_e32 v15, v25, v53
	;; [unrolled: 1-line block ×11, first 2 shown]
	ds_write2_b64 v150, v[16:17], v[22:23] offset1:16
	ds_write2_b64 v150, v[14:15], v[24:25] offset0:32 offset1:48
	s_waitcnt lgkmcnt(0)
	s_barrier
	buffer_gl0_inv
	s_and_saveexec_b32 s2, s13
	s_cbranch_execz .LBB180_152
; %bb.151:                              ;   in Loop: Header=BB180_102 Depth=1
	ds_read_b64 v[38:39], v104
	ds_read2_b64 v[14:17], v104 offset0:1 offset1:2
	ds_read2_b64 v[22:25], v104 offset0:3 offset1:4
	;; [unrolled: 1-line block ×3, first 2 shown]
	s_waitcnt lgkmcnt(2)
	v_add_f32_e32 v14, v14, v38
	v_add_f32_e32 v15, v15, v39
	v_add_f32_e32 v38, v16, v14
	v_add_f32_e32 v39, v17, v15
	ds_read2_b64 v[14:17], v104 offset0:7 offset1:8
	s_waitcnt lgkmcnt(2)
	v_add_f32_e32 v22, v38, v22
	v_add_f32_e32 v23, v39, v23
	v_add_f32_e32 v38, v22, v24
	v_add_f32_e32 v39, v23, v25
	ds_read2_b64 v[22:25], v104 offset0:9 offset1:10
	;; [unrolled: 6-line block ×4, first 2 shown]
	s_waitcnt lgkmcnt(2)
	v_add_f32_e32 v22, v38, v22
	v_add_f32_e32 v23, v39, v23
	;; [unrolled: 1-line block ×4, first 2 shown]
	ds_read_b64 v[22:23], v105
	s_waitcnt lgkmcnt(2)
	v_add_f32_e32 v24, v24, v34
	v_add_f32_e32 v25, v25, v35
	;; [unrolled: 1-line block ×4, first 2 shown]
	v_add_nc_u32_e32 v24, s12, v0
	s_waitcnt lgkmcnt(1)
	v_add_f32_e32 v14, v34, v14
	v_add_f32_e32 v15, v25, v15
	v_ashrrev_i32_e32 v25, 31, v24
	v_add_f32_e32 v16, v14, v16
	v_add_f32_e32 v17, v15, v17
	v_lshlrev_b64 v[14:15], 3, v[24:25]
	s_waitcnt lgkmcnt(0)
	v_add_f32_e32 v16, v16, v22
	v_add_f32_e32 v17, v17, v23
	v_add_co_u32 v14, vcc_lo, s3, v14
	v_add_co_ci_u32_e64 v15, null, s7, v15, vcc_lo
	global_store_dwordx2 v[14:15], v[16:17], off
.LBB180_152:                            ;   in Loop: Header=BB180_102 Depth=1
	s_or_b32 exec_lo, exec_lo, s2
	v_mul_f32_e32 v14, v7, v66
	v_mul_f32_e32 v7, v7, v65
	;; [unrolled: 1-line block ×5, first 2 shown]
	v_fma_f32 v14, v6, v65, -v14
	v_fmac_f32_e32 v7, v6, v66
	v_fma_f32 v15, v8, v63, -v15
	v_mul_f32_e32 v3, v3, v67
	v_mul_f32_e32 v17, v5, v70
	v_add_f32_e32 v14, v60, v14
	v_fma_f32 v6, v2, v67, -v16
	v_fmac_f32_e32 v9, v8, v64
	v_add_f32_e32 v7, v61, v7
	v_mul_f32_e32 v5, v5, v69
	v_add_f32_e32 v14, v14, v15
	v_mul_f32_e32 v22, v19, v74
	v_fma_f32 v8, v4, v69, -v17
	v_fmac_f32_e32 v3, v2, v68
	v_add_f32_e32 v2, v7, v9
	v_add_f32_e32 v6, v14, v6
	v_mul_f32_e32 v19, v19, v73
	v_mul_f32_e32 v15, v21, v72
	v_fma_f32 v7, v18, v73, -v22
	v_fmac_f32_e32 v5, v4, v70
	v_add_f32_e32 v6, v6, v8
	v_add_f32_e32 v2, v2, v3
	v_mul_f32_e32 v14, v21, v71
	v_mul_f32_e32 v8, v11, v76
	v_fma_f32 v3, v20, v71, -v15
	v_add_f32_e32 v4, v6, v7
	v_fmac_f32_e32 v19, v18, v74
	v_add_f32_e32 v2, v2, v5
	v_mul_f32_e32 v6, v13, v78
	v_fma_f32 v5, v10, v75, -v8
	v_add_f32_e32 v3, v4, v3
	v_mul_f32_e32 v4, v11, v75
	v_fmac_f32_e32 v14, v20, v72
	v_add_f32_e32 v2, v2, v19
	v_fma_f32 v6, v12, v77, -v6
	v_add_f32_e32 v3, v3, v5
	v_mul_f32_e32 v5, v31, v82
	v_fmac_f32_e32 v4, v10, v76
	v_add_f32_e32 v2, v2, v14
	v_mul_f32_e32 v7, v13, v77
	v_add_f32_e32 v3, v3, v6
	v_fma_f32 v5, v30, v81, -v5
	v_mul_f32_e32 v6, v33, v80
	v_add_f32_e32 v2, v2, v4
	v_fmac_f32_e32 v7, v12, v78
	v_mul_f32_e32 v4, v31, v81
	v_add_f32_e32 v3, v3, v5
	v_fma_f32 v5, v32, v79, -v6
	v_mul_f32_e32 v6, v27, v84
	v_add_f32_e32 v2, v2, v7
	v_fmac_f32_e32 v4, v30, v82
	v_mul_f32_e32 v7, v33, v79
	v_add_f32_e32 v3, v3, v5
	v_fma_f32 v5, v26, v83, -v6
	v_mul_f32_e32 v6, v29, v86
	v_add_f32_e32 v2, v2, v4
	v_fmac_f32_e32 v7, v32, v80
	v_mul_f32_e32 v4, v27, v83
	v_add_co_u32 v116, vcc_lo, v116, s4
	v_add_f32_e32 v3, v3, v5
	v_fma_f32 v5, v28, v85, -v6
	v_add_f32_e32 v2, v2, v7
	v_fmac_f32_e32 v4, v26, v84
	v_mul_f32_e32 v6, v47, v90
	v_mul_f32_e32 v7, v29, v85
	v_add_co_ci_u32_e64 v117, null, s5, v117, vcc_lo
	v_add_co_u32 v118, vcc_lo, v118, s4
	v_add_co_ci_u32_e64 v119, null, s5, v119, vcc_lo
	v_add_co_u32 v120, vcc_lo, v120, s4
	;; [unrolled: 2-line block ×3, first 2 shown]
	v_add_f32_e32 v3, v3, v5
	v_add_f32_e32 v2, v2, v4
	v_fma_f32 v4, v46, v89, -v6
	v_mul_f32_e32 v5, v49, v88
	v_fmac_f32_e32 v7, v28, v86
	v_mul_f32_e32 v6, v47, v89
	v_add_co_ci_u32_e64 v123, null, s5, v123, vcc_lo
	v_add_co_u32 v124, vcc_lo, v124, s4
	v_add_co_ci_u32_e64 v125, null, s5, v125, vcc_lo
	v_add_co_u32 v126, vcc_lo, v126, s4
	v_add_f32_e32 v3, v3, v4
	v_fma_f32 v4, v48, v87, -v5
	v_add_f32_e32 v2, v2, v7
	v_mul_f32_e32 v5, v49, v87
	v_fmac_f32_e32 v6, v46, v90
	v_add_co_ci_u32_e64 v127, null, s5, v127, vcc_lo
	v_add_co_u32 v128, vcc_lo, v128, s4
	v_add_co_ci_u32_e64 v129, null, s5, v129, vcc_lo
	v_add_co_u32 v130, vcc_lo, v130, s4
	;; [unrolled: 2-line block ×3, first 2 shown]
	v_mul_f32_e32 v7, v43, v92
	v_add_f32_e32 v3, v3, v4
	v_mul_f32_e32 v4, v43, v91
	v_fmac_f32_e32 v5, v48, v88
	v_add_f32_e32 v2, v2, v6
	v_add_co_ci_u32_e64 v133, null, s5, v133, vcc_lo
	v_add_co_u32 v134, vcc_lo, v134, s4
	v_add_co_ci_u32_e64 v135, null, s5, v135, vcc_lo
	v_add_co_u32 v136, vcc_lo, v136, s4
	v_fma_f32 v6, v42, v91, -v7
	v_mul_f32_e32 v7, v45, v94
	v_mul_f32_e32 v8, v45, v93
	v_fmac_f32_e32 v4, v42, v92
	v_add_f32_e32 v2, v2, v5
	v_add_co_ci_u32_e64 v137, null, s5, v137, vcc_lo
	v_add_co_u32 v138, vcc_lo, v138, s4
	v_add_co_ci_u32_e64 v139, null, s5, v139, vcc_lo
	v_add_co_u32 v140, vcc_lo, v140, s4
	;; [unrolled: 2-line block ×3, first 2 shown]
	v_add_f32_e32 v3, v3, v6
	v_fma_f32 v5, v44, v93, -v7
	v_fmac_f32_e32 v8, v44, v94
	v_add_f32_e32 v2, v2, v4
	v_add_co_ci_u32_e64 v143, null, s5, v143, vcc_lo
	v_add_co_u32 v144, vcc_lo, v144, s4
	v_add_co_ci_u32_e64 v145, null, s5, v145, vcc_lo
	v_add_co_u32 v146, vcc_lo, v146, s4
	v_add_f32_e32 v60, v3, v5
	v_add_f32_e32 v61, v2, v8
	v_add_co_ci_u32_e64 v147, null, s5, v147, vcc_lo
	s_add_i32 s2, s6, 1
	s_add_i32 s6, s6, 2
	;; [unrolled: 1-line block ×3, first 2 shown]
	s_cmp_ge_u32 s6, s19
	s_waitcnt_vscnt null, 0x0
	s_barrier
	buffer_gl0_inv
	s_cbranch_scc0 .LBB180_97
.LBB180_153:
	v_cmp_gt_i32_e32 vcc_lo, s10, v0
	v_mad_u32_u24 v1, 0x218, v1, v95
	s_or_b32 s1, s23, vcc_lo
	ds_write_b64 v1, v[60:61]
	s_and_b32 s0, s0, s1
	s_waitcnt lgkmcnt(0)
	s_barrier
	buffer_gl0_inv
	s_and_saveexec_b32 s1, s0
	s_cbranch_execz .LBB180_155
; %bb.154:
	ds_read2_b64 v[0:3], v95 offset1:67
	ds_read2_b64 v[4:7], v95 offset0:134 offset1:201
	s_waitcnt lgkmcnt(1)
	v_add_f32_e32 v0, v2, v0
	v_add_f32_e32 v1, v3, v1
	s_waitcnt lgkmcnt(0)
	v_add_f32_e32 v2, v4, v0
	v_add_f32_e32 v3, v5, v1
	v_lshlrev_b64 v[0:1], 3, v[58:59]
	v_add_f32_e32 v2, v2, v6
	v_add_f32_e32 v3, v3, v7
	v_add_co_u32 v0, vcc_lo, s3, v0
	v_add_co_ci_u32_e64 v1, null, s7, v1, vcc_lo
	global_store_dwordx2 v[0:1], v[2:3], off
.LBB180_155:
	s_endpgm
	.section	.rodata,"a",@progbits
	.p2align	6, 0x0
	.amdhsa_kernel _ZL26rocblas_hemvn_kernel_upperILb0ELi64ELi4ELi33ELi32ELi16ElPK19rocblas_complex_numIfEPKS3_PS1_EviT6_lT7_lT5_lS8_lS9_lS7_lT8_i
		.amdhsa_group_segment_fixed_size 9600
		.amdhsa_private_segment_fixed_size 0
		.amdhsa_kernarg_size 376
		.amdhsa_user_sgpr_count 6
		.amdhsa_user_sgpr_private_segment_buffer 1
		.amdhsa_user_sgpr_dispatch_ptr 0
		.amdhsa_user_sgpr_queue_ptr 0
		.amdhsa_user_sgpr_kernarg_segment_ptr 1
		.amdhsa_user_sgpr_dispatch_id 0
		.amdhsa_user_sgpr_flat_scratch_init 0
		.amdhsa_user_sgpr_private_segment_size 0
		.amdhsa_wavefront_size32 1
		.amdhsa_uses_dynamic_stack 0
		.amdhsa_system_sgpr_private_segment_wavefront_offset 0
		.amdhsa_system_sgpr_workgroup_id_x 1
		.amdhsa_system_sgpr_workgroup_id_y 0
		.amdhsa_system_sgpr_workgroup_id_z 1
		.amdhsa_system_sgpr_workgroup_info 0
		.amdhsa_system_vgpr_workitem_id 1
		.amdhsa_next_free_vgpr 160
		.amdhsa_next_free_sgpr 30
		.amdhsa_reserve_vcc 1
		.amdhsa_reserve_flat_scratch 1
		.amdhsa_float_round_mode_32 0
		.amdhsa_float_round_mode_16_64 0
		.amdhsa_float_denorm_mode_32 3
		.amdhsa_float_denorm_mode_16_64 3
		.amdhsa_dx10_clamp 1
		.amdhsa_ieee_mode 1
		.amdhsa_fp16_overflow 0
		.amdhsa_workgroup_processor_mode 1
		.amdhsa_memory_ordered 1
		.amdhsa_forward_progress 1
		.amdhsa_shared_vgpr_count 0
		.amdhsa_exception_fp_ieee_invalid_op 0
		.amdhsa_exception_fp_denorm_src 0
		.amdhsa_exception_fp_ieee_div_zero 0
		.amdhsa_exception_fp_ieee_overflow 0
		.amdhsa_exception_fp_ieee_underflow 0
		.amdhsa_exception_fp_ieee_inexact 0
		.amdhsa_exception_int_div_zero 0
	.end_amdhsa_kernel
	.section	.text._ZL26rocblas_hemvn_kernel_upperILb0ELi64ELi4ELi33ELi32ELi16ElPK19rocblas_complex_numIfEPKS3_PS1_EviT6_lT7_lT5_lS8_lS9_lS7_lT8_i,"axG",@progbits,_ZL26rocblas_hemvn_kernel_upperILb0ELi64ELi4ELi33ELi32ELi16ElPK19rocblas_complex_numIfEPKS3_PS1_EviT6_lT7_lT5_lS8_lS9_lS7_lT8_i,comdat
.Lfunc_end180:
	.size	_ZL26rocblas_hemvn_kernel_upperILb0ELi64ELi4ELi33ELi32ELi16ElPK19rocblas_complex_numIfEPKS3_PS1_EviT6_lT7_lT5_lS8_lS9_lS7_lT8_i, .Lfunc_end180-_ZL26rocblas_hemvn_kernel_upperILb0ELi64ELi4ELi33ELi32ELi16ElPK19rocblas_complex_numIfEPKS3_PS1_EviT6_lT7_lT5_lS8_lS9_lS7_lT8_i
                                        ; -- End function
	.set _ZL26rocblas_hemvn_kernel_upperILb0ELi64ELi4ELi33ELi32ELi16ElPK19rocblas_complex_numIfEPKS3_PS1_EviT6_lT7_lT5_lS8_lS9_lS7_lT8_i.num_vgpr, 160
	.set _ZL26rocblas_hemvn_kernel_upperILb0ELi64ELi4ELi33ELi32ELi16ElPK19rocblas_complex_numIfEPKS3_PS1_EviT6_lT7_lT5_lS8_lS9_lS7_lT8_i.num_agpr, 0
	.set _ZL26rocblas_hemvn_kernel_upperILb0ELi64ELi4ELi33ELi32ELi16ElPK19rocblas_complex_numIfEPKS3_PS1_EviT6_lT7_lT5_lS8_lS9_lS7_lT8_i.numbered_sgpr, 30
	.set _ZL26rocblas_hemvn_kernel_upperILb0ELi64ELi4ELi33ELi32ELi16ElPK19rocblas_complex_numIfEPKS3_PS1_EviT6_lT7_lT5_lS8_lS9_lS7_lT8_i.num_named_barrier, 0
	.set _ZL26rocblas_hemvn_kernel_upperILb0ELi64ELi4ELi33ELi32ELi16ElPK19rocblas_complex_numIfEPKS3_PS1_EviT6_lT7_lT5_lS8_lS9_lS7_lT8_i.private_seg_size, 0
	.set _ZL26rocblas_hemvn_kernel_upperILb0ELi64ELi4ELi33ELi32ELi16ElPK19rocblas_complex_numIfEPKS3_PS1_EviT6_lT7_lT5_lS8_lS9_lS7_lT8_i.uses_vcc, 1
	.set _ZL26rocblas_hemvn_kernel_upperILb0ELi64ELi4ELi33ELi32ELi16ElPK19rocblas_complex_numIfEPKS3_PS1_EviT6_lT7_lT5_lS8_lS9_lS7_lT8_i.uses_flat_scratch, 1
	.set _ZL26rocblas_hemvn_kernel_upperILb0ELi64ELi4ELi33ELi32ELi16ElPK19rocblas_complex_numIfEPKS3_PS1_EviT6_lT7_lT5_lS8_lS9_lS7_lT8_i.has_dyn_sized_stack, 0
	.set _ZL26rocblas_hemvn_kernel_upperILb0ELi64ELi4ELi33ELi32ELi16ElPK19rocblas_complex_numIfEPKS3_PS1_EviT6_lT7_lT5_lS8_lS9_lS7_lT8_i.has_recursion, 0
	.set _ZL26rocblas_hemvn_kernel_upperILb0ELi64ELi4ELi33ELi32ELi16ElPK19rocblas_complex_numIfEPKS3_PS1_EviT6_lT7_lT5_lS8_lS9_lS7_lT8_i.has_indirect_call, 0
	.section	.AMDGPU.csdata,"",@progbits
; Kernel info:
; codeLenInByte = 9352
; TotalNumSgprs: 32
; NumVgprs: 160
; ScratchSize: 0
; MemoryBound: 1
; FloatMode: 240
; IeeeMode: 1
; LDSByteSize: 9600 bytes/workgroup (compile time only)
; SGPRBlocks: 0
; VGPRBlocks: 19
; NumSGPRsForWavesPerEU: 32
; NumVGPRsForWavesPerEU: 160
; Occupancy: 6
; WaveLimiterHint : 1
; COMPUTE_PGM_RSRC2:SCRATCH_EN: 0
; COMPUTE_PGM_RSRC2:USER_SGPR: 6
; COMPUTE_PGM_RSRC2:TRAP_HANDLER: 0
; COMPUTE_PGM_RSRC2:TGID_X_EN: 1
; COMPUTE_PGM_RSRC2:TGID_Y_EN: 0
; COMPUTE_PGM_RSRC2:TGID_Z_EN: 1
; COMPUTE_PGM_RSRC2:TIDIG_COMP_CNT: 1
	.section	.text._ZL26rocblas_hemvn_kernel_upperILb0ELi64ELi4ELi33ELi32ELi16EiPK19rocblas_complex_numIfEPKS3_PS1_EviT6_lT7_lT5_lS8_lS9_lS7_lT8_i,"axG",@progbits,_ZL26rocblas_hemvn_kernel_upperILb0ELi64ELi4ELi33ELi32ELi16EiPK19rocblas_complex_numIfEPKS3_PS1_EviT6_lT7_lT5_lS8_lS9_lS7_lT8_i,comdat
	.globl	_ZL26rocblas_hemvn_kernel_upperILb0ELi64ELi4ELi33ELi32ELi16EiPK19rocblas_complex_numIfEPKS3_PS1_EviT6_lT7_lT5_lS8_lS9_lS7_lT8_i ; -- Begin function _ZL26rocblas_hemvn_kernel_upperILb0ELi64ELi4ELi33ELi32ELi16EiPK19rocblas_complex_numIfEPKS3_PS1_EviT6_lT7_lT5_lS8_lS9_lS7_lT8_i
	.p2align	8
	.type	_ZL26rocblas_hemvn_kernel_upperILb0ELi64ELi4ELi33ELi32ELi16EiPK19rocblas_complex_numIfEPKS3_PS1_EviT6_lT7_lT5_lS8_lS9_lS7_lT8_i,@function
_ZL26rocblas_hemvn_kernel_upperILb0ELi64ELi4ELi33ELi32ELi16EiPK19rocblas_complex_numIfEPKS3_PS1_EviT6_lT7_lT5_lS8_lS9_lS7_lT8_i: ; @_ZL26rocblas_hemvn_kernel_upperILb0ELi64ELi4ELi33ELi32ELi16EiPK19rocblas_complex_numIfEPKS3_PS1_EviT6_lT7_lT5_lS8_lS9_lS7_lT8_i
; %bb.0:
	s_load_dwordx2 s[0:1], s[4:5], 0x84
	s_add_u32 s20, s4, 0x78
	s_addc_u32 s21, s5, 0
	s_waitcnt lgkmcnt(0)
	s_lshr_b32 s2, s0, 16
	s_and_b32 s0, s0, 0xffff
	s_and_b32 s1, s1, 0xffff
	s_mul_i32 s0, s2, s0
	s_mul_i32 s0, s0, s1
	s_cmpk_lg_i32 s0, 0x100
	s_cbranch_scc1 .LBB181_155
; %bb.1:
	s_load_dwordx8 s[8:15], s[4:5], 0x8
	s_mov_b32 s16, s7
	s_mov_b32 s17, 0
	s_waitcnt lgkmcnt(0)
	s_mul_i32 s0, s11, s7
	s_mul_hi_u32 s1, s10, s7
	s_add_i32 s1, s1, s0
	s_mul_i32 s0, s10, s7
	s_lshl_b64 s[0:1], s[0:1], 3
	s_add_u32 s0, s8, s0
	s_addc_u32 s1, s9, s1
	s_load_dwordx2 s[8:9], s[0:1], 0x0
	s_clause 0x1
	s_load_dwordx2 s[18:19], s[4:5], 0x68
	s_load_dwordx4 s[0:3], s[4:5], 0x58
	s_waitcnt lgkmcnt(0)
	s_or_b32 s7, s8, s9
	s_bitset0_b32 s7, 31
	s_cmp_lg_u32 s7, 0
	s_mov_b32 s7, -1
	s_cbranch_scc1 .LBB181_3
; %bb.2:
	s_mul_i32 s3, s3, s16
	s_mul_hi_u32 s7, s2, s16
	s_mul_i32 s2, s2, s16
	s_add_i32 s3, s7, s3
	s_mov_b32 s7, 0
	s_lshl_b64 s[2:3], s[2:3], 3
	s_add_u32 s0, s0, s2
	s_addc_u32 s1, s1, s3
	s_load_dwordx2 s[0:1], s[0:1], 0x0
	s_waitcnt lgkmcnt(0)
	v_cmp_eq_f32_e64 s0, s0, 1.0
	v_cmp_eq_f32_e64 s1, s1, 0
	s_and_b32 s0, s0, s1
	s_andn2_b32 vcc_lo, exec_lo, s0
.LBB181_3:
	s_andn2_b32 vcc_lo, exec_lo, s7
	s_cbranch_vccnz .LBB181_155
; %bb.4:
	s_clause 0x1
	s_load_dwordx4 s[0:3], s[4:5], 0x38
	s_load_dword s24, s[4:5], 0x48
	s_lshl_b64 s[8:9], s[16:17], 3
	s_add_u32 s10, s12, s8
	s_addc_u32 s11, s13, s9
	s_waitcnt lgkmcnt(0)
	s_add_u32 s0, s0, s8
	s_addc_u32 s1, s1, s9
	s_lshl_b64 s[2:3], s[2:3], 3
	s_load_dwordx2 s[0:1], s[0:1], 0x0
	s_load_dword s17, s[4:5], 0x0
	s_load_dword s26, s[20:21], 0x0
	s_waitcnt lgkmcnt(0)
	s_add_u32 s0, s0, s2
	s_addc_u32 s1, s1, s3
	s_lshl_b32 s12, s6, 6
	s_load_dwordx2 s[2:3], s[10:11], 0x0
	v_add_nc_u32_e32 v58, s12, v0
	s_ashr_i32 s25, s17, 31
	s_add_i32 s8, s26, -1
	s_lshr_b32 s7, s25, 26
	v_mul_lo_u32 v2, s24, v58
	s_add_i32 s7, s17, s7
	s_andn2_b32 s7, s7, 63
	s_sub_i32 s27, s17, s7
	s_cmp_eq_u32 s6, s8
	s_mov_b32 s7, -1
	v_ashrrev_i32_e32 v3, 31, v2
	s_cselect_b32 s8, s27, 0
	v_lshlrev_b64 v[2:3], 3, v[2:3]
	v_add_co_u32 v16, vcc_lo, s0, v2
	v_add_co_ci_u32_e64 v17, null, s1, v3, vcc_lo
	v_cmp_eq_u32_e64 s0, 0, v1
	s_and_saveexec_b32 s1, s0
	s_cbranch_execz .LBB181_9
; %bb.5:
	v_cmp_le_i32_e32 vcc_lo, s8, v0
	s_cmp_lg_u32 s8, 0
	v_lshl_add_u32 v2, v0, 3, 0x2380
	s_cselect_b32 s9, -1, 0
	s_and_b32 s9, s9, vcc_lo
	s_and_saveexec_b32 s10, s9
	s_xor_b32 s9, exec_lo, s10
; %bb.6:
	v_mov_b32_e32 v3, 0
	v_mov_b32_e32 v4, v3
	ds_write_b64 v2, v[3:4]
                                        ; implicit-def: $vgpr2
; %bb.7:
	s_andn2_saveexec_b32 s9, s9
	s_cbranch_execz .LBB181_9
; %bb.8:
	flat_load_dwordx2 v[3:4], v[16:17]
	s_waitcnt vmcnt(0) lgkmcnt(0)
	ds_write_b64 v2, v[3:4]
.LBB181_9:
	s_or_b32 exec_lo, exec_lo, s1
	s_load_dword s10, s[4:5], 0x28
	v_lshl_add_u32 v24, v1, 6, v0
	v_and_b32_e32 v2, 31, v0
	s_lshl_b64 s[4:5], s[14:15], 3
	s_waitcnt lgkmcnt(0)
	s_add_u32 s1, s2, s4
	v_lshrrev_b32_e32 v9, 5, v24
	s_addc_u32 s4, s3, s5
	s_ashr_i32 s13, s12, 31
	v_lshlrev_b32_e32 v10, 3, v2
	s_lshl_b64 s[2:3], s[12:13], 3
	v_mul_u32_u24_e32 v11, 0x108, v9
	s_add_u32 s5, s1, s2
	s_addc_u32 s4, s4, s3
	v_cmp_gt_i32_e64 s1, s8, v2
	v_mad_u64_u32 v[3:4], null, s10, v9, v[2:3]
	s_mul_i32 s2, s10, s12
	s_ashr_i32 s3, s2, 31
	s_lshl_b64 s[2:3], s[2:3], 3
	s_cmp_eq_u32 s8, 0
	v_ashrrev_i32_e32 v4, 31, v3
	s_cselect_b32 s28, -1, 0
	s_cmp_lg_u32 s8, 0
	s_cselect_b32 s13, -1, 0
	v_lshlrev_b64 v[14:15], 3, v[3:4]
	v_add_co_u32 v3, vcc_lo, s5, v14
	v_add_co_ci_u32_e64 v4, null, s4, v15, vcc_lo
	s_and_b32 vcc_lo, exec_lo, s13
	v_add_co_u32 v5, s2, v3, s2
	v_add_co_ci_u32_e64 v6, null, s3, v4, s2
                                        ; implicit-def: $vgpr3_vgpr4
	s_cbranch_vccz .LBB181_27
; %bb.10:
	v_sub_co_u32 v3, vcc_lo, v5, v10
	s_ashr_i32 s9, s8, 31
	v_subrev_co_ci_u32_e64 v4, null, 0, v6, vcc_lo
	s_lshl_b64 s[2:3], s[8:9], 3
	v_add_nc_u32_e32 v7, v10, v11
	v_add_co_u32 v3, vcc_lo, v3, s2
	v_add_co_ci_u32_e64 v4, null, s3, v4, vcc_lo
	s_mov_b32 s4, exec_lo
	v_add_co_u32 v3, vcc_lo, v3, -8
	v_add_co_ci_u32_e64 v4, null, -1, v4, vcc_lo
	v_cndmask_b32_e64 v3, v3, v5, s1
	v_cndmask_b32_e64 v4, v4, v6, s1
	v_cmpx_le_i32_e64 s8, v9
	s_xor_b32 s4, exec_lo, s4
; %bb.11:
	v_mov_b32_e32 v12, 0
	v_mov_b32_e32 v13, v12
	ds_write_b64 v7, v[12:13]
; %bb.12:
	s_andn2_saveexec_b32 s4, s4
	s_cbranch_execz .LBB181_14
; %bb.13:
	flat_load_dwordx2 v[12:13], v[3:4]
	s_waitcnt vmcnt(0) lgkmcnt(0)
	ds_write_b64 v7, v[12:13]
.LBB181_14:
	s_or_b32 exec_lo, exec_lo, s4
	v_add_nc_u32_e32 v8, 8, v9
	s_mov_b32 s4, exec_lo
	v_cmpx_le_i32_e64 s8, v8
	s_xor_b32 s4, exec_lo, s4
; %bb.15:
	v_mov_b32_e32 v12, 0
	v_mov_b32_e32 v13, v12
	ds_write_b64 v7, v[12:13] offset:2112
; %bb.16:
	s_andn2_saveexec_b32 s4, s4
	s_cbranch_execz .LBB181_18
; %bb.17:
	s_lshl_b32 s14, s10, 3
	s_ashr_i32 s15, s14, 31
	s_lshl_b64 s[14:15], s[14:15], 3
	v_add_co_u32 v12, vcc_lo, v3, s14
	v_add_co_ci_u32_e64 v13, null, s15, v4, vcc_lo
	flat_load_dwordx2 v[12:13], v[12:13]
	s_waitcnt vmcnt(0) lgkmcnt(0)
	ds_write_b64 v7, v[12:13] offset:2112
.LBB181_18:
	s_or_b32 exec_lo, exec_lo, s4
	v_add_nc_u32_e32 v8, 16, v9
	s_mov_b32 s4, exec_lo
	v_cmpx_le_i32_e64 s8, v8
	s_xor_b32 s4, exec_lo, s4
; %bb.19:
	v_mov_b32_e32 v12, 0
	v_mov_b32_e32 v13, v12
	ds_write_b64 v7, v[12:13] offset:4224
; %bb.20:
	s_andn2_saveexec_b32 s4, s4
	s_cbranch_execz .LBB181_22
; %bb.21:
	s_lshl_b32 s14, s10, 4
	s_ashr_i32 s15, s14, 31
	s_lshl_b64 s[14:15], s[14:15], 3
	v_add_co_u32 v12, vcc_lo, v3, s14
	v_add_co_ci_u32_e64 v13, null, s15, v4, vcc_lo
	flat_load_dwordx2 v[12:13], v[12:13]
	s_waitcnt vmcnt(0) lgkmcnt(0)
	ds_write_b64 v7, v[12:13] offset:4224
.LBB181_22:
	s_or_b32 exec_lo, exec_lo, s4
	v_add_nc_u32_e32 v8, 24, v9
	s_mov_b32 s4, exec_lo
	v_cmpx_le_i32_e64 s8, v8
	s_xor_b32 s4, exec_lo, s4
; %bb.23:
	v_mov_b32_e32 v12, 0
	v_mov_b32_e32 v13, v12
	ds_write_b64 v7, v[12:13] offset:6336
                                        ; implicit-def: $vgpr7
; %bb.24:
	s_andn2_saveexec_b32 s4, s4
	s_cbranch_execz .LBB181_26
; %bb.25:
	s_mul_i32 s14, s10, 24
	s_ashr_i32 s15, s14, 31
	s_lshl_b64 s[14:15], s[14:15], 3
	v_add_co_u32 v12, vcc_lo, v3, s14
	v_add_co_ci_u32_e64 v13, null, s15, v4, vcc_lo
	flat_load_dwordx2 v[12:13], v[12:13]
	s_waitcnt vmcnt(0) lgkmcnt(0)
	ds_write_b64 v7, v[12:13] offset:6336
.LBB181_26:
	s_or_b32 exec_lo, exec_lo, s4
	v_add_co_u32 v3, vcc_lo, v3, v10
	v_add_co_ci_u32_e64 v4, null, 0, v4, vcc_lo
	s_mov_b32 s7, 0
	v_sub_co_u32 v3, vcc_lo, v3, s2
	v_subrev_co_ci_u32_e64 v4, null, s3, v4, vcc_lo
	v_add_co_u32 v3, vcc_lo, v3, 8
	v_add_co_ci_u32_e64 v4, null, 0, v4, vcc_lo
	v_cndmask_b32_e64 v3, v3, v5, s1
	v_cndmask_b32_e64 v4, v4, v6, s1
.LBB181_27:
	s_and_b32 vcc_lo, exec_lo, s7
	s_cbranch_vccz .LBB181_29
; %bb.28:
	s_lshl_b32 s2, s10, 3
	s_ashr_i32 s11, s10, 31
	s_ashr_i32 s3, s2, 31
	v_lshl_add_u32 v22, v2, 3, v11
	s_lshl_b64 s[2:3], s[2:3], 3
	v_add_co_u32 v3, vcc_lo, v5, s2
	v_add_co_ci_u32_e64 v4, null, s3, v6, vcc_lo
	s_lshl_b64 s[2:3], s[10:11], 6
	v_add_co_u32 v7, vcc_lo, v3, s2
	v_add_co_ci_u32_e64 v8, null, s3, v4, vcc_lo
	v_add_co_u32 v12, vcc_lo, v7, s2
	v_add_co_ci_u32_e64 v13, null, s3, v8, vcc_lo
	s_clause 0x3
	flat_load_dwordx2 v[18:19], v[5:6]
	flat_load_dwordx2 v[20:21], v[3:4]
	flat_load_dwordx2 v[7:8], v[7:8]
	flat_load_dwordx2 v[12:13], v[12:13]
	v_mov_b32_e32 v3, v5
	v_mov_b32_e32 v4, v6
	s_waitcnt vmcnt(3) lgkmcnt(3)
	ds_write_b64 v22, v[18:19]
	s_waitcnt vmcnt(2) lgkmcnt(3)
	ds_write_b64 v22, v[20:21] offset:2112
	s_waitcnt vmcnt(1) lgkmcnt(3)
	ds_write_b64 v22, v[7:8] offset:4224
	;; [unrolled: 2-line block ×3, first 2 shown]
.LBB181_29:
	v_lshlrev_b32_e32 v12, 2, v9
	v_lshl_or_b32 v5, v2, 8, v10
	s_waitcnt lgkmcnt(0)
	s_barrier
	buffer_gl0_inv
	v_cmp_gt_u32_e64 s2, v12, v2
	v_lshl_add_u32 v7, v12, 3, v5
	v_mad_u32_u24 v5, 0x420, v9, v10
	s_and_saveexec_b32 s1, s2
	s_cbranch_execz .LBB181_31
; %bb.30:
	ds_read_b64 v[18:19], v5
	s_waitcnt lgkmcnt(0)
	ds_write_b64 v7, v[18:19]
.LBB181_31:
	s_or_b32 exec_lo, exec_lo, s1
	v_or_b32_e32 v18, 1, v12
	v_cmp_ge_u32_e64 s3, v12, v2
	v_mad_u32_u24 v6, 0x108, v18, v10
	s_and_saveexec_b32 s1, s3
	s_cbranch_execz .LBB181_33
; %bb.32:
	ds_read_b64 v[19:20], v6
	s_waitcnt lgkmcnt(0)
	ds_write_b64 v7, v[19:20] offset:8
.LBB181_33:
	s_or_b32 exec_lo, exec_lo, s1
	v_or_b32_e32 v8, 2, v12
	v_cmp_gt_u32_e64 s4, v8, v2
	s_and_saveexec_b32 s1, s4
	s_cbranch_execz .LBB181_35
; %bb.34:
	v_mad_u32_u24 v8, 0x108, v8, v10
	ds_read_b64 v[19:20], v8
	s_waitcnt lgkmcnt(0)
	ds_write_b64 v7, v[19:20] offset:16
.LBB181_35:
	s_or_b32 exec_lo, exec_lo, s1
	v_or_b32_e32 v13, 3, v12
	s_mov_b32 s1, exec_lo
	v_cmp_gt_u32_e64 s5, v13, v2
	v_mul_u32_u24_e32 v8, 0x108, v13
	v_cmpx_le_u32_e64 v13, v2
	s_xor_b32 s1, exec_lo, s1
; %bb.36:
	v_mul_u32_u24_e32 v8, 0x108, v13
                                        ; implicit-def: $vgpr13
                                        ; implicit-def: $vgpr7
; %bb.37:
	s_andn2_saveexec_b32 s1, s1
	s_cbranch_execz .LBB181_39
; %bb.38:
	v_mad_u32_u24 v13, 0x108, v13, v10
	ds_read_b64 v[19:20], v13
	s_waitcnt lgkmcnt(0)
	ds_write_b64 v7, v[19:20] offset:24
.LBB181_39:
	s_or_b32 exec_lo, exec_lo, s1
	v_lshlrev_b32_e32 v19, 3, v12
	s_waitcnt lgkmcnt(0)
	s_barrier
	buffer_gl0_inv
	ds_read_b64 v[21:22], v5
	ds_read_b128 v[25:28], v19 offset:9088
	ds_read2_b64 v[29:32], v6 offset1:33
	v_add_nc_u32_e32 v20, v10, v8
	ds_read_b128 v[5:8], v19 offset:9104
	ds_read_b64 v[33:34], v20
	v_mul_u32_u24_e32 v13, 33, v2
	v_mov_b32_e32 v59, 0
	v_cmp_gt_u32_e64 s1, 32, v24
	v_mov_b32_e32 v60, 0
	s_waitcnt lgkmcnt(0)
	s_barrier
	buffer_gl0_inv
	v_mul_f32_e32 v23, v26, v22
	v_mul_f32_e32 v22, v25, v22
	;; [unrolled: 1-line block ×5, first 2 shown]
	v_fma_f32 v23, v25, v21, -v23
	v_fmac_f32_e32 v22, v26, v21
	v_mul_f32_e32 v32, v5, v32
	v_fma_f32 v25, v27, v29, -v35
	v_fmac_f32_e32 v30, v28, v29
	v_add_f32_e32 v23, 0, v23
	v_add_f32_e32 v22, 0, v22
	v_mul_f32_e32 v21, v8, v34
	v_mul_f32_e32 v27, v7, v34
	v_fma_f32 v5, v5, v31, -v36
	v_fmac_f32_e32 v32, v6, v31
	v_add_f32_e32 v6, v23, v25
	v_add_f32_e32 v22, v22, v30
	v_lshlrev_b32_e32 v25, 3, v13
	v_fma_f32 v7, v7, v33, -v21
	v_fmac_f32_e32 v27, v8, v33
	v_add_f32_e32 v5, v6, v5
	v_add_f32_e32 v6, v22, v32
	v_lshl_add_u32 v26, v9, 3, v25
	v_add_f32_e32 v5, v5, v7
	v_add_f32_e32 v6, v6, v27
	ds_write_b64 v26, v[5:6]
	s_waitcnt lgkmcnt(0)
	s_barrier
	buffer_gl0_inv
	s_and_saveexec_b32 s7, s1
	s_cbranch_execz .LBB181_41
; %bb.40:
	ds_read2_b64 v[5:8], v25 offset1:7
	ds_read2_b64 v[27:30], v25 offset0:1 offset1:2
	ds_read2_b64 v[31:34], v25 offset0:3 offset1:4
	ds_read2_b64 v[35:38], v25 offset0:5 offset1:6
	s_waitcnt lgkmcnt(2)
	v_add_f32_e32 v5, v27, v5
	v_add_f32_e32 v6, v28, v6
	v_add_f32_e32 v5, v29, v5
	v_add_f32_e32 v6, v30, v6
	s_waitcnt lgkmcnt(1)
	v_add_f32_e32 v5, v5, v31
	v_add_f32_e32 v6, v6, v32
	v_add_f32_e32 v5, v5, v33
	v_add_f32_e32 v6, v6, v34
	s_waitcnt lgkmcnt(0)
	v_add_f32_e32 v5, v5, v35
	v_add_f32_e32 v6, v6, v36
	v_add_f32_e32 v5, v5, v37
	v_add_f32_e32 v6, v6, v38
	v_add_f32_e32 v59, v5, v7
	v_add_f32_e32 v60, v6, v8
.LBB181_41:
	s_or_b32 exec_lo, exec_lo, s7
	s_lshl_b32 s14, s10, 5
	s_ashr_i32 s15, s14, 31
	s_barrier
	s_lshl_b64 s[20:21], s[14:15], 3
	buffer_gl0_inv
	v_add_co_u32 v5, vcc_lo, v3, s20
	v_add_co_ci_u32_e64 v6, null, s21, v4, vcc_lo
	v_add_co_u32 v3, vcc_lo, 0x100, v5
	v_add_co_ci_u32_e64 v4, null, 0, v6, vcc_lo
	s_and_b32 vcc_lo, exec_lo, s13
	s_cbranch_vccz .LBB181_59
; %bb.42:
	v_sub_co_u32 v7, vcc_lo, v5, v10
	s_ashr_i32 s9, s8, 31
	v_subrev_co_ci_u32_e64 v8, null, 0, v6, vcc_lo
	s_lshl_b64 s[22:23], s[8:9], 3
	v_or_b32_e32 v13, 32, v2
	v_add_co_u32 v7, vcc_lo, v7, s22
	v_add_co_ci_u32_e64 v8, null, s23, v8, vcc_lo
	s_sub_i32 s9, s8, 32
	v_add_co_u32 v7, vcc_lo, v7, -8
	v_add_co_ci_u32_e64 v8, null, -1, v8, vcc_lo
	v_cmp_gt_i32_e32 vcc_lo, s8, v13
	v_cmp_le_i32_e64 s7, s9, v9
	v_add_nc_u32_e32 v13, v10, v11
	v_cndmask_b32_e32 v8, v8, v4, vcc_lo
	v_cndmask_b32_e32 v7, v7, v3, vcc_lo
	s_and_saveexec_b32 s11, s7
	s_xor_b32 s7, exec_lo, s11
; %bb.43:
	v_mov_b32_e32 v21, 0
	v_mov_b32_e32 v22, v21
	ds_write_b64 v13, v[21:22]
; %bb.44:
	s_andn2_saveexec_b32 s7, s7
	s_cbranch_execz .LBB181_46
; %bb.45:
	flat_load_dwordx2 v[21:22], v[7:8]
	s_waitcnt vmcnt(0) lgkmcnt(0)
	ds_write_b64 v13, v[21:22]
.LBB181_46:
	s_or_b32 exec_lo, exec_lo, s7
	v_add_nc_u32_e32 v21, 8, v9
	v_cmp_le_i32_e64 s7, s9, v21
	s_and_saveexec_b32 s11, s7
	s_xor_b32 s7, exec_lo, s11
; %bb.47:
	v_mov_b32_e32 v21, 0
	v_mov_b32_e32 v22, v21
	ds_write_b64 v13, v[21:22] offset:2112
; %bb.48:
	s_andn2_saveexec_b32 s11, s7
	s_cbranch_execz .LBB181_50
; %bb.49:
	s_lshl_b32 s30, s10, 3
	s_ashr_i32 s31, s30, 31
	s_lshl_b64 s[30:31], s[30:31], 3
	v_add_co_u32 v21, s7, v7, s30
	v_add_co_ci_u32_e64 v22, null, s31, v8, s7
	flat_load_dwordx2 v[21:22], v[21:22]
	s_waitcnt vmcnt(0) lgkmcnt(0)
	ds_write_b64 v13, v[21:22] offset:2112
.LBB181_50:
	s_or_b32 exec_lo, exec_lo, s11
	v_add_nc_u32_e32 v21, 16, v9
	v_cmp_le_i32_e64 s7, s9, v21
	s_and_saveexec_b32 s11, s7
	s_xor_b32 s7, exec_lo, s11
; %bb.51:
	v_mov_b32_e32 v21, 0
	v_mov_b32_e32 v22, v21
	ds_write_b64 v13, v[21:22] offset:4224
; %bb.52:
	s_andn2_saveexec_b32 s11, s7
	s_cbranch_execz .LBB181_54
; %bb.53:
	s_lshl_b32 s30, s10, 4
	s_ashr_i32 s31, s30, 31
	s_lshl_b64 s[30:31], s[30:31], 3
	v_add_co_u32 v21, s7, v7, s30
	v_add_co_ci_u32_e64 v22, null, s31, v8, s7
	flat_load_dwordx2 v[21:22], v[21:22]
	s_waitcnt vmcnt(0) lgkmcnt(0)
	ds_write_b64 v13, v[21:22] offset:4224
.LBB181_54:
	s_or_b32 exec_lo, exec_lo, s11
	v_add_nc_u32_e32 v21, 24, v9
	v_cmp_le_i32_e64 s7, s9, v21
	s_and_saveexec_b32 s9, s7
	s_xor_b32 s7, exec_lo, s9
; %bb.55:
	v_mov_b32_e32 v21, 0
	v_mov_b32_e32 v22, v21
	ds_write_b64 v13, v[21:22] offset:6336
                                        ; implicit-def: $vgpr13
; %bb.56:
	s_andn2_saveexec_b32 s9, s7
	s_cbranch_execz .LBB181_58
; %bb.57:
	s_mul_i32 s30, s10, 24
	s_ashr_i32 s31, s30, 31
	s_lshl_b64 s[30:31], s[30:31], 3
	v_add_co_u32 v21, s7, v7, s30
	v_add_co_ci_u32_e64 v22, null, s31, v8, s7
	flat_load_dwordx2 v[21:22], v[21:22]
	s_waitcnt vmcnt(0) lgkmcnt(0)
	ds_write_b64 v13, v[21:22] offset:6336
.LBB181_58:
	s_or_b32 exec_lo, exec_lo, s9
	v_add_co_u32 v7, s7, v7, v10
	v_add_co_ci_u32_e64 v8, null, 0, v8, s7
	v_sub_co_u32 v7, s7, v7, s22
	v_subrev_co_ci_u32_e64 v8, null, s23, v8, s7
	v_add_co_u32 v7, s7, 0x108, v7
	v_add_co_ci_u32_e64 v8, null, 0, v8, s7
	v_cndmask_b32_e32 v7, v7, v3, vcc_lo
	v_cndmask_b32_e32 v8, v8, v4, vcc_lo
	v_mul_u32_u24_e32 v21, 0x420, v9
	v_mad_u32_u24 v13, 0x108, v9, v10
	s_branch .LBB181_61
.LBB181_59:
                                        ; implicit-def: $vgpr7_vgpr8
	v_mul_u32_u24_e32 v21, 0x420, v9
	v_mad_u32_u24 v13, 0x108, v9, v10
	s_cbranch_execz .LBB181_61
; %bb.60:
	s_lshl_b32 s22, s10, 3
	s_ashr_i32 s11, s10, 31
	s_ashr_i32 s23, s22, 31
	s_lshl_b64 s[22:23], s[22:23], 3
	v_add_co_u32 v7, vcc_lo, v5, s22
	v_add_co_ci_u32_e64 v8, null, s23, v6, vcc_lo
	s_lshl_b64 s[22:23], s[10:11], 6
	v_add_co_u32 v22, vcc_lo, v7, s22
	v_add_co_ci_u32_e64 v23, null, s23, v8, vcc_lo
	v_add_co_u32 v27, vcc_lo, v22, s22
	v_add_co_ci_u32_e64 v28, null, s23, v23, vcc_lo
	s_clause 0x3
	flat_load_dwordx2 v[5:6], v[5:6] offset:256
	flat_load_dwordx2 v[29:30], v[7:8] offset:256
	;; [unrolled: 1-line block ×4, first 2 shown]
	v_mov_b32_e32 v8, v4
	v_mov_b32_e32 v7, v3
	s_waitcnt vmcnt(3) lgkmcnt(3)
	ds_write_b64 v13, v[5:6]
	s_waitcnt vmcnt(2) lgkmcnt(3)
	ds_write_b64 v13, v[29:30] offset:2112
	s_waitcnt vmcnt(1) lgkmcnt(3)
	ds_write_b64 v13, v[22:23] offset:4224
	;; [unrolled: 2-line block ×3, first 2 shown]
.LBB181_61:
	v_mul_u32_u24_e32 v4, 0x108, v18
	v_add_nc_u32_e32 v21, v10, v21
	v_lshl_add_u32 v3, v12, 3, v25
	s_waitcnt lgkmcnt(0)
	s_barrier
	buffer_gl0_inv
	s_and_saveexec_b32 s7, s2
	s_cbranch_execz .LBB181_65
; %bb.62:
	ds_read_b64 v[5:6], v21
	s_waitcnt lgkmcnt(0)
	ds_write_b64 v3, v[5:6]
	s_or_b32 exec_lo, exec_lo, s7
	v_add_nc_u32_e32 v22, v10, v4
	s_and_saveexec_b32 s2, s3
	s_cbranch_execnz .LBB181_66
.LBB181_63:
	s_or_b32 exec_lo, exec_lo, s2
	s_and_saveexec_b32 s2, s4
	s_cbranch_execz .LBB181_67
.LBB181_64:
	ds_read_b64 v[4:5], v22 offset:264
	s_waitcnt lgkmcnt(0)
	ds_write_b64 v3, v[4:5] offset:16
	s_or_b32 exec_lo, exec_lo, s2
	v_add_nc_u32_e32 v23, 0x2380, v19
	s_and_saveexec_b32 s2, s5
	s_cbranch_execnz .LBB181_68
	s_branch .LBB181_69
.LBB181_65:
	s_or_b32 exec_lo, exec_lo, s7
	v_add_nc_u32_e32 v22, v10, v4
	s_and_saveexec_b32 s2, s3
	s_cbranch_execz .LBB181_63
.LBB181_66:
	ds_read_b64 v[4:5], v22
	s_waitcnt lgkmcnt(0)
	ds_write_b64 v3, v[4:5] offset:8
	s_or_b32 exec_lo, exec_lo, s2
	s_and_saveexec_b32 s2, s4
	s_cbranch_execnz .LBB181_64
.LBB181_67:
	s_or_b32 exec_lo, exec_lo, s2
	v_add_nc_u32_e32 v23, 0x2380, v19
	s_and_saveexec_b32 s2, s5
	s_cbranch_execz .LBB181_69
.LBB181_68:
	ds_read_b64 v[4:5], v20
	s_waitcnt lgkmcnt(0)
	ds_write_b64 v3, v[4:5] offset:24
.LBB181_69:
	s_or_b32 exec_lo, exec_lo, s2
	s_waitcnt lgkmcnt(0)
	s_barrier
	buffer_gl0_inv
	ds_read_b64 v[18:19], v21
	ds_read_b128 v[3:6], v23 offset:256
	ds_read2_b64 v[27:30], v22 offset1:33
	ds_read_b128 v[31:34], v23 offset:272
	ds_read_b64 v[35:36], v20
	v_cmp_eq_u32_e64 s2, 1, v9
	s_waitcnt lgkmcnt(0)
	s_barrier
	buffer_gl0_inv
	v_mul_f32_e32 v12, v4, v19
	v_mul_f32_e32 v19, v3, v19
	;; [unrolled: 1-line block ×5, first 2 shown]
	v_fma_f32 v3, v3, v18, -v12
	v_fmac_f32_e32 v19, v4, v18
	v_mul_f32_e32 v30, v31, v30
	v_fma_f32 v5, v5, v27, -v37
	v_fmac_f32_e32 v28, v6, v27
	v_add_f32_e32 v3, 0, v3
	v_add_f32_e32 v6, 0, v19
	v_mul_f32_e32 v4, v34, v36
	v_mul_f32_e32 v12, v33, v36
	v_fma_f32 v18, v31, v29, -v38
	v_fmac_f32_e32 v30, v32, v29
	v_add_f32_e32 v3, v3, v5
	v_add_f32_e32 v5, v6, v28
	v_fma_f32 v4, v33, v35, -v4
	v_fmac_f32_e32 v12, v34, v35
	v_add_f32_e32 v3, v3, v18
	v_add_f32_e32 v5, v5, v30
	;; [unrolled: 1-line block ×4, first 2 shown]
	ds_write_b64 v26, v[3:4]
	s_waitcnt lgkmcnt(0)
	s_barrier
	buffer_gl0_inv
	s_and_saveexec_b32 s3, s2
	s_cbranch_execz .LBB181_71
; %bb.70:
	ds_read2_b64 v[3:6], v25 offset1:7
	ds_read2_b64 v[27:30], v25 offset0:1 offset1:2
	ds_read2_b64 v[31:34], v25 offset0:3 offset1:4
	;; [unrolled: 1-line block ×3, first 2 shown]
	s_waitcnt lgkmcnt(2)
	v_add_f32_e32 v3, v27, v3
	v_add_f32_e32 v4, v28, v4
	v_add_f32_e32 v3, v29, v3
	v_add_f32_e32 v4, v30, v4
	s_waitcnt lgkmcnt(1)
	v_add_f32_e32 v3, v3, v31
	v_add_f32_e32 v4, v4, v32
	v_add_f32_e32 v3, v3, v33
	v_add_f32_e32 v4, v4, v34
	;; [unrolled: 5-line block ×3, first 2 shown]
	v_add_f32_e32 v59, v3, v5
	v_add_f32_e32 v60, v4, v6
.LBB181_71:
	s_or_b32 exec_lo, exec_lo, s3
	v_add_co_u32 v3, vcc_lo, 0xffffff00, v7
	v_add_co_ci_u32_e64 v4, null, -1, v8, vcc_lo
	s_and_b32 vcc_lo, exec_lo, s13
	s_barrier
	buffer_gl0_inv
	s_cbranch_vccz .LBB181_89
; %bb.72:
	v_sub_co_u32 v5, vcc_lo, v3, v10
	s_ashr_i32 s9, s8, 31
	v_subrev_co_ci_u32_e64 v6, null, 0, v4, vcc_lo
	s_lshl_b64 s[4:5], s[8:9], 3
	s_sub_i32 s7, s8, 32
	v_add_co_u32 v5, vcc_lo, v5, s4
	v_add_co_ci_u32_e64 v6, null, s5, v6, vcc_lo
	v_cmp_le_i32_e64 s3, s7, v9
	v_add_co_u32 v5, vcc_lo, v5, -8
	v_add_co_ci_u32_e64 v6, null, -1, v6, vcc_lo
	v_cmp_gt_i32_e32 vcc_lo, s8, v2
	v_add_nc_u32_e32 v8, v10, v11
	v_cndmask_b32_e32 v6, v6, v4, vcc_lo
	v_cndmask_b32_e32 v5, v5, v3, vcc_lo
	s_and_saveexec_b32 s9, s3
	s_xor_b32 s3, exec_lo, s9
; %bb.73:
	v_mov_b32_e32 v11, 0
	v_mov_b32_e32 v12, v11
	ds_write_b64 v8, v[11:12]
; %bb.74:
	s_andn2_saveexec_b32 s3, s3
	s_cbranch_execz .LBB181_76
; %bb.75:
	flat_load_dwordx2 v[11:12], v[5:6]
	s_waitcnt vmcnt(0) lgkmcnt(0)
	ds_write_b64 v8, v[11:12]
.LBB181_76:
	s_or_b32 exec_lo, exec_lo, s3
	v_add_nc_u32_e32 v2, 8, v9
	v_cmp_le_i32_e64 s3, s7, v2
	s_and_saveexec_b32 s9, s3
	s_xor_b32 s3, exec_lo, s9
; %bb.77:
	v_mov_b32_e32 v11, 0
	v_mov_b32_e32 v12, v11
	ds_write_b64 v8, v[11:12] offset:2112
; %bb.78:
	s_andn2_saveexec_b32 s9, s3
	s_cbranch_execz .LBB181_80
; %bb.79:
	s_lshl_b32 s22, s10, 3
	s_ashr_i32 s23, s22, 31
	s_lshl_b64 s[22:23], s[22:23], 3
	v_add_co_u32 v11, s3, v5, s22
	v_add_co_ci_u32_e64 v12, null, s23, v6, s3
	flat_load_dwordx2 v[11:12], v[11:12]
	s_waitcnt vmcnt(0) lgkmcnt(0)
	ds_write_b64 v8, v[11:12] offset:2112
.LBB181_80:
	s_or_b32 exec_lo, exec_lo, s9
	v_add_nc_u32_e32 v7, 16, v9
	v_cmp_le_i32_e64 s3, s7, v7
	s_and_saveexec_b32 s9, s3
	s_xor_b32 s3, exec_lo, s9
; %bb.81:
	v_mov_b32_e32 v11, 0
	v_mov_b32_e32 v12, v11
	ds_write_b64 v8, v[11:12] offset:4224
; %bb.82:
	s_andn2_saveexec_b32 s9, s3
	s_cbranch_execz .LBB181_84
; %bb.83:
	s_lshl_b32 s22, s10, 4
	s_ashr_i32 s23, s22, 31
	s_lshl_b64 s[22:23], s[22:23], 3
	v_add_co_u32 v11, s3, v5, s22
	v_add_co_ci_u32_e64 v12, null, s23, v6, s3
	flat_load_dwordx2 v[11:12], v[11:12]
	s_waitcnt vmcnt(0) lgkmcnt(0)
	ds_write_b64 v8, v[11:12] offset:4224
.LBB181_84:
	s_or_b32 exec_lo, exec_lo, s9
	v_add_nc_u32_e32 v11, 24, v9
	v_cmp_le_i32_e64 s3, s7, v11
	s_and_saveexec_b32 s7, s3
	s_xor_b32 s3, exec_lo, s7
; %bb.85:
	v_mov_b32_e32 v18, 0
	v_mov_b32_e32 v19, v18
	ds_write_b64 v8, v[18:19] offset:6336
                                        ; implicit-def: $vgpr8
; %bb.86:
	s_andn2_saveexec_b32 s7, s3
	s_cbranch_execz .LBB181_88
; %bb.87:
	s_mul_i32 s22, s10, 24
	s_ashr_i32 s23, s22, 31
	s_lshl_b64 s[22:23], s[22:23], 3
	v_add_co_u32 v18, s3, v5, s22
	v_add_co_ci_u32_e64 v19, null, s23, v6, s3
	flat_load_dwordx2 v[18:19], v[18:19]
	s_waitcnt vmcnt(0) lgkmcnt(0)
	ds_write_b64 v8, v[18:19] offset:6336
.LBB181_88:
	s_or_b32 exec_lo, exec_lo, s7
	v_add_co_u32 v5, s3, v5, v10
	v_add_co_ci_u32_e64 v6, null, 0, v6, s3
	v_sub_co_u32 v5, s3, v5, s4
	v_subrev_co_ci_u32_e64 v6, null, s5, v6, s3
	v_add_co_u32 v5, s3, v5, 8
	v_add_co_ci_u32_e64 v6, null, 0, v6, s3
	v_cndmask_b32_e32 v18, v5, v3, vcc_lo
	v_cndmask_b32_e32 v19, v6, v4, vcc_lo
	s_branch .LBB181_91
.LBB181_89:
                                        ; implicit-def: $vgpr18_vgpr19
                                        ; implicit-def: $vgpr2
                                        ; implicit-def: $vgpr7
                                        ; implicit-def: $vgpr11
	s_cbranch_execz .LBB181_91
; %bb.90:
	s_lshl_b32 s4, s10, 3
	s_ashr_i32 s11, s10, 31
	s_ashr_i32 s5, s4, 31
	v_mov_b32_e32 v19, v4
	s_lshl_b64 s[4:5], s[4:5], 3
	v_add_nc_u32_e32 v2, 8, v9
	v_add_co_u32 v5, vcc_lo, v3, s4
	v_add_co_ci_u32_e64 v6, null, s5, v4, vcc_lo
	s_lshl_b64 s[4:5], s[10:11], 6
	v_mov_b32_e32 v18, v3
	v_add_co_u32 v7, vcc_lo, v5, s4
	v_add_co_ci_u32_e64 v8, null, s5, v6, vcc_lo
	v_add_co_u32 v10, vcc_lo, v7, s4
	v_add_co_ci_u32_e64 v11, null, s5, v8, vcc_lo
	s_clause 0x3
	flat_load_dwordx2 v[27:28], v[3:4]
	flat_load_dwordx2 v[5:6], v[5:6]
	;; [unrolled: 1-line block ×4, first 2 shown]
	v_add_nc_u32_e32 v7, 16, v9
	v_add_nc_u32_e32 v11, 24, v9
	s_waitcnt vmcnt(3) lgkmcnt(3)
	ds_write_b64 v13, v[27:28]
	s_waitcnt vmcnt(2) lgkmcnt(3)
	ds_write_b64 v13, v[5:6] offset:2112
	s_waitcnt vmcnt(1) lgkmcnt(3)
	ds_write_b64 v13, v[29:30] offset:4224
	;; [unrolled: 2-line block ×3, first 2 shown]
.LBB181_91:
	v_lshlrev_b32_e32 v3, 3, v9
	v_lshlrev_b32_e32 v2, 3, v2
	s_waitcnt lgkmcnt(0)
	s_barrier
	buffer_gl0_inv
	v_add_nc_u32_e32 v5, v25, v3
	v_lshlrev_b32_e32 v4, 3, v7
	v_lshlrev_b32_e32 v6, 3, v11
	v_add_nc_u32_e32 v7, v25, v2
	ds_read_b64 v[27:28], v5
	ds_read_b64 v[29:30], v2 offset:9088
	ds_read_b64 v[31:32], v3 offset:9088
	v_add_nc_u32_e32 v8, v25, v4
	v_add_nc_u32_e32 v2, v25, v6
	ds_read_b64 v[33:34], v7
	ds_read_b64 v[35:36], v8
	ds_read_b64 v[37:38], v6 offset:9088
	ds_read_b64 v[39:40], v4 offset:9088
	ds_read_b64 v[41:42], v2
	ds_read_b128 v[10:13], v23 offset:256
	ds_read_b128 v[2:5], v23 offset:272
	ds_read2_b64 v[6:9], v22 offset1:33
	ds_read_b64 v[22:23], v21
	ds_read_b64 v[20:21], v20
	s_waitcnt lgkmcnt(0)
	s_barrier
	buffer_gl0_inv
	v_mul_f32_e32 v45, v40, v36
	v_mul_f32_e32 v43, v32, v28
	;; [unrolled: 1-line block ×6, first 2 shown]
	v_fma_f32 v31, v31, v27, -v43
	v_fmac_f32_e32 v28, v32, v27
	v_mul_f32_e32 v27, v39, v36
	v_fma_f32 v29, v29, v33, -v44
	v_fmac_f32_e32 v34, v30, v33
	v_add_f32_e32 v30, 0, v31
	v_add_f32_e32 v28, 0, v28
	v_mul_f32_e32 v31, v37, v42
	v_fma_f32 v32, v39, v35, -v45
	v_fmac_f32_e32 v27, v40, v35
	v_add_f32_e32 v29, v30, v29
	v_add_f32_e32 v28, v28, v34
	v_fma_f32 v30, v37, v41, -v46
	v_fmac_f32_e32 v31, v38, v41
	v_add_f32_e32 v29, v29, v32
	v_add_f32_e32 v28, v28, v27
	;; [unrolled: 1-line block ×4, first 2 shown]
	ds_write_b64 v26, v[27:28]
	s_waitcnt lgkmcnt(0)
	s_barrier
	buffer_gl0_inv
	s_and_saveexec_b32 s3, s2
	s_cbranch_execz .LBB181_93
; %bb.92:
	ds_read2_b64 v[27:30], v25 offset1:1
	ds_read2_b64 v[31:34], v25 offset0:2 offset1:3
	ds_read2_b64 v[35:38], v25 offset0:4 offset1:5
	s_waitcnt lgkmcnt(2)
	v_add_f32_e32 v27, v59, v27
	v_add_f32_e32 v28, v60, v28
	;; [unrolled: 1-line block ×4, first 2 shown]
	ds_read2_b64 v[27:30], v25 offset0:6 offset1:7
	s_waitcnt lgkmcnt(2)
	v_add_f32_e32 v31, v39, v31
	v_add_f32_e32 v32, v40, v32
	v_add_f32_e32 v31, v31, v33
	v_add_f32_e32 v32, v32, v34
	s_waitcnt lgkmcnt(1)
	v_add_f32_e32 v31, v31, v35
	v_add_f32_e32 v32, v32, v36
	v_add_f32_e32 v31, v31, v37
	v_add_f32_e32 v32, v32, v38
	;; [unrolled: 5-line block ×3, first 2 shown]
.LBB181_93:
	s_or_b32 exec_lo, exec_lo, s3
	v_mul_f32_e32 v27, v11, v23
	v_mul_f32_e32 v23, v10, v23
	v_mul_f32_e32 v28, v13, v7
	v_mul_f32_e32 v7, v12, v7
	v_mul_f32_e32 v29, v3, v9
	v_fma_f32 v10, v10, v22, -v27
	v_fmac_f32_e32 v23, v11, v22
	v_mul_f32_e32 v9, v2, v9
	v_fma_f32 v12, v12, v6, -v28
	v_fmac_f32_e32 v7, v13, v6
	v_add_f32_e32 v10, 0, v10
	v_add_f32_e32 v6, 0, v23
	v_mul_f32_e32 v11, v5, v21
	v_mul_f32_e32 v13, v4, v21
	v_fma_f32 v2, v2, v8, -v29
	v_add_f32_e32 v10, v10, v12
	v_fmac_f32_e32 v9, v3, v8
	v_add_f32_e32 v3, v6, v7
	v_fma_f32 v4, v4, v20, -v11
	v_fmac_f32_e32 v13, v5, v20
	v_add_f32_e32 v2, v10, v2
	v_add_f32_e32 v3, v3, v9
	s_barrier
	buffer_gl0_inv
	v_add_f32_e32 v2, v2, v4
	v_add_f32_e32 v3, v3, v13
	ds_write_b64 v26, v[2:3]
	s_waitcnt lgkmcnt(0)
	s_barrier
	buffer_gl0_inv
	s_and_saveexec_b32 s2, s1
	s_cbranch_execz .LBB181_95
; %bb.94:
	ds_read2_b64 v[2:5], v25 offset1:1
	ds_read2_b64 v[6:9], v25 offset0:2 offset1:3
	ds_read2_b64 v[10:13], v25 offset0:4 offset1:5
	s_waitcnt lgkmcnt(2)
	v_add_f32_e32 v2, v59, v2
	v_add_f32_e32 v3, v60, v3
	;; [unrolled: 1-line block ×4, first 2 shown]
	ds_read2_b64 v[2:5], v25 offset0:6 offset1:7
	s_waitcnt lgkmcnt(2)
	v_add_f32_e32 v6, v20, v6
	v_add_f32_e32 v7, v21, v7
	v_add_f32_e32 v6, v6, v8
	v_add_f32_e32 v7, v7, v9
	s_waitcnt lgkmcnt(1)
	v_add_f32_e32 v6, v6, v10
	v_add_f32_e32 v7, v7, v11
	v_add_f32_e32 v6, v6, v12
	v_add_f32_e32 v7, v7, v13
	;; [unrolled: 5-line block ×3, first 2 shown]
.LBB181_95:
	s_or_b32 exec_lo, exec_lo, s2
	s_mul_hi_u32 s1, s17, s16
	s_mul_i32 s25, s25, s16
	s_mul_i32 s2, s17, s16
	s_add_i32 s1, s1, s25
	s_mul_hi_u32 s3, s2, s26
	s_mul_i32 s1, s1, s26
	s_mul_i32 s2, s2, s26
	s_add_i32 s3, s3, s1
	s_mul_hi_i32 s5, s17, s6
	s_lshl_b64 s[2:3], s[2:3], 3
	s_mul_i32 s4, s17, s6
	s_add_u32 s1, s18, s2
	s_addc_u32 s9, s19, s3
	s_lshl_b64 s[2:3], s[4:5], 3
	v_lshlrev_b32_e32 v96, 3, v0
	s_add_u32 s7, s1, s2
	s_addc_u32 s9, s9, s3
	s_add_i32 s4, s6, 1
	s_cmp_ge_u32 s4, s26
	s_barrier
	buffer_gl0_inv
	s_cbranch_scc1 .LBB181_153
; %bb.96:
	v_lshlrev_b32_e32 v97, 2, v1
	s_mul_i32 s2, s24, s12
	s_ashr_i32 s11, s10, 31
	s_ashr_i32 s3, s2, 31
	s_lshl_b32 s30, s24, 6
	v_mad_u64_u32 v[2:3], null, s10, v97, v[0:1]
	s_lshl_b64 s[2:3], s[2:3], 3
	s_lshl_b32 s22, s10, 1
	v_sub_co_u32 v98, vcc_lo, v16, s2
	s_lshl_b32 s2, s10, 4
	s_mul_i32 s34, s10, 3
	v_ashrrev_i32_e32 v3, 31, v2
	s_mul_i32 s24, s24, s4
	s_lshl_b64 s[18:19], s[10:11], 4
	s_add_i32 s29, s26, -2
	v_subrev_co_ci_u32_e64 v99, null, s3, v17, vcc_lo
	v_lshlrev_b64 v[4:5], 3, v[2:3]
	s_ashr_i32 s3, s2, 31
	s_ashr_i32 s23, s22, 31
	;; [unrolled: 1-line block ×3, first 2 shown]
	s_lshl_b64 s[16:17], s[10:11], 3
	s_lshl_b32 s4, s24, 6
	s_add_u32 s5, s18, s20
	s_addc_u32 s11, s19, s21
	s_lshl_b64 s[12:13], s[2:3], 5
	v_add_co_u32 v9, vcc_lo, s5, v4
	s_add_u32 s31, s16, s20
	v_add_co_ci_u32_e64 v10, null, s11, v5, vcc_lo
	s_addc_u32 s33, s17, s21
	v_add_co_u32 v11, vcc_lo, s31, v4
	s_lshl_b64 s[22:23], s[22:23], 3
	v_add_co_ci_u32_e64 v12, null, s33, v5, vcc_lo
	v_add_co_u32 v13, vcc_lo, s20, v4
	s_add_u32 s36, s20, s22
	s_addc_u32 s37, s21, s23
	s_lshl_b64 s[24:25], s[34:35], 3
	v_add_co_ci_u32_e64 v16, null, s21, v5, vcc_lo
	v_add_co_u32 v17, vcc_lo, s36, v4
	s_add_u32 s36, s20, s24
	v_add_co_ci_u32_e64 v20, null, s37, v5, vcc_lo
	s_addc_u32 s37, s21, s25
	s_lshl_b64 s[34:35], s[2:3], 3
	v_add_co_u32 v21, vcc_lo, s36, v4
	s_add_u32 s36, s5, s34
	v_add_co_ci_u32_e64 v22, null, s37, v5, vcc_lo
	s_addc_u32 s37, s11, s35
	v_add_co_u32 v23, vcc_lo, s36, v4
	s_add_u32 s31, s31, s34
	v_lshrrev_b32_e32 v6, 4, v24
	v_cmp_gt_u32_e64 s1, 64, v24
	v_add_co_ci_u32_e64 v24, null, s37, v5, vcc_lo
	s_addc_u32 s33, s33, s35
	v_add_co_u32 v25, vcc_lo, s31, v4
	s_add_u32 s31, s20, s34
	v_add_co_ci_u32_e64 v26, null, s33, v5, vcc_lo
	s_addc_u32 s33, s21, s35
	v_add_co_u32 v27, vcc_lo, s31, v4
	s_add_u32 s34, s31, s22
	;; [unrolled: 4-line block ×3, first 2 shown]
	v_add_co_ci_u32_e64 v30, null, s35, v5, vcc_lo
	s_addc_u32 s33, s33, s25
	s_lshl_b64 s[34:35], s[2:3], 4
	v_add_co_u32 v31, vcc_lo, s31, v4
	s_add_u32 s3, s5, s34
	v_add_co_ci_u32_e64 v32, null, s33, v5, vcc_lo
	s_addc_u32 s5, s11, s35
	v_add_co_u32 v33, vcc_lo, s3, v4
	s_add_u32 s3, s34, s20
	v_add_co_ci_u32_e64 v34, null, s5, v5, vcc_lo
	s_addc_u32 s5, s35, s21
	s_add_u32 s11, s3, s16
	s_addc_u32 s20, s5, s17
	v_add_co_u32 v35, vcc_lo, s11, v4
	v_add_co_ci_u32_e64 v36, null, s20, v5, vcc_lo
	v_add_co_u32 v37, vcc_lo, s3, v4
	v_add_co_ci_u32_e64 v38, null, s5, v5, vcc_lo
	;; [unrolled: 2-line block ×3, first 2 shown]
	s_add_u32 s11, s3, s22
	s_addc_u32 s20, s5, s23
	v_add_co_u32 v39, vcc_lo, s11, v4
	v_lshlrev_b64 v[2:3], 3, v[2:3]
	s_add_u32 s3, s3, s24
	v_add_co_ci_u32_e64 v40, null, s20, v5, vcc_lo
	s_addc_u32 s5, s5, s25
	v_add_co_u32 v41, vcc_lo, s3, v4
	v_add_co_ci_u32_e64 v42, null, s5, v5, vcc_lo
	v_mad_i64_i32 v[4:5], null, s2, 24, v[2:3]
	s_mul_i32 s3, s10, 0x180
	s_mul_hi_i32 s5, s2, 24
	s_add_u32 s2, s3, s18
	s_addc_u32 s3, s5, s19
	v_add_co_u32 v2, vcc_lo, s2, v2
	v_add_co_ci_u32_e64 v3, null, s3, v3, vcc_lo
	v_add_co_u32 v43, vcc_lo, v4, s16
	v_add_co_ci_u32_e64 v44, null, s17, v5, vcc_lo
	;; [unrolled: 2-line block ×19, first 2 shown]
	v_add_co_u32 v133, vcc_lo, v18, v41
	v_and_b32_e32 v7, 15, v0
	v_and_b32_e32 v8, 48, v0
	v_lshlrev_b32_e32 v47, 5, v6
	v_add_co_ci_u32_e64 v134, null, v19, v42, vcc_lo
	v_add_co_u32 v135, vcc_lo, v18, v2
	v_add_co_ci_u32_e64 v136, null, v19, v3, vcc_lo
	v_add_co_u32 v137, vcc_lo, v18, v43
	;; [unrolled: 2-line block ×3, first 2 shown]
	v_lshlrev_b32_e32 v8, 3, v8
	v_or_b32_e32 v2, 0x78, v96
	v_mad_u32_u24 v144, 0x218, v7, v47
	v_mul_i32_i24_e32 v3, 0xffffffe8, v6
	v_add_co_ci_u32_e64 v140, null, v19, v46, vcc_lo
	v_add_co_u32 v141, vcc_lo, v18, v4
	v_add_co_ci_u32_e64 v142, null, v19, v5, vcc_lo
	v_sub_co_u32 v147, vcc_lo, 0, v14
	v_add_nc_u32_e32 v100, 0x2180, v96
	v_lshl_add_u32 v101, v1, 5, 0x2180
	v_add_nc_u32_e32 v102, 0x2380, v96
	v_mad_u32_u24 v143, 0x860, v1, v96
	v_mad_u32_u24 v145, 0x218, v7, v8
	;; [unrolled: 1-line block ×3, first 2 shown]
	v_sub_co_ci_u32_e64 v148, null, 0, v15, vcc_lo
	v_add_nc_u32_e32 v149, v144, v3
	v_add_nc_u32_e32 v150, 49, v97
	;; [unrolled: 1-line block ×5, first 2 shown]
	v_mov_b32_e32 v63, 0
	s_cmp_eq_u32 s29, s6
	s_cselect_b32 s3, s27, 0
	s_and_saveexec_b32 s2, s0
	s_cbranch_execz .LBB181_102
	s_branch .LBB181_98
.LBB181_97:                             ;   in Loop: Header=BB181_102 Depth=1
	s_mov_b32 s6, s2
	s_cmp_eq_u32 s29, s6
	s_cselect_b32 s3, s27, 0
	s_and_saveexec_b32 s2, s0
	s_cbranch_execz .LBB181_102
.LBB181_98:
	v_cmp_le_i32_e32 vcc_lo, s3, v0
	s_cmp_lg_u32 s3, 0
	s_cselect_b32 s5, -1, 0
	s_and_b32 s5, s5, vcc_lo
	s_and_saveexec_b32 s10, s5
	s_xor_b32 s5, exec_lo, s10
; %bb.99:
	v_mov_b32_e32 v64, v63
	ds_write_b64 v100, v[63:64]
; %bb.100:
	s_andn2_saveexec_b32 s5, s5
	s_cbranch_execz .LBB181_102
; %bb.101:
	s_ashr_i32 s5, s4, 31
	s_lshl_b64 s[10:11], s[4:5], 3
	v_add_co_u32 v2, vcc_lo, v98, s10
	v_add_co_ci_u32_e64 v3, null, s11, v99, vcc_lo
	flat_load_dwordx2 v[2:3], v[2:3]
	s_waitcnt vmcnt(0) lgkmcnt(0)
	ds_write_b64 v100, v[2:3]
.LBB181_102:                            ; =>This Inner Loop Header: Depth=1
	s_or_b32 exec_lo, exec_lo, s2
	s_cmp_eq_u32 s3, 0
	v_add_co_u32 v2, vcc_lo, v109, v147
	s_cselect_b32 s5, -1, 0
	s_cmp_lg_u32 s3, 0
	v_add_co_ci_u32_e64 v3, null, v110, v148, vcc_lo
	s_cselect_b32 s2, -1, 0
	s_waitcnt lgkmcnt(0)
	s_and_b32 vcc_lo, exec_lo, s2
	s_barrier
	buffer_gl0_inv
	s_cbranch_vccz .LBB181_110
; %bb.103:                              ;   in Loop: Header=BB181_102 Depth=1
	v_mov_b32_e32 v64, 0
	v_mov_b32_e32 v66, 0
	;; [unrolled: 1-line block ×4, first 2 shown]
	s_mov_b32 s10, exec_lo
	v_cmpx_gt_i32_e64 s3, v97
	s_cbranch_execz .LBB181_105
; %bb.104:                              ;   in Loop: Header=BB181_102 Depth=1
	flat_load_dwordx2 v[66:67], v[2:3]
.LBB181_105:                            ;   in Loop: Header=BB181_102 Depth=1
	s_or_b32 exec_lo, exec_lo, s10
	v_or_b32_e32 v4, 1, v97
	s_mov_b32 s10, exec_lo
	v_cmpx_gt_i32_e64 s3, v4
	s_cbranch_execz .LBB181_107
; %bb.106:                              ;   in Loop: Header=BB181_102 Depth=1
	v_add_co_u32 v4, vcc_lo, v107, v147
	v_add_co_ci_u32_e64 v5, null, v108, v148, vcc_lo
	flat_load_dwordx2 v[64:65], v[4:5]
.LBB181_107:                            ;   in Loop: Header=BB181_102 Depth=1
	s_or_b32 exec_lo, exec_lo, s10
	v_mov_b32_e32 v68, 0
	v_or_b32_e32 v4, 2, v97
	v_mov_b32_e32 v69, 0
	s_mov_b32 s10, exec_lo
	v_cmpx_gt_i32_e64 s3, v4
	s_cbranch_execz .LBB181_109
; %bb.108:                              ;   in Loop: Header=BB181_102 Depth=1
	v_add_co_u32 v4, vcc_lo, v111, v147
	v_add_co_ci_u32_e64 v5, null, v112, v148, vcc_lo
	flat_load_dwordx2 v[68:69], v[4:5]
.LBB181_109:                            ;   in Loop: Header=BB181_102 Depth=1
	s_or_b32 exec_lo, exec_lo, s10
	v_or_b32_e32 v4, 3, v97
	v_cmp_gt_i32_e64 s10, s3, v4
	s_branch .LBB181_112
.LBB181_110:                            ;   in Loop: Header=BB181_102 Depth=1
	s_mov_b32 s10, 0
                                        ; implicit-def: $vgpr68_vgpr69
                                        ; implicit-def: $vgpr64_vgpr65
                                        ; implicit-def: $vgpr66_vgpr67
	s_cbranch_execz .LBB181_112
; %bb.111:                              ;   in Loop: Header=BB181_102 Depth=1
	v_add_co_u32 v4, vcc_lo, v107, v147
	v_add_co_ci_u32_e64 v5, null, v108, v148, vcc_lo
	v_add_co_u32 v6, vcc_lo, v105, v147
	v_add_co_ci_u32_e64 v7, null, v106, v148, vcc_lo
	s_waitcnt vmcnt(0) lgkmcnt(0)
	flat_load_dwordx2 v[66:67], v[2:3]
	flat_load_dwordx2 v[64:65], v[4:5]
	;; [unrolled: 1-line block ×3, first 2 shown]
	s_or_b32 s10, s10, exec_lo
.LBB181_112:                            ;   in Loop: Header=BB181_102 Depth=1
	v_mov_b32_e32 v70, 0
	v_mov_b32_e32 v71, 0
	s_and_saveexec_b32 s11, s10
	s_cbranch_execz .LBB181_114
; %bb.113:                              ;   in Loop: Header=BB181_102 Depth=1
	v_add_co_u32 v2, vcc_lo, v113, v147
	v_add_co_ci_u32_e64 v3, null, v114, v148, vcc_lo
	flat_load_dwordx2 v[70:71], v[2:3]
.LBB181_114:                            ;   in Loop: Header=BB181_102 Depth=1
	s_or_b32 exec_lo, exec_lo, s11
	ds_read_b64 v[2:3], v102
	v_cndmask_b32_e64 v42, 0, 1, s2
	s_waitcnt vmcnt(0) lgkmcnt(0)
	v_mul_f32_e32 v4, v3, v67
	v_mul_f32_e32 v11, v3, v66
	;; [unrolled: 1-line block ×8, first 2 shown]
	v_fma_f32 v10, v2, v66, -v4
	v_fmac_f32_e32 v11, v2, v67
	v_fma_f32 v12, v2, v64, -v5
	v_fmac_f32_e32 v13, v2, v65
	;; [unrolled: 2-line block ×4, first 2 shown]
	ds_read_b128 v[6:9], v101
	ds_read_b128 v[2:5], v101 offset:16
	ds_write2_b64 v143, v[10:11], v[12:13] offset1:67
	ds_write2_b64 v143, v[14:15], v[16:17] offset0:134 offset1:201
	s_waitcnt lgkmcnt(0)
	s_barrier
	buffer_gl0_inv
	ds_read2_b64 v[18:21], v144 offset1:1
	ds_read2_b64 v[14:17], v144 offset0:2 offset1:3
	v_add_co_u32 v10, vcc_lo, v119, v147
	v_add_co_ci_u32_e64 v11, null, v120, v148, vcc_lo
	s_andn2_b32 vcc_lo, exec_lo, s2
	s_waitcnt lgkmcnt(0)
	s_barrier
	buffer_gl0_inv
	s_cbranch_vccnz .LBB181_122
; %bb.115:                              ;   in Loop: Header=BB181_102 Depth=1
	v_mov_b32_e32 v72, 0
	v_mov_b32_e32 v74, 0
	v_add_nc_u32_e32 v12, 16, v97
	v_mov_b32_e32 v73, 0
	v_mov_b32_e32 v75, 0
	s_mov_b32 s2, exec_lo
	v_cmpx_gt_i32_e64 s3, v12
	s_cbranch_execz .LBB181_117
; %bb.116:                              ;   in Loop: Header=BB181_102 Depth=1
	flat_load_dwordx2 v[74:75], v[10:11]
.LBB181_117:                            ;   in Loop: Header=BB181_102 Depth=1
	s_or_b32 exec_lo, exec_lo, s2
	v_add_nc_u32_e32 v12, 17, v97
	s_mov_b32 s2, exec_lo
	v_cmpx_gt_i32_e64 s3, v12
	s_cbranch_execz .LBB181_119
; %bb.118:                              ;   in Loop: Header=BB181_102 Depth=1
	v_add_co_u32 v12, vcc_lo, v117, v147
	v_add_co_ci_u32_e64 v13, null, v118, v148, vcc_lo
	flat_load_dwordx2 v[72:73], v[12:13]
.LBB181_119:                            ;   in Loop: Header=BB181_102 Depth=1
	s_or_b32 exec_lo, exec_lo, s2
	v_mov_b32_e32 v76, 0
	v_add_nc_u32_e32 v12, 18, v97
	v_mov_b32_e32 v77, 0
	s_mov_b32 s2, exec_lo
	v_cmpx_gt_i32_e64 s3, v12
	s_cbranch_execz .LBB181_121
; %bb.120:                              ;   in Loop: Header=BB181_102 Depth=1
	v_add_co_u32 v12, vcc_lo, v121, v147
	v_add_co_ci_u32_e64 v13, null, v122, v148, vcc_lo
	flat_load_dwordx2 v[76:77], v[12:13]
.LBB181_121:                            ;   in Loop: Header=BB181_102 Depth=1
	s_or_b32 exec_lo, exec_lo, s2
	v_add_nc_u32_e32 v12, 19, v97
	v_cmp_gt_i32_e64 s2, s3, v12
	s_branch .LBB181_124
.LBB181_122:                            ;   in Loop: Header=BB181_102 Depth=1
	s_mov_b32 s2, 0
                                        ; implicit-def: $vgpr76_vgpr77
                                        ; implicit-def: $vgpr72_vgpr73
                                        ; implicit-def: $vgpr74_vgpr75
	s_cbranch_execz .LBB181_124
; %bb.123:                              ;   in Loop: Header=BB181_102 Depth=1
	v_add_co_u32 v12, vcc_lo, v117, v147
	v_add_co_ci_u32_e64 v13, null, v118, v148, vcc_lo
	v_add_co_u32 v22, vcc_lo, v115, v147
	v_add_co_ci_u32_e64 v23, null, v116, v148, vcc_lo
	s_waitcnt vmcnt(0) lgkmcnt(0)
	flat_load_dwordx2 v[74:75], v[10:11]
	flat_load_dwordx2 v[72:73], v[12:13]
	flat_load_dwordx2 v[76:77], v[22:23]
	s_or_b32 s2, s2, exec_lo
.LBB181_124:                            ;   in Loop: Header=BB181_102 Depth=1
	v_mov_b32_e32 v78, 0
	v_mov_b32_e32 v79, 0
	s_and_saveexec_b32 s10, s2
	s_cbranch_execz .LBB181_126
; %bb.125:                              ;   in Loop: Header=BB181_102 Depth=1
	v_add_co_u32 v10, vcc_lo, v123, v147
	v_add_co_ci_u32_e64 v11, null, v124, v148, vcc_lo
	flat_load_dwordx2 v[78:79], v[10:11]
.LBB181_126:                            ;   in Loop: Header=BB181_102 Depth=1
	s_or_b32 exec_lo, exec_lo, s10
	ds_read_b64 v[10:11], v102
	v_cmp_ne_u32_e32 vcc_lo, 1, v42
	s_and_b32 vcc_lo, exec_lo, vcc_lo
	s_waitcnt vmcnt(0) lgkmcnt(0)
	v_mul_f32_e32 v12, v11, v75
	v_mul_f32_e32 v27, v11, v74
	;; [unrolled: 1-line block ×8, first 2 shown]
	v_fma_f32 v26, v10, v74, -v12
	v_fmac_f32_e32 v27, v10, v75
	v_fma_f32 v28, v10, v72, -v13
	v_fmac_f32_e32 v29, v10, v73
	v_fma_f32 v30, v10, v76, -v22
	v_fmac_f32_e32 v31, v10, v77
	v_fma_f32 v32, v10, v78, -v23
	v_fmac_f32_e32 v33, v11, v78
	ds_read_b128 v[22:25], v101 offset:128
	ds_read_b128 v[10:13], v101 offset:144
	ds_write2_b64 v143, v[26:27], v[28:29] offset1:67
	ds_write2_b64 v143, v[30:31], v[32:33] offset0:134 offset1:201
	s_waitcnt lgkmcnt(0)
	s_barrier
	buffer_gl0_inv
	ds_read2_b64 v[38:41], v144 offset1:1
	ds_read2_b64 v[34:37], v144 offset0:2 offset1:3
	v_add_co_u32 v26, s2, v129, v147
	v_add_co_ci_u32_e64 v27, null, v130, v148, s2
	s_waitcnt lgkmcnt(0)
	s_barrier
	buffer_gl0_inv
	s_cbranch_vccnz .LBB181_134
; %bb.127:                              ;   in Loop: Header=BB181_102 Depth=1
	v_mov_b32_e32 v80, 0
	v_mov_b32_e32 v82, 0
	v_add_nc_u32_e32 v28, 32, v97
	v_mov_b32_e32 v81, 0
	v_mov_b32_e32 v83, 0
	s_mov_b32 s2, exec_lo
	v_cmpx_gt_i32_e64 s3, v28
	s_cbranch_execz .LBB181_129
; %bb.128:                              ;   in Loop: Header=BB181_102 Depth=1
	flat_load_dwordx2 v[82:83], v[26:27]
.LBB181_129:                            ;   in Loop: Header=BB181_102 Depth=1
	s_or_b32 exec_lo, exec_lo, s2
	v_add_nc_u32_e32 v28, 33, v97
	s_mov_b32 s2, exec_lo
	v_cmpx_gt_i32_e64 s3, v28
	s_cbranch_execz .LBB181_131
; %bb.130:                              ;   in Loop: Header=BB181_102 Depth=1
	v_add_co_u32 v28, vcc_lo, v127, v147
	v_add_co_ci_u32_e64 v29, null, v128, v148, vcc_lo
	flat_load_dwordx2 v[80:81], v[28:29]
.LBB181_131:                            ;   in Loop: Header=BB181_102 Depth=1
	s_or_b32 exec_lo, exec_lo, s2
	v_mov_b32_e32 v84, 0
	v_add_nc_u32_e32 v28, 34, v97
	v_mov_b32_e32 v85, 0
	s_mov_b32 s2, exec_lo
	v_cmpx_gt_i32_e64 s3, v28
	s_cbranch_execz .LBB181_133
; %bb.132:                              ;   in Loop: Header=BB181_102 Depth=1
	v_add_co_u32 v28, vcc_lo, v131, v147
	v_add_co_ci_u32_e64 v29, null, v132, v148, vcc_lo
	flat_load_dwordx2 v[84:85], v[28:29]
.LBB181_133:                            ;   in Loop: Header=BB181_102 Depth=1
	s_or_b32 exec_lo, exec_lo, s2
	v_add_nc_u32_e32 v28, 35, v97
	v_cmp_gt_i32_e64 s2, s3, v28
	s_branch .LBB181_136
.LBB181_134:                            ;   in Loop: Header=BB181_102 Depth=1
	s_mov_b32 s2, 0
                                        ; implicit-def: $vgpr84_vgpr85
                                        ; implicit-def: $vgpr80_vgpr81
                                        ; implicit-def: $vgpr82_vgpr83
	s_cbranch_execz .LBB181_136
; %bb.135:                              ;   in Loop: Header=BB181_102 Depth=1
	v_add_co_u32 v28, vcc_lo, v127, v147
	v_add_co_ci_u32_e64 v29, null, v128, v148, vcc_lo
	v_add_co_u32 v30, vcc_lo, v125, v147
	v_add_co_ci_u32_e64 v31, null, v126, v148, vcc_lo
	s_waitcnt vmcnt(0) lgkmcnt(0)
	flat_load_dwordx2 v[82:83], v[26:27]
	flat_load_dwordx2 v[80:81], v[28:29]
	;; [unrolled: 1-line block ×3, first 2 shown]
	s_or_b32 s2, s2, exec_lo
.LBB181_136:                            ;   in Loop: Header=BB181_102 Depth=1
	v_mov_b32_e32 v86, 0
	v_mov_b32_e32 v87, 0
	s_and_saveexec_b32 s10, s2
	s_cbranch_execz .LBB181_138
; %bb.137:                              ;   in Loop: Header=BB181_102 Depth=1
	v_add_co_u32 v26, vcc_lo, v133, v147
	v_add_co_ci_u32_e64 v27, null, v134, v148, vcc_lo
	flat_load_dwordx2 v[86:87], v[26:27]
.LBB181_138:                            ;   in Loop: Header=BB181_102 Depth=1
	s_or_b32 exec_lo, exec_lo, s10
	ds_read_b64 v[26:27], v102
	v_cmp_ne_u32_e32 vcc_lo, 1, v42
	v_add_co_u32 v42, s2, v103, v147
	s_and_b32 vcc_lo, exec_lo, vcc_lo
	s_waitcnt vmcnt(0) lgkmcnt(0)
	v_mul_f32_e32 v28, v27, v83
	v_mul_f32_e32 v44, v27, v82
	;; [unrolled: 1-line block ×8, first 2 shown]
	v_fma_f32 v43, v26, v82, -v28
	v_fmac_f32_e32 v44, v26, v83
	v_fma_f32 v45, v26, v80, -v29
	v_fmac_f32_e32 v46, v26, v81
	;; [unrolled: 2-line block ×4, first 2 shown]
	ds_read_b128 v[30:33], v101 offset:256
	ds_read_b128 v[26:29], v101 offset:272
	ds_write2_b64 v143, v[43:44], v[45:46] offset1:67
	ds_write2_b64 v143, v[47:48], v[49:50] offset0:134 offset1:201
	s_waitcnt lgkmcnt(0)
	s_barrier
	buffer_gl0_inv
	ds_read2_b64 v[54:57], v144 offset1:1
	ds_read2_b64 v[50:53], v144 offset0:2 offset1:3
	v_add_co_ci_u32_e64 v43, null, v104, v148, s2
	s_waitcnt lgkmcnt(0)
	s_barrier
	buffer_gl0_inv
	s_cbranch_vccnz .LBB181_146
; %bb.139:                              ;   in Loop: Header=BB181_102 Depth=1
	v_mov_b32_e32 v88, 0
	v_mov_b32_e32 v90, 0
	v_add_nc_u32_e32 v44, 48, v97
	v_mov_b32_e32 v89, 0
	v_mov_b32_e32 v91, 0
	s_mov_b32 s2, exec_lo
	v_cmpx_gt_i32_e64 s3, v44
	s_cbranch_execz .LBB181_141
; %bb.140:                              ;   in Loop: Header=BB181_102 Depth=1
	flat_load_dwordx2 v[90:91], v[42:43]
.LBB181_141:                            ;   in Loop: Header=BB181_102 Depth=1
	s_or_b32 exec_lo, exec_lo, s2
	s_mov_b32 s2, exec_lo
	v_cmpx_gt_i32_e64 s3, v150
	s_cbranch_execz .LBB181_143
; %bb.142:                              ;   in Loop: Header=BB181_102 Depth=1
	v_add_co_u32 v44, vcc_lo, v137, v147
	v_add_co_ci_u32_e64 v45, null, v138, v148, vcc_lo
	flat_load_dwordx2 v[88:89], v[44:45]
.LBB181_143:                            ;   in Loop: Header=BB181_102 Depth=1
	s_or_b32 exec_lo, exec_lo, s2
	v_mov_b32_e32 v92, 0
	v_mov_b32_e32 v93, 0
	s_mov_b32 s2, exec_lo
	v_cmpx_gt_i32_e64 s3, v151
	s_cbranch_execz .LBB181_145
; %bb.144:                              ;   in Loop: Header=BB181_102 Depth=1
	v_add_co_u32 v44, vcc_lo, v139, v147
	v_add_co_ci_u32_e64 v45, null, v140, v148, vcc_lo
	flat_load_dwordx2 v[92:93], v[44:45]
.LBB181_145:                            ;   in Loop: Header=BB181_102 Depth=1
	s_or_b32 exec_lo, exec_lo, s2
	v_cmp_gt_i32_e64 s2, s3, v152
	s_branch .LBB181_148
.LBB181_146:                            ;   in Loop: Header=BB181_102 Depth=1
	s_mov_b32 s2, 0
                                        ; implicit-def: $vgpr92_vgpr93
                                        ; implicit-def: $vgpr88_vgpr89
                                        ; implicit-def: $vgpr90_vgpr91
	s_cbranch_execz .LBB181_148
; %bb.147:                              ;   in Loop: Header=BB181_102 Depth=1
	v_add_co_u32 v44, vcc_lo, v137, v147
	v_add_co_ci_u32_e64 v45, null, v138, v148, vcc_lo
	v_add_co_u32 v46, vcc_lo, v135, v147
	v_add_co_ci_u32_e64 v47, null, v136, v148, vcc_lo
	s_waitcnt vmcnt(0) lgkmcnt(0)
	flat_load_dwordx2 v[90:91], v[42:43]
	flat_load_dwordx2 v[88:89], v[44:45]
	;; [unrolled: 1-line block ×3, first 2 shown]
	s_or_b32 s2, s2, exec_lo
.LBB181_148:                            ;   in Loop: Header=BB181_102 Depth=1
	v_mov_b32_e32 v94, 0
	v_mov_b32_e32 v95, 0
	s_and_saveexec_b32 s10, s2
	s_cbranch_execz .LBB181_150
; %bb.149:                              ;   in Loop: Header=BB181_102 Depth=1
	v_add_co_u32 v42, vcc_lo, v141, v147
	v_add_co_ci_u32_e64 v43, null, v142, v148, vcc_lo
	flat_load_dwordx2 v[94:95], v[42:43]
.LBB181_150:                            ;   in Loop: Header=BB181_102 Depth=1
	s_or_b32 exec_lo, exec_lo, s10
	ds_read_b64 v[42:43], v102
	v_add_f32_e32 v54, 0, v54
	v_add_f32_e32 v55, 0, v55
	;; [unrolled: 1-line block ×10, first 2 shown]
	v_cmp_gt_i32_e32 vcc_lo, s3, v0
	v_add_f32_e32 v18, v18, v20
	v_add_f32_e32 v34, v38, v34
	;; [unrolled: 1-line block ×8, first 2 shown]
	s_waitcnt vmcnt(0) lgkmcnt(0)
	v_mul_f32_e32 v44, v43, v91
	v_mul_f32_e32 v154, v43, v90
	;; [unrolled: 1-line block ×8, first 2 shown]
	v_fma_f32 v153, v42, v90, -v44
	v_fmac_f32_e32 v154, v42, v91
	v_fma_f32 v155, v42, v88, -v45
	v_fmac_f32_e32 v156, v42, v89
	v_fma_f32 v157, v42, v92, -v46
	v_fmac_f32_e32 v158, v42, v93
	v_fma_f32 v159, v42, v94, -v47
	v_fmac_f32_e32 v160, v43, v94
	ds_read_b128 v[46:49], v101 offset:384
	ds_read_b128 v[42:45], v101 offset:400
	ds_write2_b64 v143, v[153:154], v[155:156] offset1:67
	ds_write2_b64 v143, v[157:158], v[159:160] offset0:134 offset1:201
	s_waitcnt lgkmcnt(0)
	s_barrier
	buffer_gl0_inv
	ds_read2_b64 v[153:156], v144 offset1:1
	v_add_f32_e32 v157, v55, v57
	ds_read2_b64 v[54:57], v144 offset0:2 offset1:3
	v_add_f32_e32 v16, v39, v16
	v_add_f32_e32 v17, v41, v17
	s_or_b32 s2, s5, vcc_lo
	v_add_f32_e32 v21, v157, v51
	s_and_b32 s3, s1, s2
	s_waitcnt lgkmcnt(0)
	s_barrier
	buffer_gl0_inv
	v_add_f32_e32 v15, v21, v53
	v_add_f32_e32 v38, 0, v153
	;; [unrolled: 1-line block ×10, first 2 shown]
	ds_write2_b64 v149, v[16:17], v[18:19] offset1:16
	ds_write2_b64 v149, v[14:15], v[20:21] offset0:32 offset1:48
	s_waitcnt lgkmcnt(0)
	s_barrier
	buffer_gl0_inv
	s_and_saveexec_b32 s2, s3
	s_cbranch_execz .LBB181_152
; %bb.151:                              ;   in Loop: Header=BB181_102 Depth=1
	ds_read_b64 v[38:39], v145
	ds_read2_b64 v[14:17], v145 offset0:1 offset1:2
	ds_read2_b64 v[18:21], v145 offset0:3 offset1:4
	;; [unrolled: 1-line block ×3, first 2 shown]
	v_ashrrev_i32_e32 v62, 31, v61
	s_waitcnt lgkmcnt(2)
	v_add_f32_e32 v14, v14, v38
	v_add_f32_e32 v15, v15, v39
	v_add_f32_e32 v38, v16, v14
	v_add_f32_e32 v39, v17, v15
	ds_read2_b64 v[14:17], v145 offset0:7 offset1:8
	s_waitcnt lgkmcnt(2)
	v_add_f32_e32 v18, v38, v18
	v_add_f32_e32 v19, v39, v19
	v_add_f32_e32 v38, v18, v20
	v_add_f32_e32 v39, v19, v21
	ds_read2_b64 v[18:21], v145 offset0:9 offset1:10
	;; [unrolled: 6-line block ×4, first 2 shown]
	s_waitcnt lgkmcnt(2)
	v_add_f32_e32 v18, v38, v18
	v_add_f32_e32 v19, v39, v19
	;; [unrolled: 1-line block ×4, first 2 shown]
	ds_read_b64 v[18:19], v146
	s_waitcnt lgkmcnt(2)
	v_add_f32_e32 v20, v20, v34
	v_add_f32_e32 v21, v21, v35
	;; [unrolled: 1-line block ×4, first 2 shown]
	s_waitcnt lgkmcnt(1)
	v_add_f32_e32 v14, v20, v14
	v_add_f32_e32 v15, v21, v15
	;; [unrolled: 1-line block ×4, first 2 shown]
	v_lshlrev_b64 v[14:15], 3, v[61:62]
	s_waitcnt lgkmcnt(0)
	v_add_f32_e32 v16, v16, v18
	v_add_f32_e32 v17, v17, v19
	v_add_co_u32 v14, vcc_lo, s7, v14
	v_add_co_ci_u32_e64 v15, null, s9, v15, vcc_lo
	global_store_dwordx2 v[14:15], v[16:17], off
.LBB181_152:                            ;   in Loop: Header=BB181_102 Depth=1
	s_or_b32 exec_lo, exec_lo, s2
	v_mul_f32_e32 v14, v7, v67
	v_mul_f32_e32 v7, v7, v66
	;; [unrolled: 1-line block ×5, first 2 shown]
	v_fma_f32 v14, v6, v66, -v14
	v_fmac_f32_e32 v7, v6, v67
	v_fma_f32 v15, v8, v64, -v15
	v_mul_f32_e32 v3, v3, v68
	v_mul_f32_e32 v17, v5, v71
	v_add_f32_e32 v14, v59, v14
	v_fma_f32 v6, v2, v68, -v16
	v_fmac_f32_e32 v9, v8, v65
	v_add_f32_e32 v7, v60, v7
	v_mul_f32_e32 v5, v5, v70
	v_add_f32_e32 v14, v14, v15
	v_mul_f32_e32 v18, v23, v75
	v_fma_f32 v8, v4, v70, -v17
	v_fmac_f32_e32 v3, v2, v69
	v_add_f32_e32 v2, v7, v9
	v_add_f32_e32 v6, v14, v6
	v_mul_f32_e32 v19, v23, v74
	v_mul_f32_e32 v15, v25, v73
	v_fma_f32 v7, v22, v74, -v18
	v_fmac_f32_e32 v5, v4, v71
	v_add_f32_e32 v6, v6, v8
	v_add_f32_e32 v2, v2, v3
	v_mul_f32_e32 v14, v25, v72
	v_mul_f32_e32 v8, v11, v77
	v_fma_f32 v3, v24, v72, -v15
	v_add_f32_e32 v4, v6, v7
	v_fmac_f32_e32 v19, v22, v75
	v_add_f32_e32 v2, v2, v5
	v_mul_f32_e32 v6, v13, v79
	v_fma_f32 v5, v10, v76, -v8
	v_add_f32_e32 v3, v4, v3
	v_mul_f32_e32 v4, v11, v76
	v_fmac_f32_e32 v14, v24, v73
	v_add_f32_e32 v2, v2, v19
	v_fma_f32 v6, v12, v78, -v6
	v_add_f32_e32 v3, v3, v5
	v_mul_f32_e32 v5, v31, v83
	v_fmac_f32_e32 v4, v10, v77
	v_add_f32_e32 v2, v2, v14
	v_mul_f32_e32 v7, v13, v78
	v_add_f32_e32 v3, v3, v6
	v_fma_f32 v5, v30, v82, -v5
	v_mul_f32_e32 v6, v33, v81
	v_add_f32_e32 v2, v2, v4
	v_fmac_f32_e32 v7, v12, v79
	v_mul_f32_e32 v4, v31, v82
	v_add_f32_e32 v3, v3, v5
	v_fma_f32 v5, v32, v80, -v6
	v_mul_f32_e32 v6, v27, v85
	v_add_f32_e32 v2, v2, v7
	v_fmac_f32_e32 v4, v30, v83
	v_mul_f32_e32 v7, v33, v80
	v_add_co_u32 v105, vcc_lo, v105, s12
	v_add_co_ci_u32_e64 v106, null, s13, v106, vcc_lo
	v_add_co_u32 v107, vcc_lo, v107, s12
	v_add_co_ci_u32_e64 v108, null, s13, v108, vcc_lo
	v_add_co_u32 v109, vcc_lo, v109, s12
	v_add_f32_e32 v3, v3, v5
	v_fma_f32 v5, v26, v84, -v6
	v_mul_f32_e32 v6, v29, v87
	v_add_f32_e32 v2, v2, v4
	v_fmac_f32_e32 v7, v32, v81
	v_mul_f32_e32 v4, v27, v84
	v_add_co_ci_u32_e64 v110, null, s13, v110, vcc_lo
	v_add_co_u32 v111, vcc_lo, v111, s12
	v_add_co_ci_u32_e64 v112, null, s13, v112, vcc_lo
	v_add_co_u32 v113, vcc_lo, v113, s12
	v_add_f32_e32 v3, v3, v5
	v_fma_f32 v5, v28, v86, -v6
	v_add_f32_e32 v2, v2, v7
	v_fmac_f32_e32 v4, v26, v85
	v_mul_f32_e32 v6, v47, v91
	v_mul_f32_e32 v7, v29, v86
	v_add_co_ci_u32_e64 v114, null, s13, v114, vcc_lo
	v_add_co_u32 v115, vcc_lo, v115, s12
	v_add_co_ci_u32_e64 v116, null, s13, v116, vcc_lo
	v_add_co_u32 v117, vcc_lo, v117, s12
	;; [unrolled: 2-line block ×3, first 2 shown]
	v_add_f32_e32 v3, v3, v5
	v_add_f32_e32 v2, v2, v4
	v_fma_f32 v4, v46, v90, -v6
	v_mul_f32_e32 v5, v49, v89
	v_fmac_f32_e32 v7, v28, v87
	v_mul_f32_e32 v6, v47, v90
	v_add_co_ci_u32_e64 v120, null, s13, v120, vcc_lo
	v_add_co_u32 v121, vcc_lo, v121, s12
	v_add_co_ci_u32_e64 v122, null, s13, v122, vcc_lo
	v_add_co_u32 v123, vcc_lo, v123, s12
	v_add_f32_e32 v3, v3, v4
	v_fma_f32 v4, v48, v88, -v5
	v_add_f32_e32 v2, v2, v7
	v_mul_f32_e32 v5, v49, v88
	v_fmac_f32_e32 v6, v46, v91
	v_add_co_ci_u32_e64 v124, null, s13, v124, vcc_lo
	v_add_co_u32 v125, vcc_lo, v125, s12
	v_add_co_ci_u32_e64 v126, null, s13, v126, vcc_lo
	v_add_co_u32 v127, vcc_lo, v127, s12
	;; [unrolled: 2-line block ×3, first 2 shown]
	v_mul_f32_e32 v7, v43, v93
	v_add_f32_e32 v3, v3, v4
	v_mul_f32_e32 v4, v43, v92
	v_fmac_f32_e32 v5, v48, v89
	v_add_f32_e32 v2, v2, v6
	v_add_co_ci_u32_e64 v130, null, s13, v130, vcc_lo
	v_add_co_u32 v131, vcc_lo, v131, s12
	v_add_co_ci_u32_e64 v132, null, s13, v132, vcc_lo
	v_add_co_u32 v133, vcc_lo, v133, s12
	v_fma_f32 v6, v42, v92, -v7
	v_mul_f32_e32 v7, v45, v95
	v_mul_f32_e32 v8, v45, v94
	v_fmac_f32_e32 v4, v42, v93
	v_add_f32_e32 v2, v2, v5
	v_add_co_ci_u32_e64 v134, null, s13, v134, vcc_lo
	v_add_co_u32 v135, vcc_lo, v135, s12
	v_add_co_ci_u32_e64 v136, null, s13, v136, vcc_lo
	v_add_co_u32 v137, vcc_lo, v137, s12
	;; [unrolled: 2-line block ×3, first 2 shown]
	v_add_f32_e32 v3, v3, v6
	v_fma_f32 v5, v44, v94, -v7
	v_fmac_f32_e32 v8, v44, v95
	v_add_f32_e32 v2, v2, v4
	v_add_co_ci_u32_e64 v104, null, s13, v104, vcc_lo
	v_add_co_u32 v139, vcc_lo, v139, s12
	v_add_co_ci_u32_e64 v140, null, s13, v140, vcc_lo
	v_add_co_u32 v141, vcc_lo, v141, s12
	v_add_f32_e32 v59, v3, v5
	v_add_f32_e32 v60, v2, v8
	v_add_nc_u32_e32 v61, 64, v61
	v_add_co_ci_u32_e64 v142, null, s13, v142, vcc_lo
	s_add_i32 s3, s6, 2
	s_add_i32 s2, s6, 1
	s_add_i32 s4, s4, s30
	s_cmp_ge_u32 s3, s26
	s_waitcnt_vscnt null, 0x0
	s_barrier
	buffer_gl0_inv
	s_cbranch_scc0 .LBB181_97
.LBB181_153:
	v_cmp_gt_i32_e32 vcc_lo, s8, v0
	v_mad_u32_u24 v1, 0x218, v1, v96
	s_or_b32 s1, s28, vcc_lo
	ds_write_b64 v1, v[59:60]
	s_and_b32 s0, s0, s1
	s_waitcnt lgkmcnt(0)
	s_barrier
	buffer_gl0_inv
	s_and_saveexec_b32 s1, s0
	s_cbranch_execz .LBB181_155
; %bb.154:
	ds_read2_b64 v[0:3], v96 offset1:67
	ds_read2_b64 v[4:7], v96 offset0:134 offset1:201
	v_ashrrev_i32_e32 v59, 31, v58
	s_waitcnt lgkmcnt(1)
	v_add_f32_e32 v0, v2, v0
	v_add_f32_e32 v1, v3, v1
	s_waitcnt lgkmcnt(0)
	v_add_f32_e32 v2, v4, v0
	v_add_f32_e32 v3, v5, v1
	v_lshlrev_b64 v[0:1], 3, v[58:59]
	v_add_f32_e32 v2, v2, v6
	v_add_f32_e32 v3, v3, v7
	v_add_co_u32 v0, vcc_lo, s7, v0
	v_add_co_ci_u32_e64 v1, null, s9, v1, vcc_lo
	global_store_dwordx2 v[0:1], v[2:3], off
.LBB181_155:
	s_endpgm
	.section	.rodata,"a",@progbits
	.p2align	6, 0x0
	.amdhsa_kernel _ZL26rocblas_hemvn_kernel_upperILb0ELi64ELi4ELi33ELi32ELi16EiPK19rocblas_complex_numIfEPKS3_PS1_EviT6_lT7_lT5_lS8_lS9_lS7_lT8_i
		.amdhsa_group_segment_fixed_size 9600
		.amdhsa_private_segment_fixed_size 0
		.amdhsa_kernarg_size 376
		.amdhsa_user_sgpr_count 6
		.amdhsa_user_sgpr_private_segment_buffer 1
		.amdhsa_user_sgpr_dispatch_ptr 0
		.amdhsa_user_sgpr_queue_ptr 0
		.amdhsa_user_sgpr_kernarg_segment_ptr 1
		.amdhsa_user_sgpr_dispatch_id 0
		.amdhsa_user_sgpr_flat_scratch_init 0
		.amdhsa_user_sgpr_private_segment_size 0
		.amdhsa_wavefront_size32 1
		.amdhsa_uses_dynamic_stack 0
		.amdhsa_system_sgpr_private_segment_wavefront_offset 0
		.amdhsa_system_sgpr_workgroup_id_x 1
		.amdhsa_system_sgpr_workgroup_id_y 0
		.amdhsa_system_sgpr_workgroup_id_z 1
		.amdhsa_system_sgpr_workgroup_info 0
		.amdhsa_system_vgpr_workitem_id 1
		.amdhsa_next_free_vgpr 161
		.amdhsa_next_free_sgpr 38
		.amdhsa_reserve_vcc 1
		.amdhsa_reserve_flat_scratch 1
		.amdhsa_float_round_mode_32 0
		.amdhsa_float_round_mode_16_64 0
		.amdhsa_float_denorm_mode_32 3
		.amdhsa_float_denorm_mode_16_64 3
		.amdhsa_dx10_clamp 1
		.amdhsa_ieee_mode 1
		.amdhsa_fp16_overflow 0
		.amdhsa_workgroup_processor_mode 1
		.amdhsa_memory_ordered 1
		.amdhsa_forward_progress 1
		.amdhsa_shared_vgpr_count 0
		.amdhsa_exception_fp_ieee_invalid_op 0
		.amdhsa_exception_fp_denorm_src 0
		.amdhsa_exception_fp_ieee_div_zero 0
		.amdhsa_exception_fp_ieee_overflow 0
		.amdhsa_exception_fp_ieee_underflow 0
		.amdhsa_exception_fp_ieee_inexact 0
		.amdhsa_exception_int_div_zero 0
	.end_amdhsa_kernel
	.section	.text._ZL26rocblas_hemvn_kernel_upperILb0ELi64ELi4ELi33ELi32ELi16EiPK19rocblas_complex_numIfEPKS3_PS1_EviT6_lT7_lT5_lS8_lS9_lS7_lT8_i,"axG",@progbits,_ZL26rocblas_hemvn_kernel_upperILb0ELi64ELi4ELi33ELi32ELi16EiPK19rocblas_complex_numIfEPKS3_PS1_EviT6_lT7_lT5_lS8_lS9_lS7_lT8_i,comdat
.Lfunc_end181:
	.size	_ZL26rocblas_hemvn_kernel_upperILb0ELi64ELi4ELi33ELi32ELi16EiPK19rocblas_complex_numIfEPKS3_PS1_EviT6_lT7_lT5_lS8_lS9_lS7_lT8_i, .Lfunc_end181-_ZL26rocblas_hemvn_kernel_upperILb0ELi64ELi4ELi33ELi32ELi16EiPK19rocblas_complex_numIfEPKS3_PS1_EviT6_lT7_lT5_lS8_lS9_lS7_lT8_i
                                        ; -- End function
	.set _ZL26rocblas_hemvn_kernel_upperILb0ELi64ELi4ELi33ELi32ELi16EiPK19rocblas_complex_numIfEPKS3_PS1_EviT6_lT7_lT5_lS8_lS9_lS7_lT8_i.num_vgpr, 161
	.set _ZL26rocblas_hemvn_kernel_upperILb0ELi64ELi4ELi33ELi32ELi16EiPK19rocblas_complex_numIfEPKS3_PS1_EviT6_lT7_lT5_lS8_lS9_lS7_lT8_i.num_agpr, 0
	.set _ZL26rocblas_hemvn_kernel_upperILb0ELi64ELi4ELi33ELi32ELi16EiPK19rocblas_complex_numIfEPKS3_PS1_EviT6_lT7_lT5_lS8_lS9_lS7_lT8_i.numbered_sgpr, 38
	.set _ZL26rocblas_hemvn_kernel_upperILb0ELi64ELi4ELi33ELi32ELi16EiPK19rocblas_complex_numIfEPKS3_PS1_EviT6_lT7_lT5_lS8_lS9_lS7_lT8_i.num_named_barrier, 0
	.set _ZL26rocblas_hemvn_kernel_upperILb0ELi64ELi4ELi33ELi32ELi16EiPK19rocblas_complex_numIfEPKS3_PS1_EviT6_lT7_lT5_lS8_lS9_lS7_lT8_i.private_seg_size, 0
	.set _ZL26rocblas_hemvn_kernel_upperILb0ELi64ELi4ELi33ELi32ELi16EiPK19rocblas_complex_numIfEPKS3_PS1_EviT6_lT7_lT5_lS8_lS9_lS7_lT8_i.uses_vcc, 1
	.set _ZL26rocblas_hemvn_kernel_upperILb0ELi64ELi4ELi33ELi32ELi16EiPK19rocblas_complex_numIfEPKS3_PS1_EviT6_lT7_lT5_lS8_lS9_lS7_lT8_i.uses_flat_scratch, 1
	.set _ZL26rocblas_hemvn_kernel_upperILb0ELi64ELi4ELi33ELi32ELi16EiPK19rocblas_complex_numIfEPKS3_PS1_EviT6_lT7_lT5_lS8_lS9_lS7_lT8_i.has_dyn_sized_stack, 0
	.set _ZL26rocblas_hemvn_kernel_upperILb0ELi64ELi4ELi33ELi32ELi16EiPK19rocblas_complex_numIfEPKS3_PS1_EviT6_lT7_lT5_lS8_lS9_lS7_lT8_i.has_recursion, 0
	.set _ZL26rocblas_hemvn_kernel_upperILb0ELi64ELi4ELi33ELi32ELi16EiPK19rocblas_complex_numIfEPKS3_PS1_EviT6_lT7_lT5_lS8_lS9_lS7_lT8_i.has_indirect_call, 0
	.section	.AMDGPU.csdata,"",@progbits
; Kernel info:
; codeLenInByte = 9364
; TotalNumSgprs: 40
; NumVgprs: 161
; ScratchSize: 0
; MemoryBound: 1
; FloatMode: 240
; IeeeMode: 1
; LDSByteSize: 9600 bytes/workgroup (compile time only)
; SGPRBlocks: 0
; VGPRBlocks: 20
; NumSGPRsForWavesPerEU: 40
; NumVGPRsForWavesPerEU: 161
; Occupancy: 5
; WaveLimiterHint : 1
; COMPUTE_PGM_RSRC2:SCRATCH_EN: 0
; COMPUTE_PGM_RSRC2:USER_SGPR: 6
; COMPUTE_PGM_RSRC2:TRAP_HANDLER: 0
; COMPUTE_PGM_RSRC2:TGID_X_EN: 1
; COMPUTE_PGM_RSRC2:TGID_Y_EN: 0
; COMPUTE_PGM_RSRC2:TGID_Z_EN: 1
; COMPUTE_PGM_RSRC2:TIDIG_COMP_CNT: 1
	.section	.text._ZL26rocblas_hemvn_kernel_upperILb0ELi64ELi4ELi33ELi32ELi16El19rocblas_complex_numIfEPKPKS1_PS1_EviT6_lT7_lT5_lS8_lS9_lS7_lT8_i,"axG",@progbits,_ZL26rocblas_hemvn_kernel_upperILb0ELi64ELi4ELi33ELi32ELi16El19rocblas_complex_numIfEPKPKS1_PS1_EviT6_lT7_lT5_lS8_lS9_lS7_lT8_i,comdat
	.globl	_ZL26rocblas_hemvn_kernel_upperILb0ELi64ELi4ELi33ELi32ELi16El19rocblas_complex_numIfEPKPKS1_PS1_EviT6_lT7_lT5_lS8_lS9_lS7_lT8_i ; -- Begin function _ZL26rocblas_hemvn_kernel_upperILb0ELi64ELi4ELi33ELi32ELi16El19rocblas_complex_numIfEPKPKS1_PS1_EviT6_lT7_lT5_lS8_lS9_lS7_lT8_i
	.p2align	8
	.type	_ZL26rocblas_hemvn_kernel_upperILb0ELi64ELi4ELi33ELi32ELi16El19rocblas_complex_numIfEPKPKS1_PS1_EviT6_lT7_lT5_lS8_lS9_lS7_lT8_i,@function
_ZL26rocblas_hemvn_kernel_upperILb0ELi64ELi4ELi33ELi32ELi16El19rocblas_complex_numIfEPKPKS1_PS1_EviT6_lT7_lT5_lS8_lS9_lS7_lT8_i: ; @_ZL26rocblas_hemvn_kernel_upperILb0ELi64ELi4ELi33ELi32ELi16El19rocblas_complex_numIfEPKPKS1_PS1_EviT6_lT7_lT5_lS8_lS9_lS7_lT8_i
; %bb.0:
	s_load_dwordx2 s[0:1], s[4:5], 0x84
	s_add_u32 s8, s4, 0x78
	s_addc_u32 s9, s5, 0
	s_waitcnt lgkmcnt(0)
	s_lshr_b32 s2, s0, 16
	s_and_b32 s0, s0, 0xffff
	s_and_b32 s1, s1, 0xffff
	s_mul_i32 s0, s2, s0
	s_mul_i32 s0, s0, s1
	s_cmpk_lg_i32 s0, 0x100
	s_cbranch_scc1 .LBB182_155
; %bb.1:
	s_load_dwordx2 s[0:1], s[4:5], 0x4
	s_mov_b32 s18, s7
	s_waitcnt lgkmcnt(0)
	s_or_b32 s0, s0, s1
	s_bitset0_b32 s0, 31
	s_cmp_lg_u32 s0, 0
	s_mov_b32 s0, -1
	s_cbranch_scc1 .LBB182_3
; %bb.2:
	s_load_dwordx2 s[0:1], s[4:5], 0x58
	s_waitcnt lgkmcnt(0)
	v_cmp_eq_f32_e64 s0, s0, 1.0
	v_cmp_eq_f32_e64 s1, s1, 0
	s_and_b32 s0, s0, s1
	s_andn2_b32 vcc_lo, exec_lo, s0
	s_mov_b32 s0, 0
.LBB182_3:
	s_andn2_b32 vcc_lo, exec_lo, s0
	s_cbranch_vccnz .LBB182_155
; %bb.4:
	s_clause 0x1
	s_load_dwordx4 s[0:3], s[4:5], 0x18
	s_load_dwordx4 s[12:15], s[4:5], 0x38
	s_mov_b32 s19, 0
	s_lshl_b64 s[10:11], s[18:19], 3
	s_waitcnt lgkmcnt(0)
	s_add_u32 s0, s0, s10
	s_addc_u32 s1, s1, s11
	s_add_u32 s10, s12, s10
	s_addc_u32 s11, s13, s11
	s_lshl_b64 s[14:15], s[14:15], 3
	s_load_dwordx2 s[12:13], s[10:11], 0x0
	s_clause 0x1
	s_load_dwordx2 s[10:11], s[4:5], 0x48
	s_load_dword s24, s[4:5], 0x0
	s_load_dword s19, s[8:9], 0x0
	s_load_dwordx2 s[16:17], s[4:5], 0x28
	s_load_dwordx2 s[8:9], s[0:1], 0x0
	s_waitcnt lgkmcnt(0)
	s_add_u32 s7, s12, s14
	s_addc_u32 s12, s13, s15
	s_lshl_b32 s14, s6, 6
	s_ashr_i32 s25, s24, 31
	v_add_nc_u32_e32 v58, s14, v0
	s_lshr_b32 s0, s25, 26
	s_add_i32 s1, s19, -1
	s_add_i32 s0, s24, s0
	v_ashrrev_i32_e32 v59, 31, v58
	v_mul_lo_u32 v4, s11, v58
	v_mad_u64_u32 v[2:3], null, s10, v58, 0
	s_andn2_b32 s0, s0, 63
	v_mul_lo_u32 v5, s10, v59
	s_sub_i32 s22, s24, s0
	v_cmp_eq_u32_e64 s0, 0, v1
	s_cmp_eq_u32 s6, s1
	v_add3_u32 v3, v3, v5, v4
	v_lshlrev_b64 v[2:3], 3, v[2:3]
	v_add_co_u32 v16, vcc_lo, s7, v2
	v_add_co_ci_u32_e64 v17, null, s12, v3, vcc_lo
	s_mov_b32 s7, -1
	s_cselect_b32 s12, s22, 0
	s_and_saveexec_b32 s1, s0
	s_cbranch_execz .LBB182_9
; %bb.5:
	v_cmp_le_i32_e32 vcc_lo, s12, v0
	s_cmp_lg_u32 s12, 0
	v_lshl_add_u32 v2, v0, 3, 0x2380
	s_cselect_b32 s13, -1, 0
	s_and_b32 s13, s13, vcc_lo
	s_and_saveexec_b32 s15, s13
	s_xor_b32 s13, exec_lo, s15
; %bb.6:
	v_mov_b32_e32 v3, 0
	v_mov_b32_e32 v4, v3
	ds_write_b64 v2, v[3:4]
                                        ; implicit-def: $vgpr2
; %bb.7:
	s_andn2_saveexec_b32 s13, s13
	s_cbranch_execz .LBB182_9
; %bb.8:
	flat_load_dwordx2 v[3:4], v[16:17]
	s_waitcnt vmcnt(0) lgkmcnt(0)
	ds_write_b64 v2, v[3:4]
.LBB182_9:
	s_or_b32 exec_lo, exec_lo, s1
	v_lshl_add_u32 v24, v1, 6, v0
	v_and_b32_e32 v2, 31, v0
	v_mov_b32_e32 v3, 0
	s_lshl_b64 s[2:3], s[2:3], 3
	s_mul_hi_u32 s13, s16, s14
	v_lshrrev_b32_e32 v9, 5, v24
	s_add_u32 s21, s8, s2
	s_addc_u32 s3, s9, s3
	s_ashr_i32 s15, s14, 31
	s_mul_i32 s20, s17, s14
	v_mad_u64_u32 v[3:4], null, s16, v9, v[2:3]
	s_lshl_b64 s[8:9], s[14:15], 3
	s_mul_i32 s23, s16, s15
	s_add_u32 s8, s21, s8
	s_addc_u32 s9, s3, s9
	s_add_i32 s3, s13, s23
	s_mul_i32 s2, s16, s14
	v_mad_u64_u32 v[4:5], null, s17, v9, v[4:5]
	s_add_i32 s3, s3, s20
	v_cmp_gt_i32_e64 s1, s12, v2
	s_lshl_b64 s[2:3], s[2:3], 3
	s_cmp_eq_u32 s12, 0
	v_lshlrev_b32_e32 v10, 3, v2
	s_cselect_b32 s23, -1, 0
	v_lshlrev_b64 v[14:15], 3, v[3:4]
	s_cmp_lg_u32 s12, 0
	v_lshlrev_b32_e32 v11, 3, v2
	v_mul_u32_u24_e32 v12, 0x108, v9
	s_cselect_b32 s26, -1, 0
	v_add_co_u32 v3, vcc_lo, s8, v14
	v_add_co_ci_u32_e64 v4, null, s9, v15, vcc_lo
	s_and_b32 vcc_lo, exec_lo, s26
	v_add_co_u32 v5, s2, v3, s2
	v_add_co_ci_u32_e64 v6, null, s3, v4, s2
                                        ; implicit-def: $vgpr3_vgpr4
	s_cbranch_vccz .LBB182_27
; %bb.10:
	v_sub_co_u32 v3, vcc_lo, v5, v10
	s_ashr_i32 s13, s12, 31
	v_subrev_co_ci_u32_e64 v4, null, 0, v6, vcc_lo
	s_lshl_b64 s[2:3], s[12:13], 3
	v_add_nc_u32_e32 v7, v11, v12
	v_add_co_u32 v3, vcc_lo, v3, s2
	v_add_co_ci_u32_e64 v4, null, s3, v4, vcc_lo
	s_mov_b32 s7, exec_lo
	v_add_co_u32 v3, vcc_lo, v3, -8
	v_add_co_ci_u32_e64 v4, null, -1, v4, vcc_lo
	v_cndmask_b32_e64 v3, v3, v5, s1
	v_cndmask_b32_e64 v4, v4, v6, s1
	v_cmpx_le_i32_e64 s12, v9
	s_xor_b32 s7, exec_lo, s7
; %bb.11:
	v_mov_b32_e32 v18, 0
	v_mov_b32_e32 v19, v18
	ds_write_b64 v7, v[18:19]
; %bb.12:
	s_andn2_saveexec_b32 s7, s7
	s_cbranch_execz .LBB182_14
; %bb.13:
	flat_load_dwordx2 v[18:19], v[3:4]
	s_waitcnt vmcnt(0) lgkmcnt(0)
	ds_write_b64 v7, v[18:19]
.LBB182_14:
	s_or_b32 exec_lo, exec_lo, s7
	v_add_nc_u32_e32 v8, 8, v9
	s_mov_b32 s7, exec_lo
	v_cmpx_le_i32_e64 s12, v8
	s_xor_b32 s7, exec_lo, s7
; %bb.15:
	v_mov_b32_e32 v18, 0
	v_mov_b32_e32 v19, v18
	ds_write_b64 v7, v[18:19] offset:2112
; %bb.16:
	s_andn2_saveexec_b32 s7, s7
	s_cbranch_execz .LBB182_18
; %bb.17:
	s_lshl_b64 s[8:9], s[16:17], 6
	v_add_co_u32 v18, vcc_lo, v3, s8
	v_add_co_ci_u32_e64 v19, null, s9, v4, vcc_lo
	flat_load_dwordx2 v[18:19], v[18:19]
	s_waitcnt vmcnt(0) lgkmcnt(0)
	ds_write_b64 v7, v[18:19] offset:2112
.LBB182_18:
	s_or_b32 exec_lo, exec_lo, s7
	v_add_nc_u32_e32 v8, 16, v9
	s_mov_b32 s7, exec_lo
	v_cmpx_le_i32_e64 s12, v8
	s_xor_b32 s7, exec_lo, s7
; %bb.19:
	v_mov_b32_e32 v18, 0
	v_mov_b32_e32 v19, v18
	ds_write_b64 v7, v[18:19] offset:4224
; %bb.20:
	s_andn2_saveexec_b32 s7, s7
	s_cbranch_execz .LBB182_22
; %bb.21:
	s_lshl_b64 s[8:9], s[16:17], 7
	v_add_co_u32 v18, vcc_lo, v3, s8
	v_add_co_ci_u32_e64 v19, null, s9, v4, vcc_lo
	flat_load_dwordx2 v[18:19], v[18:19]
	s_waitcnt vmcnt(0) lgkmcnt(0)
	ds_write_b64 v7, v[18:19] offset:4224
.LBB182_22:
	s_or_b32 exec_lo, exec_lo, s7
	v_add_nc_u32_e32 v8, 24, v9
	s_mov_b32 s7, exec_lo
	v_cmpx_le_i32_e64 s12, v8
	s_xor_b32 s7, exec_lo, s7
; %bb.23:
	v_mov_b32_e32 v18, 0
	v_mov_b32_e32 v19, v18
	ds_write_b64 v7, v[18:19] offset:6336
                                        ; implicit-def: $vgpr7
; %bb.24:
	s_andn2_saveexec_b32 s7, s7
	s_cbranch_execz .LBB182_26
; %bb.25:
	v_mad_u64_u32 v[18:19], null, 0xc0, s16, v[3:4]
	v_mov_b32_e32 v8, v19
	v_mad_u64_u32 v[19:20], null, 0xc0, s17, v[8:9]
	flat_load_dwordx2 v[18:19], v[18:19]
	s_waitcnt vmcnt(0) lgkmcnt(0)
	ds_write_b64 v7, v[18:19] offset:6336
.LBB182_26:
	s_or_b32 exec_lo, exec_lo, s7
	v_add_co_u32 v3, vcc_lo, v3, v10
	v_add_co_ci_u32_e64 v4, null, 0, v4, vcc_lo
	s_mov_b32 s7, 0
	v_sub_co_u32 v3, vcc_lo, v3, s2
	v_subrev_co_ci_u32_e64 v4, null, s3, v4, vcc_lo
	v_add_co_u32 v3, vcc_lo, v3, 8
	v_add_co_ci_u32_e64 v4, null, 0, v4, vcc_lo
	v_cndmask_b32_e64 v3, v3, v5, s1
	v_cndmask_b32_e64 v4, v4, v6, s1
.LBB182_27:
	s_and_b32 vcc_lo, exec_lo, s7
	s_cbranch_vccz .LBB182_29
; %bb.28:
	s_lshl_b64 s[2:3], s[16:17], 6
	v_lshl_add_u32 v13, v2, 3, v12
	v_add_co_u32 v3, vcc_lo, v5, s2
	v_add_co_ci_u32_e64 v4, null, s3, v6, vcc_lo
	v_add_co_u32 v7, vcc_lo, v3, s2
	v_add_co_ci_u32_e64 v8, null, s3, v4, vcc_lo
	;; [unrolled: 2-line block ×3, first 2 shown]
	s_clause 0x3
	flat_load_dwordx2 v[20:21], v[5:6]
	flat_load_dwordx2 v[22:23], v[3:4]
	;; [unrolled: 1-line block ×4, first 2 shown]
	v_mov_b32_e32 v3, v5
	v_mov_b32_e32 v4, v6
	s_waitcnt vmcnt(3) lgkmcnt(3)
	ds_write_b64 v13, v[20:21]
	s_waitcnt vmcnt(2) lgkmcnt(3)
	ds_write_b64 v13, v[22:23] offset:2112
	s_waitcnt vmcnt(1) lgkmcnt(3)
	ds_write_b64 v13, v[7:8] offset:4224
	;; [unrolled: 2-line block ×3, first 2 shown]
.LBB182_29:
	v_lshlrev_b32_e32 v13, 2, v9
	v_lshl_or_b32 v5, v2, 8, v11
	s_waitcnt lgkmcnt(0)
	s_barrier
	buffer_gl0_inv
	v_cmp_gt_u32_e64 s2, v13, v2
	v_lshl_add_u32 v7, v13, 3, v5
	v_mad_u32_u24 v5, 0x420, v9, v11
	s_and_saveexec_b32 s1, s2
	s_cbranch_execz .LBB182_31
; %bb.30:
	ds_read_b64 v[18:19], v5
	s_waitcnt lgkmcnt(0)
	ds_write_b64 v7, v[18:19]
.LBB182_31:
	s_or_b32 exec_lo, exec_lo, s1
	v_or_b32_e32 v18, 1, v13
	v_cmp_ge_u32_e64 s3, v13, v2
	v_mad_u32_u24 v6, 0x108, v18, v11
	s_and_saveexec_b32 s1, s3
	s_cbranch_execz .LBB182_33
; %bb.32:
	ds_read_b64 v[19:20], v6
	s_waitcnt lgkmcnt(0)
	ds_write_b64 v7, v[19:20] offset:8
.LBB182_33:
	s_or_b32 exec_lo, exec_lo, s1
	v_or_b32_e32 v8, 2, v13
	v_cmp_gt_u32_e64 s7, v8, v2
	s_and_saveexec_b32 s1, s7
	s_cbranch_execz .LBB182_35
; %bb.34:
	v_mad_u32_u24 v8, 0x108, v8, v11
	ds_read_b64 v[19:20], v8
	s_waitcnt lgkmcnt(0)
	ds_write_b64 v7, v[19:20] offset:16
.LBB182_35:
	s_or_b32 exec_lo, exec_lo, s1
	v_or_b32_e32 v19, 3, v13
	s_mov_b32 s1, exec_lo
	v_cmp_gt_u32_e64 s8, v19, v2
	v_mul_u32_u24_e32 v8, 0x108, v19
	v_cmpx_le_u32_e64 v19, v2
	s_xor_b32 s1, exec_lo, s1
; %bb.36:
	v_mul_u32_u24_e32 v8, 0x108, v19
                                        ; implicit-def: $vgpr19
                                        ; implicit-def: $vgpr7
; %bb.37:
	s_andn2_saveexec_b32 s1, s1
	s_cbranch_execz .LBB182_39
; %bb.38:
	v_mad_u32_u24 v19, 0x108, v19, v11
	ds_read_b64 v[19:20], v19
	s_waitcnt lgkmcnt(0)
	ds_write_b64 v7, v[19:20] offset:24
.LBB182_39:
	s_or_b32 exec_lo, exec_lo, s1
	v_lshlrev_b32_e32 v19, 3, v13
	s_waitcnt lgkmcnt(0)
	s_barrier
	buffer_gl0_inv
	ds_read_b64 v[21:22], v5
	ds_read_b128 v[25:28], v19 offset:9088
	ds_read2_b64 v[29:32], v6 offset1:33
	v_add_nc_u32_e32 v20, v11, v8
	ds_read_b128 v[5:8], v19 offset:9104
	ds_read_b64 v[33:34], v20
	v_mul_u32_u24_e32 v23, 33, v2
	v_mov_b32_e32 v60, 0
	v_cmp_gt_u32_e64 s1, 32, v24
	v_mov_b32_e32 v61, 0
	s_waitcnt lgkmcnt(0)
	s_barrier
	buffer_gl0_inv
	v_mul_f32_e32 v35, v26, v22
	v_mul_f32_e32 v22, v25, v22
	;; [unrolled: 1-line block ×5, first 2 shown]
	v_fma_f32 v25, v25, v21, -v35
	v_fmac_f32_e32 v22, v26, v21
	v_mul_f32_e32 v32, v5, v32
	v_fma_f32 v26, v27, v29, -v36
	v_fmac_f32_e32 v30, v28, v29
	v_add_f32_e32 v25, 0, v25
	v_add_f32_e32 v22, 0, v22
	v_mul_f32_e32 v21, v8, v34
	v_mul_f32_e32 v27, v7, v34
	v_fma_f32 v5, v5, v31, -v37
	v_fmac_f32_e32 v32, v6, v31
	v_add_f32_e32 v6, v25, v26
	v_add_f32_e32 v22, v22, v30
	v_lshlrev_b32_e32 v25, 3, v23
	v_fma_f32 v7, v7, v33, -v21
	v_fmac_f32_e32 v27, v8, v33
	v_add_f32_e32 v5, v6, v5
	v_add_f32_e32 v6, v22, v32
	v_lshl_add_u32 v26, v9, 3, v25
	v_add_f32_e32 v5, v5, v7
	v_add_f32_e32 v6, v6, v27
	ds_write_b64 v26, v[5:6]
	s_waitcnt lgkmcnt(0)
	s_barrier
	buffer_gl0_inv
	s_and_saveexec_b32 s9, s1
	s_cbranch_execz .LBB182_41
; %bb.40:
	ds_read2_b64 v[5:8], v25 offset1:7
	ds_read2_b64 v[27:30], v25 offset0:1 offset1:2
	ds_read2_b64 v[31:34], v25 offset0:3 offset1:4
	ds_read2_b64 v[35:38], v25 offset0:5 offset1:6
	s_waitcnt lgkmcnt(2)
	v_add_f32_e32 v5, v27, v5
	v_add_f32_e32 v6, v28, v6
	v_add_f32_e32 v5, v29, v5
	v_add_f32_e32 v6, v30, v6
	s_waitcnt lgkmcnt(1)
	v_add_f32_e32 v5, v5, v31
	v_add_f32_e32 v6, v6, v32
	v_add_f32_e32 v5, v5, v33
	v_add_f32_e32 v6, v6, v34
	;; [unrolled: 5-line block ×3, first 2 shown]
	v_add_f32_e32 v60, v5, v7
	v_add_f32_e32 v61, v6, v8
.LBB182_41:
	s_or_b32 exec_lo, exec_lo, s9
	s_lshl_b64 s[20:21], s[16:17], 8
	v_add_co_u32 v5, vcc_lo, v3, s20
	v_add_co_ci_u32_e64 v6, null, s21, v4, vcc_lo
	s_barrier
	v_add_co_u32 v3, vcc_lo, 0x100, v5
	v_add_co_ci_u32_e64 v4, null, 0, v6, vcc_lo
	s_and_b32 vcc_lo, exec_lo, s26
	buffer_gl0_inv
	s_cbranch_vccz .LBB182_59
; %bb.42:
	v_sub_co_u32 v7, vcc_lo, v5, v10
	s_ashr_i32 s13, s12, 31
	v_subrev_co_ci_u32_e64 v8, null, 0, v6, vcc_lo
	s_lshl_b64 s[20:21], s[12:13], 3
	v_or_b32_e32 v21, 32, v2
	v_add_co_u32 v7, vcc_lo, v7, s20
	v_add_co_ci_u32_e64 v8, null, s21, v8, vcc_lo
	s_sub_i32 s13, s12, 32
	v_add_co_u32 v7, vcc_lo, v7, -8
	v_add_co_ci_u32_e64 v8, null, -1, v8, vcc_lo
	v_cmp_gt_i32_e32 vcc_lo, s12, v21
	v_cmp_le_i32_e64 s9, s13, v9
	v_add_nc_u32_e32 v21, v11, v12
	v_cndmask_b32_e32 v8, v8, v4, vcc_lo
	v_cndmask_b32_e32 v7, v7, v3, vcc_lo
	s_and_saveexec_b32 s27, s9
	s_xor_b32 s9, exec_lo, s27
; %bb.43:
	v_mov_b32_e32 v22, 0
	v_mov_b32_e32 v23, v22
	ds_write_b64 v21, v[22:23]
; %bb.44:
	s_andn2_saveexec_b32 s9, s9
	s_cbranch_execz .LBB182_46
; %bb.45:
	flat_load_dwordx2 v[22:23], v[7:8]
	s_waitcnt vmcnt(0) lgkmcnt(0)
	ds_write_b64 v21, v[22:23]
.LBB182_46:
	s_or_b32 exec_lo, exec_lo, s9
	v_add_nc_u32_e32 v22, 8, v9
	v_cmp_le_i32_e64 s9, s13, v22
	s_and_saveexec_b32 s27, s9
	s_xor_b32 s9, exec_lo, s27
; %bb.47:
	v_mov_b32_e32 v22, 0
	v_mov_b32_e32 v23, v22
	ds_write_b64 v21, v[22:23] offset:2112
; %bb.48:
	s_andn2_saveexec_b32 s27, s9
	s_cbranch_execz .LBB182_50
; %bb.49:
	s_lshl_b64 s[28:29], s[16:17], 6
	v_add_co_u32 v22, s9, v7, s28
	v_add_co_ci_u32_e64 v23, null, s29, v8, s9
	flat_load_dwordx2 v[22:23], v[22:23]
	s_waitcnt vmcnt(0) lgkmcnt(0)
	ds_write_b64 v21, v[22:23] offset:2112
.LBB182_50:
	s_or_b32 exec_lo, exec_lo, s27
	v_add_nc_u32_e32 v22, 16, v9
	v_cmp_le_i32_e64 s9, s13, v22
	s_and_saveexec_b32 s27, s9
	s_xor_b32 s9, exec_lo, s27
; %bb.51:
	v_mov_b32_e32 v22, 0
	v_mov_b32_e32 v23, v22
	ds_write_b64 v21, v[22:23] offset:4224
; %bb.52:
	s_andn2_saveexec_b32 s27, s9
	s_cbranch_execz .LBB182_54
; %bb.53:
	s_lshl_b64 s[28:29], s[16:17], 7
	v_add_co_u32 v22, s9, v7, s28
	v_add_co_ci_u32_e64 v23, null, s29, v8, s9
	flat_load_dwordx2 v[22:23], v[22:23]
	s_waitcnt vmcnt(0) lgkmcnt(0)
	ds_write_b64 v21, v[22:23] offset:4224
.LBB182_54:
	s_or_b32 exec_lo, exec_lo, s27
	v_add_nc_u32_e32 v22, 24, v9
	v_cmp_le_i32_e64 s9, s13, v22
	s_and_saveexec_b32 s13, s9
	s_xor_b32 s9, exec_lo, s13
; %bb.55:
	v_mov_b32_e32 v22, 0
	v_mov_b32_e32 v23, v22
	ds_write_b64 v21, v[22:23] offset:6336
                                        ; implicit-def: $vgpr21
; %bb.56:
	s_andn2_saveexec_b32 s9, s9
	s_cbranch_execz .LBB182_58
; %bb.57:
	v_mad_u64_u32 v[22:23], null, 0xc0, s16, v[7:8]
	v_mad_u64_u32 v[27:28], null, 0xc0, s17, v[23:24]
	v_mov_b32_e32 v23, v27
	flat_load_dwordx2 v[22:23], v[22:23]
	s_waitcnt vmcnt(0) lgkmcnt(0)
	ds_write_b64 v21, v[22:23] offset:6336
.LBB182_58:
	s_or_b32 exec_lo, exec_lo, s9
	v_add_co_u32 v7, s9, v7, v10
	v_add_co_ci_u32_e64 v8, null, 0, v8, s9
	v_sub_co_u32 v7, s9, v7, s20
	v_subrev_co_ci_u32_e64 v8, null, s21, v8, s9
	v_add_co_u32 v7, s9, 0x108, v7
	v_add_co_ci_u32_e64 v8, null, 0, v8, s9
	v_cndmask_b32_e32 v7, v7, v3, vcc_lo
	v_cndmask_b32_e32 v8, v8, v4, vcc_lo
	v_mul_u32_u24_e32 v21, 0x420, v9
	v_mad_u32_u24 v22, 0x108, v9, v11
	s_branch .LBB182_61
.LBB182_59:
                                        ; implicit-def: $vgpr7_vgpr8
	v_mul_u32_u24_e32 v21, 0x420, v9
	v_mad_u32_u24 v22, 0x108, v9, v11
	s_cbranch_execz .LBB182_61
; %bb.60:
	s_lshl_b64 s[20:21], s[16:17], 6
	v_add_co_u32 v7, vcc_lo, v5, s20
	v_add_co_ci_u32_e64 v8, null, s21, v6, vcc_lo
	v_add_co_u32 v27, vcc_lo, v7, s20
	v_add_co_ci_u32_e64 v28, null, s21, v8, vcc_lo
	;; [unrolled: 2-line block ×3, first 2 shown]
	s_clause 0x3
	flat_load_dwordx2 v[5:6], v[5:6] offset:256
	flat_load_dwordx2 v[31:32], v[7:8] offset:256
	;; [unrolled: 1-line block ×4, first 2 shown]
	v_mov_b32_e32 v8, v4
	v_mov_b32_e32 v7, v3
	s_waitcnt vmcnt(3) lgkmcnt(3)
	ds_write_b64 v22, v[5:6]
	s_waitcnt vmcnt(2) lgkmcnt(3)
	ds_write_b64 v22, v[31:32] offset:2112
	s_waitcnt vmcnt(1) lgkmcnt(3)
	ds_write_b64 v22, v[27:28] offset:4224
	;; [unrolled: 2-line block ×3, first 2 shown]
.LBB182_61:
	v_mul_u32_u24_e32 v4, 0x108, v18
	v_add_nc_u32_e32 v21, v11, v21
	v_lshl_add_u32 v3, v13, 3, v25
	s_waitcnt lgkmcnt(0)
	s_barrier
	buffer_gl0_inv
	s_and_saveexec_b32 s9, s2
	s_cbranch_execz .LBB182_65
; %bb.62:
	ds_read_b64 v[5:6], v21
	s_waitcnt lgkmcnt(0)
	ds_write_b64 v3, v[5:6]
	s_or_b32 exec_lo, exec_lo, s9
	v_add_nc_u32_e32 v23, v11, v4
	s_and_saveexec_b32 s2, s3
	s_cbranch_execnz .LBB182_66
.LBB182_63:
	s_or_b32 exec_lo, exec_lo, s2
	s_and_saveexec_b32 s2, s7
	s_cbranch_execz .LBB182_67
.LBB182_64:
	ds_read_b64 v[4:5], v23 offset:264
	s_waitcnt lgkmcnt(0)
	ds_write_b64 v3, v[4:5] offset:16
	s_or_b32 exec_lo, exec_lo, s2
	v_add_nc_u32_e32 v27, 0x2380, v19
	s_and_saveexec_b32 s2, s8
	s_cbranch_execnz .LBB182_68
	s_branch .LBB182_69
.LBB182_65:
	s_or_b32 exec_lo, exec_lo, s9
	v_add_nc_u32_e32 v23, v11, v4
	s_and_saveexec_b32 s2, s3
	s_cbranch_execz .LBB182_63
.LBB182_66:
	ds_read_b64 v[4:5], v23
	s_waitcnt lgkmcnt(0)
	ds_write_b64 v3, v[4:5] offset:8
	s_or_b32 exec_lo, exec_lo, s2
	s_and_saveexec_b32 s2, s7
	s_cbranch_execnz .LBB182_64
.LBB182_67:
	s_or_b32 exec_lo, exec_lo, s2
	v_add_nc_u32_e32 v27, 0x2380, v19
	s_and_saveexec_b32 s2, s8
	s_cbranch_execz .LBB182_69
.LBB182_68:
	ds_read_b64 v[4:5], v20
	s_waitcnt lgkmcnt(0)
	ds_write_b64 v3, v[4:5] offset:24
.LBB182_69:
	s_or_b32 exec_lo, exec_lo, s2
	s_waitcnt lgkmcnt(0)
	s_barrier
	buffer_gl0_inv
	ds_read_b64 v[18:19], v21
	ds_read_b128 v[3:6], v27 offset:256
	ds_read2_b64 v[28:31], v23 offset1:33
	ds_read_b128 v[32:35], v27 offset:272
	ds_read_b64 v[36:37], v20
	v_cmp_eq_u32_e64 s2, 1, v9
	s_waitcnt lgkmcnt(0)
	s_barrier
	buffer_gl0_inv
	v_mul_f32_e32 v13, v4, v19
	v_mul_f32_e32 v19, v3, v19
	;; [unrolled: 1-line block ×5, first 2 shown]
	v_fma_f32 v3, v3, v18, -v13
	v_fmac_f32_e32 v19, v4, v18
	v_mul_f32_e32 v31, v32, v31
	v_fma_f32 v5, v5, v28, -v38
	v_fmac_f32_e32 v29, v6, v28
	v_add_f32_e32 v3, 0, v3
	v_add_f32_e32 v6, 0, v19
	v_mul_f32_e32 v4, v35, v37
	v_mul_f32_e32 v13, v34, v37
	v_fma_f32 v18, v32, v30, -v39
	v_fmac_f32_e32 v31, v33, v30
	v_add_f32_e32 v3, v3, v5
	v_add_f32_e32 v5, v6, v29
	v_fma_f32 v4, v34, v36, -v4
	v_fmac_f32_e32 v13, v35, v36
	v_add_f32_e32 v3, v3, v18
	v_add_f32_e32 v5, v5, v31
	;; [unrolled: 1-line block ×4, first 2 shown]
	ds_write_b64 v26, v[3:4]
	s_waitcnt lgkmcnt(0)
	s_barrier
	buffer_gl0_inv
	s_and_saveexec_b32 s3, s2
	s_cbranch_execz .LBB182_71
; %bb.70:
	ds_read2_b64 v[3:6], v25 offset1:7
	ds_read2_b64 v[28:31], v25 offset0:1 offset1:2
	ds_read2_b64 v[32:35], v25 offset0:3 offset1:4
	;; [unrolled: 1-line block ×3, first 2 shown]
	s_waitcnt lgkmcnt(2)
	v_add_f32_e32 v3, v28, v3
	v_add_f32_e32 v4, v29, v4
	v_add_f32_e32 v3, v30, v3
	v_add_f32_e32 v4, v31, v4
	s_waitcnt lgkmcnt(1)
	v_add_f32_e32 v3, v3, v32
	v_add_f32_e32 v4, v4, v33
	v_add_f32_e32 v3, v3, v34
	v_add_f32_e32 v4, v4, v35
	;; [unrolled: 5-line block ×3, first 2 shown]
	v_add_f32_e32 v60, v3, v5
	v_add_f32_e32 v61, v4, v6
.LBB182_71:
	s_or_b32 exec_lo, exec_lo, s3
	v_add_co_u32 v3, vcc_lo, 0xffffff00, v7
	v_add_co_ci_u32_e64 v4, null, -1, v8, vcc_lo
	s_and_b32 vcc_lo, exec_lo, s26
	s_barrier
	buffer_gl0_inv
	s_cbranch_vccz .LBB182_89
; %bb.72:
	v_sub_co_u32 v5, vcc_lo, v3, v10
	s_ashr_i32 s13, s12, 31
	v_subrev_co_ci_u32_e64 v6, null, 0, v4, vcc_lo
	s_lshl_b64 s[8:9], s[12:13], 3
	s_sub_i32 s7, s12, 32
	v_add_co_u32 v5, vcc_lo, v5, s8
	v_add_co_ci_u32_e64 v6, null, s9, v6, vcc_lo
	v_cmp_le_i32_e64 s3, s7, v9
	v_add_co_u32 v5, vcc_lo, v5, -8
	v_add_co_ci_u32_e64 v6, null, -1, v6, vcc_lo
	v_cmp_gt_i32_e32 vcc_lo, s12, v2
	v_add_nc_u32_e32 v8, v11, v12
	v_cndmask_b32_e32 v6, v6, v4, vcc_lo
	v_cndmask_b32_e32 v5, v5, v3, vcc_lo
	s_and_saveexec_b32 s13, s3
	s_xor_b32 s3, exec_lo, s13
; %bb.73:
	v_mov_b32_e32 v11, 0
	v_mov_b32_e32 v12, v11
	ds_write_b64 v8, v[11:12]
; %bb.74:
	s_andn2_saveexec_b32 s3, s3
	s_cbranch_execz .LBB182_76
; %bb.75:
	flat_load_dwordx2 v[11:12], v[5:6]
	s_waitcnt vmcnt(0) lgkmcnt(0)
	ds_write_b64 v8, v[11:12]
.LBB182_76:
	s_or_b32 exec_lo, exec_lo, s3
	v_add_nc_u32_e32 v2, 8, v9
	v_cmp_le_i32_e64 s3, s7, v2
	s_and_saveexec_b32 s13, s3
	s_xor_b32 s3, exec_lo, s13
; %bb.77:
	v_mov_b32_e32 v11, 0
	v_mov_b32_e32 v12, v11
	ds_write_b64 v8, v[11:12] offset:2112
; %bb.78:
	s_andn2_saveexec_b32 s13, s3
	s_cbranch_execz .LBB182_80
; %bb.79:
	s_lshl_b64 s[20:21], s[16:17], 6
	v_add_co_u32 v11, s3, v5, s20
	v_add_co_ci_u32_e64 v12, null, s21, v6, s3
	flat_load_dwordx2 v[11:12], v[11:12]
	s_waitcnt vmcnt(0) lgkmcnt(0)
	ds_write_b64 v8, v[11:12] offset:2112
.LBB182_80:
	s_or_b32 exec_lo, exec_lo, s13
	v_add_nc_u32_e32 v7, 16, v9
	v_cmp_le_i32_e64 s3, s7, v7
	s_and_saveexec_b32 s13, s3
	s_xor_b32 s3, exec_lo, s13
; %bb.81:
	v_mov_b32_e32 v11, 0
	v_mov_b32_e32 v12, v11
	ds_write_b64 v8, v[11:12] offset:4224
; %bb.82:
	s_andn2_saveexec_b32 s13, s3
	s_cbranch_execz .LBB182_84
; %bb.83:
	s_lshl_b64 s[20:21], s[16:17], 7
	v_add_co_u32 v11, s3, v5, s20
	v_add_co_ci_u32_e64 v12, null, s21, v6, s3
	flat_load_dwordx2 v[11:12], v[11:12]
	s_waitcnt vmcnt(0) lgkmcnt(0)
	ds_write_b64 v8, v[11:12] offset:4224
.LBB182_84:
	s_or_b32 exec_lo, exec_lo, s13
	v_add_nc_u32_e32 v11, 24, v9
	v_cmp_le_i32_e64 s3, s7, v11
	s_and_saveexec_b32 s7, s3
	s_xor_b32 s3, exec_lo, s7
; %bb.85:
	v_mov_b32_e32 v12, 0
	v_mov_b32_e32 v13, v12
	ds_write_b64 v8, v[12:13] offset:6336
                                        ; implicit-def: $vgpr8
; %bb.86:
	s_andn2_saveexec_b32 s3, s3
	s_cbranch_execz .LBB182_88
; %bb.87:
	v_mad_u64_u32 v[12:13], null, 0xc0, s16, v[5:6]
	v_mad_u64_u32 v[18:19], null, 0xc0, s17, v[13:14]
	v_mov_b32_e32 v13, v18
	flat_load_dwordx2 v[12:13], v[12:13]
	s_waitcnt vmcnt(0) lgkmcnt(0)
	ds_write_b64 v8, v[12:13] offset:6336
.LBB182_88:
	s_or_b32 exec_lo, exec_lo, s3
	v_add_co_u32 v5, s3, v5, v10
	v_add_co_ci_u32_e64 v6, null, 0, v6, s3
	v_sub_co_u32 v5, s3, v5, s8
	v_subrev_co_ci_u32_e64 v6, null, s9, v6, s3
	v_add_co_u32 v5, s3, v5, 8
	v_add_co_ci_u32_e64 v6, null, 0, v6, s3
	v_cndmask_b32_e32 v18, v5, v3, vcc_lo
	v_cndmask_b32_e32 v19, v6, v4, vcc_lo
	s_branch .LBB182_91
.LBB182_89:
                                        ; implicit-def: $vgpr18_vgpr19
                                        ; implicit-def: $vgpr2
                                        ; implicit-def: $vgpr7
                                        ; implicit-def: $vgpr11
	s_cbranch_execz .LBB182_91
; %bb.90:
	s_lshl_b64 s[8:9], s[16:17], 6
	v_mov_b32_e32 v19, v4
	v_add_co_u32 v5, vcc_lo, v3, s8
	v_add_co_ci_u32_e64 v6, null, s9, v4, vcc_lo
	v_add_nc_u32_e32 v2, 8, v9
	v_add_co_u32 v7, vcc_lo, v5, s8
	v_add_co_ci_u32_e64 v8, null, s9, v6, vcc_lo
	v_mov_b32_e32 v18, v3
	v_add_co_u32 v10, vcc_lo, v7, s8
	v_add_co_ci_u32_e64 v11, null, s9, v8, vcc_lo
	s_clause 0x3
	flat_load_dwordx2 v[12:13], v[3:4]
	flat_load_dwordx2 v[5:6], v[5:6]
	;; [unrolled: 1-line block ×4, first 2 shown]
	v_add_nc_u32_e32 v7, 16, v9
	v_add_nc_u32_e32 v11, 24, v9
	s_waitcnt vmcnt(3) lgkmcnt(3)
	ds_write_b64 v22, v[12:13]
	s_waitcnt vmcnt(2) lgkmcnt(3)
	ds_write_b64 v22, v[5:6] offset:2112
	s_waitcnt vmcnt(1) lgkmcnt(3)
	ds_write_b64 v22, v[28:29] offset:4224
	;; [unrolled: 2-line block ×3, first 2 shown]
.LBB182_91:
	v_lshlrev_b32_e32 v3, 3, v9
	v_lshlrev_b32_e32 v2, 3, v2
	s_waitcnt lgkmcnt(0)
	s_barrier
	buffer_gl0_inv
	v_add_nc_u32_e32 v5, v25, v3
	v_lshlrev_b32_e32 v4, 3, v7
	v_lshlrev_b32_e32 v6, 3, v11
	v_add_nc_u32_e32 v7, v25, v2
	ds_read_b64 v[28:29], v5
	ds_read_b64 v[30:31], v2 offset:9088
	ds_read_b64 v[32:33], v3 offset:9088
	v_add_nc_u32_e32 v8, v25, v4
	v_add_nc_u32_e32 v2, v25, v6
	ds_read_b64 v[34:35], v7
	ds_read_b64 v[36:37], v8
	ds_read_b64 v[38:39], v6 offset:9088
	ds_read_b64 v[40:41], v4 offset:9088
	ds_read_b64 v[42:43], v2
	ds_read_b128 v[10:13], v27 offset:256
	ds_read_b128 v[2:5], v27 offset:272
	ds_read2_b64 v[6:9], v23 offset1:33
	ds_read_b64 v[22:23], v21
	ds_read_b64 v[20:21], v20
	s_waitcnt lgkmcnt(0)
	s_barrier
	buffer_gl0_inv
	v_mul_f32_e32 v45, v41, v37
	v_mul_f32_e32 v27, v33, v29
	;; [unrolled: 1-line block ×6, first 2 shown]
	v_fma_f32 v27, v32, v28, -v27
	v_fmac_f32_e32 v29, v33, v28
	v_mul_f32_e32 v28, v40, v37
	v_fma_f32 v30, v30, v34, -v44
	v_fmac_f32_e32 v35, v31, v34
	v_add_f32_e32 v27, 0, v27
	v_add_f32_e32 v29, 0, v29
	v_mul_f32_e32 v31, v38, v43
	v_fma_f32 v32, v40, v36, -v45
	v_fmac_f32_e32 v28, v41, v36
	v_add_f32_e32 v27, v27, v30
	v_add_f32_e32 v29, v29, v35
	v_fma_f32 v30, v38, v42, -v46
	v_fmac_f32_e32 v31, v39, v42
	v_add_f32_e32 v27, v27, v32
	v_add_f32_e32 v28, v29, v28
	;; [unrolled: 1-line block ×4, first 2 shown]
	ds_write_b64 v26, v[27:28]
	s_waitcnt lgkmcnt(0)
	s_barrier
	buffer_gl0_inv
	s_and_saveexec_b32 s3, s2
	s_cbranch_execz .LBB182_93
; %bb.92:
	ds_read2_b64 v[27:30], v25 offset1:1
	ds_read2_b64 v[31:34], v25 offset0:2 offset1:3
	ds_read2_b64 v[35:38], v25 offset0:4 offset1:5
	s_waitcnt lgkmcnt(2)
	v_add_f32_e32 v27, v60, v27
	v_add_f32_e32 v28, v61, v28
	;; [unrolled: 1-line block ×4, first 2 shown]
	ds_read2_b64 v[27:30], v25 offset0:6 offset1:7
	s_waitcnt lgkmcnt(2)
	v_add_f32_e32 v31, v39, v31
	v_add_f32_e32 v32, v40, v32
	v_add_f32_e32 v31, v31, v33
	v_add_f32_e32 v32, v32, v34
	s_waitcnt lgkmcnt(1)
	v_add_f32_e32 v31, v31, v35
	v_add_f32_e32 v32, v32, v36
	v_add_f32_e32 v31, v31, v37
	v_add_f32_e32 v32, v32, v38
	s_waitcnt lgkmcnt(0)
	v_add_f32_e32 v27, v31, v27
	v_add_f32_e32 v28, v32, v28
	v_add_f32_e32 v60, v27, v29
	v_add_f32_e32 v61, v28, v30
.LBB182_93:
	s_or_b32 exec_lo, exec_lo, s3
	v_mul_f32_e32 v27, v11, v23
	v_mul_f32_e32 v23, v10, v23
	;; [unrolled: 1-line block ×5, first 2 shown]
	v_fma_f32 v10, v10, v22, -v27
	v_fmac_f32_e32 v23, v11, v22
	v_mul_f32_e32 v9, v2, v9
	v_fma_f32 v12, v12, v6, -v28
	v_fmac_f32_e32 v7, v13, v6
	v_add_f32_e32 v10, 0, v10
	v_add_f32_e32 v6, 0, v23
	v_mul_f32_e32 v11, v5, v21
	v_mul_f32_e32 v13, v4, v21
	v_fma_f32 v2, v2, v8, -v29
	v_add_f32_e32 v10, v10, v12
	v_fmac_f32_e32 v9, v3, v8
	v_add_f32_e32 v3, v6, v7
	v_fma_f32 v4, v4, v20, -v11
	v_fmac_f32_e32 v13, v5, v20
	v_add_f32_e32 v2, v10, v2
	v_add_f32_e32 v3, v3, v9
	s_barrier
	buffer_gl0_inv
	v_add_f32_e32 v2, v2, v4
	v_add_f32_e32 v3, v3, v13
	ds_write_b64 v26, v[2:3]
	s_waitcnt lgkmcnt(0)
	s_barrier
	buffer_gl0_inv
	s_and_saveexec_b32 s2, s1
	s_cbranch_execz .LBB182_95
; %bb.94:
	ds_read2_b64 v[2:5], v25 offset1:1
	ds_read2_b64 v[6:9], v25 offset0:2 offset1:3
	ds_read2_b64 v[10:13], v25 offset0:4 offset1:5
	s_waitcnt lgkmcnt(2)
	v_add_f32_e32 v2, v60, v2
	v_add_f32_e32 v3, v61, v3
	;; [unrolled: 1-line block ×4, first 2 shown]
	ds_read2_b64 v[2:5], v25 offset0:6 offset1:7
	s_waitcnt lgkmcnt(2)
	v_add_f32_e32 v6, v20, v6
	v_add_f32_e32 v7, v21, v7
	v_add_f32_e32 v6, v6, v8
	v_add_f32_e32 v7, v7, v9
	s_waitcnt lgkmcnt(1)
	v_add_f32_e32 v6, v6, v10
	v_add_f32_e32 v7, v7, v11
	v_add_f32_e32 v6, v6, v12
	v_add_f32_e32 v7, v7, v13
	;; [unrolled: 5-line block ×3, first 2 shown]
.LBB182_95:
	s_or_b32 exec_lo, exec_lo, s2
	s_load_dwordx2 s[2:3], s[4:5], 0x68
	s_mul_hi_u32 s1, s24, s18
	s_mul_i32 s25, s25, s18
	s_mul_i32 s4, s24, s18
	s_add_i32 s1, s1, s25
	s_mul_hi_u32 s5, s4, s19
	s_mul_i32 s1, s1, s19
	s_mul_i32 s4, s4, s19
	s_add_i32 s5, s5, s1
	s_mul_hi_i32 s9, s24, s6
	s_lshl_b64 s[4:5], s[4:5], 3
	s_mul_i32 s8, s24, s6
	v_lshlrev_b32_e32 v95, 3, v0
	s_waitcnt lgkmcnt(0)
	s_barrier
	buffer_gl0_inv
	s_add_u32 s1, s2, s4
	s_addc_u32 s2, s3, s5
	s_lshl_b64 s[4:5], s[8:9], 3
	s_add_u32 s3, s1, s4
	s_addc_u32 s7, s2, s5
	s_add_i32 s1, s6, 1
	s_cmp_ge_u32 s1, s19
	s_cbranch_scc1 .LBB182_153
; %bb.96:
	v_lshrrev_b32_e32 v2, 4, v24
	v_lshlrev_b32_e32 v12, 5, v1
	v_and_b32_e32 v4, 48, v0
	v_and_b32_e32 v6, 15, v0
	s_mul_i32 s1, s10, s15
	v_lshlrev_b32_e32 v3, 5, v2
	v_add_nc_u32_e32 v7, 0x110, v12
	v_lshlrev_b32_e32 v4, 3, v4
	v_add_nc_u32_e32 v9, 0x108, v12
	s_mul_hi_u32 s2, s10, s14
	v_mad_u32_u24 v103, 0x218, v6, v3
	v_mul_i32_i24_e32 v13, 0xffffffe8, v2
	v_mad_u64_u32 v[2:3], null, s16, v7, 0
	v_mad_u32_u24 v104, 0x218, v6, v4
	v_mad_u64_u32 v[4:5], null, s16, v9, 0
	s_mul_i32 s4, s11, s14
	s_add_i32 s1, s2, s1
	v_or_b32_e32 v8, 0x78, v95
	s_add_i32 s5, s1, s4
	s_mul_i32 s4, s10, s14
	v_cmp_gt_u32_e64 s1, 64, v24
	s_lshl_b64 s[4:5], s[4:5], 3
	v_mad_u32_u24 v105, 0x218, v6, v8
	v_sub_co_u32 v97, vcc_lo, v16, s4
	v_mad_u64_u32 v[6:7], null, s17, v7, v[3:4]
	v_mov_b32_e32 v3, v5
	v_subrev_co_ci_u32_e64 v98, null, s5, v17, vcc_lo
	v_add_nc_u32_e32 v16, 0x100, v12
	v_add_nc_u32_e32 v17, 0x118, v12
	v_mad_u64_u32 v[9:10], null, s17, v9, v[3:4]
	v_sub_co_u32 v20, vcc_lo, v2, v14
	v_mad_u64_u32 v[7:8], null, s16, v16, 0
	v_mad_u64_u32 v[10:11], null, s16, v17, 0
	v_sub_co_ci_u32_e64 v21, null, v6, v15, vcc_lo
	v_sub_co_u32 v22, vcc_lo, v4, v14
	v_mov_b32_e32 v2, v8
	v_add_nc_u32_e32 v8, 0x190, v12
	v_mov_b32_e32 v3, v11
	v_sub_co_ci_u32_e64 v23, null, v9, v15, vcc_lo
	v_add_nc_u32_e32 v9, 0x188, v12
	v_sub_co_u32 v11, vcc_lo, v7, v14
	v_mad_u64_u32 v[4:5], null, s17, v16, v[2:3]
	v_mad_u64_u32 v[5:6], null, s16, v8, 0
	v_add_nc_u32_e32 v25, 0x180, v12
	v_add_nc_u32_e32 v26, 0x198, v12
	;; [unrolled: 1-line block ×4, first 2 shown]
	v_mad_u64_u32 v[2:3], null, s17, v17, v[3:4]
	v_mov_b32_e32 v3, v6
	v_mad_u64_u32 v[6:7], null, s16, v9, 0
	v_sub_co_ci_u32_e64 v16, null, v4, v15, vcc_lo
	v_sub_co_u32 v17, vcc_lo, v10, v14
	v_sub_co_ci_u32_e64 v24, null, v2, v15, vcc_lo
	v_mad_u64_u32 v[2:3], null, s17, v8, v[3:4]
	v_mov_b32_e32 v3, v7
	v_mad_u64_u32 v[7:8], null, s16, v25, 0
	v_sub_co_u32 v27, vcc_lo, v5, v14
	v_mad_u64_u32 v[3:4], null, s17, v9, v[3:4]
	v_mad_u64_u32 v[9:10], null, s16, v26, 0
	v_sub_co_ci_u32_e64 v28, null, v2, v15, vcc_lo
	v_sub_co_u32 v29, vcc_lo, v6, v14
	v_mov_b32_e32 v2, v8
	v_sub_co_ci_u32_e64 v30, null, v3, v15, vcc_lo
	v_mov_b32_e32 v3, v10
	v_add_nc_u32_e32 v8, 0x210, v12
	v_add_nc_u32_e32 v10, 0x208, v12
	v_add_nc_u32_e32 v100, 0x2180, v12
	v_add_nc_u32_e32 v41, 0x280, v12
	v_mad_u64_u32 v[4:5], null, s17, v25, v[2:3]
	v_mad_u64_u32 v[5:6], null, s16, v8, 0
	v_sub_co_u32 v25, vcc_lo, v7, v14
	v_lshlrev_b32_e32 v96, 2, v1
	v_add_nc_u32_e32 v99, 0x2180, v95
	v_mad_u64_u32 v[2:3], null, s17, v26, v[3:4]
	v_mov_b32_e32 v3, v6
	v_mad_u64_u32 v[6:7], null, s16, v10, 0
	v_sub_co_ci_u32_e64 v26, null, v4, v15, vcc_lo
	v_sub_co_u32 v31, vcc_lo, v9, v14
	v_sub_co_ci_u32_e64 v32, null, v2, v15, vcc_lo
	v_mad_u64_u32 v[2:3], null, s17, v8, v[3:4]
	v_mov_b32_e32 v3, v7
	v_mad_u64_u32 v[7:8], null, s16, v33, 0
	v_sub_co_u32 v35, vcc_lo, v5, v14
	v_mad_u64_u32 v[3:4], null, s17, v10, v[3:4]
	v_mad_u64_u32 v[9:10], null, s16, v34, 0
	v_sub_co_ci_u32_e64 v36, null, v2, v15, vcc_lo
	v_sub_co_u32 v37, vcc_lo, v6, v14
	v_mov_b32_e32 v2, v8
	v_sub_co_ci_u32_e64 v38, null, v3, v15, vcc_lo
	v_mov_b32_e32 v3, v10
	v_add_nc_u32_e32 v8, 0x290, v12
	v_add_nc_u32_e32 v10, 0x288, v12
	;; [unrolled: 1-line block ×4, first 2 shown]
	v_mad_u64_u32 v[4:5], null, s17, v33, v[2:3]
	v_mad_u64_u32 v[5:6], null, s16, v8, 0
	v_sub_co_u32 v33, vcc_lo, v7, v14
	v_mad_u32_u24 v102, 0x860, v1, v95
	v_or_b32_e32 v106, 3, v96
	v_mad_u64_u32 v[2:3], null, s17, v34, v[3:4]
	v_mov_b32_e32 v3, v6
	v_mad_u64_u32 v[6:7], null, s16, v10, 0
	v_sub_co_ci_u32_e64 v34, null, v4, v15, vcc_lo
	v_sub_co_u32 v39, vcc_lo, v9, v14
	v_sub_co_ci_u32_e64 v40, null, v2, v15, vcc_lo
	v_mad_u64_u32 v[2:3], null, s17, v8, v[3:4]
	v_mov_b32_e32 v3, v7
	v_mad_u64_u32 v[7:8], null, s16, v41, 0
	v_sub_co_u32 v42, vcc_lo, v5, v14
	v_mad_u64_u32 v[3:4], null, s17, v10, v[3:4]
	v_mad_u64_u32 v[9:10], null, s16, v12, 0
	v_sub_co_ci_u32_e64 v43, null, v2, v15, vcc_lo
	v_sub_co_u32 v6, vcc_lo, v6, v14
	v_mov_b32_e32 v2, v8
	v_sub_co_ci_u32_e64 v8, null, v3, v15, vcc_lo
	v_mov_b32_e32 v3, v10
	v_add_nc_u32_e32 v107, 16, v96
	v_add_nc_u32_e32 v108, 17, v96
	;; [unrolled: 1-line block ×4, first 2 shown]
	v_mad_u64_u32 v[4:5], null, s17, v41, v[2:3]
	v_add_nc_u32_e32 v111, 32, v96
	v_add_nc_u32_e32 v112, 33, v96
	;; [unrolled: 1-line block ×6, first 2 shown]
	v_mad_u64_u32 v[2:3], null, s17, v12, v[3:4]
	v_sub_co_u32 v3, vcc_lo, v7, v14
	v_sub_co_ci_u32_e64 v4, null, v4, v15, vcc_lo
	v_sub_co_u32 v5, vcc_lo, v9, v14
	v_sub_co_ci_u32_e64 v2, null, v2, v15, vcc_lo
	v_add_co_u32 v116, vcc_lo, v18, v20
	v_add_co_ci_u32_e64 v117, null, v19, v21, vcc_lo
	v_add_co_u32 v118, vcc_lo, v18, v22
	v_add_co_ci_u32_e64 v119, null, v19, v23, vcc_lo
	;; [unrolled: 2-line block ×16, first 2 shown]
	v_add_nc_u32_e32 v149, 50, v96
	v_add_nc_u32_e32 v150, v103, v13
	;; [unrolled: 1-line block ×3, first 2 shown]
	v_mov_b32_e32 v62, 0
	s_add_i32 s8, s19, -2
	s_add_i32 s9, s14, 64
	s_lshl_b64 s[4:5], s[16:17], 9
	s_cmp_eq_u32 s8, s6
	s_cselect_b32 s13, s22, 0
	s_and_saveexec_b32 s2, s0
	s_cbranch_execz .LBB182_102
	s_branch .LBB182_98
.LBB182_97:                             ;   in Loop: Header=BB182_102 Depth=1
	s_mov_b32 s6, s2
	s_cmp_eq_u32 s8, s6
	s_cselect_b32 s13, s22, 0
	s_and_saveexec_b32 s2, s0
	s_cbranch_execz .LBB182_102
.LBB182_98:
	v_cmp_le_i32_e32 vcc_lo, s13, v0
	s_cmp_lg_u32 s13, 0
	s_cselect_b32 s14, -1, 0
	s_and_b32 s14, s14, vcc_lo
	s_and_saveexec_b32 s15, s14
	s_xor_b32 s14, exec_lo, s15
; %bb.99:
	v_mov_b32_e32 v63, v62
	ds_write_b64 v99, v[62:63]
; %bb.100:
	s_andn2_saveexec_b32 s14, s14
	s_cbranch_execz .LBB182_102
; %bb.101:
	s_ashr_i32 s14, s9, 31
	s_mul_hi_u32 s15, s10, s9
	s_mul_i32 s14, s10, s14
	s_mul_i32 s16, s11, s9
	s_add_i32 s15, s15, s14
	s_mul_i32 s14, s10, s9
	s_add_i32 s15, s15, s16
	s_lshl_b64 s[14:15], s[14:15], 3
	v_add_co_u32 v2, vcc_lo, v97, s14
	v_add_co_ci_u32_e64 v3, null, s15, v98, vcc_lo
	flat_load_dwordx2 v[2:3], v[2:3]
	s_waitcnt vmcnt(0) lgkmcnt(0)
	ds_write_b64 v99, v[2:3]
.LBB182_102:                            ; =>This Inner Loop Header: Depth=1
	s_or_b32 exec_lo, exec_lo, s2
	s_cmp_eq_u32 s13, 0
	v_add_co_u32 v2, vcc_lo, v120, v95
	s_cselect_b32 s14, -1, 0
	s_cmp_lg_u32 s13, 0
	v_add_co_ci_u32_e64 v3, null, 0, v121, vcc_lo
	s_cselect_b32 s2, -1, 0
	s_waitcnt lgkmcnt(0)
	s_and_b32 vcc_lo, exec_lo, s2
	s_barrier
	buffer_gl0_inv
	s_cbranch_vccz .LBB182_110
; %bb.103:                              ;   in Loop: Header=BB182_102 Depth=1
	v_mov_b32_e32 v63, 0
	v_mov_b32_e32 v65, 0
	;; [unrolled: 1-line block ×4, first 2 shown]
	s_mov_b32 s15, exec_lo
	v_cmpx_gt_i32_e64 s13, v96
	s_cbranch_execz .LBB182_105
; %bb.104:                              ;   in Loop: Header=BB182_102 Depth=1
	flat_load_dwordx2 v[65:66], v[2:3]
.LBB182_105:                            ;   in Loop: Header=BB182_102 Depth=1
	s_or_b32 exec_lo, exec_lo, s15
	v_or_b32_e32 v4, 1, v96
	s_mov_b32 s15, exec_lo
	v_cmpx_gt_i32_e64 s13, v4
	s_cbranch_execz .LBB182_107
; %bb.106:                              ;   in Loop: Header=BB182_102 Depth=1
	v_add_co_u32 v4, vcc_lo, v118, v95
	v_add_co_ci_u32_e64 v5, null, 0, v119, vcc_lo
	flat_load_dwordx2 v[63:64], v[4:5]
.LBB182_107:                            ;   in Loop: Header=BB182_102 Depth=1
	s_or_b32 exec_lo, exec_lo, s15
	v_mov_b32_e32 v67, 0
	v_or_b32_e32 v4, 2, v96
	v_mov_b32_e32 v68, 0
	s_mov_b32 s15, exec_lo
	v_cmpx_gt_i32_e64 s13, v4
	s_cbranch_execz .LBB182_109
; %bb.108:                              ;   in Loop: Header=BB182_102 Depth=1
	v_add_co_u32 v4, vcc_lo, v116, v95
	v_add_co_ci_u32_e64 v5, null, 0, v117, vcc_lo
	flat_load_dwordx2 v[67:68], v[4:5]
.LBB182_109:                            ;   in Loop: Header=BB182_102 Depth=1
	s_or_b32 exec_lo, exec_lo, s15
	v_cmp_gt_i32_e64 s15, s13, v106
	s_branch .LBB182_112
.LBB182_110:                            ;   in Loop: Header=BB182_102 Depth=1
	s_mov_b32 s15, 0
                                        ; implicit-def: $vgpr67_vgpr68
                                        ; implicit-def: $vgpr63_vgpr64
                                        ; implicit-def: $vgpr65_vgpr66
	s_cbranch_execz .LBB182_112
; %bb.111:                              ;   in Loop: Header=BB182_102 Depth=1
	v_add_co_u32 v4, vcc_lo, v118, v95
	v_add_co_ci_u32_e64 v5, null, 0, v119, vcc_lo
	v_add_co_u32 v6, vcc_lo, v116, v95
	v_add_co_ci_u32_e64 v7, null, 0, v117, vcc_lo
	s_waitcnt vmcnt(0) lgkmcnt(0)
	flat_load_dwordx2 v[65:66], v[2:3]
	flat_load_dwordx2 v[63:64], v[4:5]
	;; [unrolled: 1-line block ×3, first 2 shown]
	s_or_b32 s15, s15, exec_lo
.LBB182_112:                            ;   in Loop: Header=BB182_102 Depth=1
	v_mov_b32_e32 v69, 0
	v_mov_b32_e32 v70, 0
	s_and_saveexec_b32 s16, s15
	s_cbranch_execz .LBB182_114
; %bb.113:                              ;   in Loop: Header=BB182_102 Depth=1
	v_add_co_u32 v2, vcc_lo, v122, v95
	v_add_co_ci_u32_e64 v3, null, 0, v123, vcc_lo
	flat_load_dwordx2 v[69:70], v[2:3]
.LBB182_114:                            ;   in Loop: Header=BB182_102 Depth=1
	s_or_b32 exec_lo, exec_lo, s16
	ds_read_b64 v[2:3], v101
	v_cndmask_b32_e64 v42, 0, 1, s2
	s_waitcnt vmcnt(0) lgkmcnt(0)
	v_mul_f32_e32 v4, v3, v66
	v_mul_f32_e32 v11, v3, v65
	;; [unrolled: 1-line block ×8, first 2 shown]
	v_fma_f32 v10, v2, v65, -v4
	v_fmac_f32_e32 v11, v2, v66
	v_fma_f32 v12, v2, v63, -v5
	v_fmac_f32_e32 v13, v2, v64
	;; [unrolled: 2-line block ×4, first 2 shown]
	ds_read_b128 v[6:9], v100
	ds_read_b128 v[2:5], v100 offset:16
	ds_write2_b64 v102, v[10:11], v[12:13] offset1:67
	ds_write2_b64 v102, v[14:15], v[16:17] offset0:134 offset1:201
	s_waitcnt lgkmcnt(0)
	s_barrier
	buffer_gl0_inv
	ds_read2_b64 v[22:25], v103 offset1:1
	ds_read2_b64 v[14:17], v103 offset0:2 offset1:3
	v_add_co_u32 v10, vcc_lo, v128, v95
	v_add_co_ci_u32_e64 v11, null, 0, v129, vcc_lo
	s_andn2_b32 vcc_lo, exec_lo, s2
	s_waitcnt lgkmcnt(0)
	s_barrier
	buffer_gl0_inv
	s_cbranch_vccnz .LBB182_122
; %bb.115:                              ;   in Loop: Header=BB182_102 Depth=1
	v_mov_b32_e32 v71, 0
	v_mov_b32_e32 v73, 0
	;; [unrolled: 1-line block ×4, first 2 shown]
	s_mov_b32 s2, exec_lo
	v_cmpx_gt_i32_e64 s13, v107
	s_cbranch_execz .LBB182_117
; %bb.116:                              ;   in Loop: Header=BB182_102 Depth=1
	flat_load_dwordx2 v[73:74], v[10:11]
.LBB182_117:                            ;   in Loop: Header=BB182_102 Depth=1
	s_or_b32 exec_lo, exec_lo, s2
	s_mov_b32 s2, exec_lo
	v_cmpx_gt_i32_e64 s13, v108
	s_cbranch_execz .LBB182_119
; %bb.118:                              ;   in Loop: Header=BB182_102 Depth=1
	v_add_co_u32 v12, vcc_lo, v126, v95
	v_add_co_ci_u32_e64 v13, null, 0, v127, vcc_lo
	flat_load_dwordx2 v[71:72], v[12:13]
.LBB182_119:                            ;   in Loop: Header=BB182_102 Depth=1
	s_or_b32 exec_lo, exec_lo, s2
	v_mov_b32_e32 v75, 0
	v_mov_b32_e32 v76, 0
	s_mov_b32 s2, exec_lo
	v_cmpx_gt_i32_e64 s13, v109
	s_cbranch_execz .LBB182_121
; %bb.120:                              ;   in Loop: Header=BB182_102 Depth=1
	v_add_co_u32 v12, vcc_lo, v124, v95
	v_add_co_ci_u32_e64 v13, null, 0, v125, vcc_lo
	flat_load_dwordx2 v[75:76], v[12:13]
.LBB182_121:                            ;   in Loop: Header=BB182_102 Depth=1
	s_or_b32 exec_lo, exec_lo, s2
	v_cmp_gt_i32_e64 s2, s13, v110
	s_branch .LBB182_124
.LBB182_122:                            ;   in Loop: Header=BB182_102 Depth=1
	s_mov_b32 s2, 0
                                        ; implicit-def: $vgpr75_vgpr76
                                        ; implicit-def: $vgpr71_vgpr72
                                        ; implicit-def: $vgpr73_vgpr74
	s_cbranch_execz .LBB182_124
; %bb.123:                              ;   in Loop: Header=BB182_102 Depth=1
	v_add_co_u32 v12, vcc_lo, v126, v95
	v_add_co_ci_u32_e64 v13, null, 0, v127, vcc_lo
	v_add_co_u32 v18, vcc_lo, v124, v95
	v_add_co_ci_u32_e64 v19, null, 0, v125, vcc_lo
	s_waitcnt vmcnt(0) lgkmcnt(0)
	flat_load_dwordx2 v[73:74], v[10:11]
	flat_load_dwordx2 v[71:72], v[12:13]
	flat_load_dwordx2 v[75:76], v[18:19]
	s_or_b32 s2, s2, exec_lo
.LBB182_124:                            ;   in Loop: Header=BB182_102 Depth=1
	v_mov_b32_e32 v77, 0
	v_mov_b32_e32 v78, 0
	s_and_saveexec_b32 s15, s2
	s_cbranch_execz .LBB182_126
; %bb.125:                              ;   in Loop: Header=BB182_102 Depth=1
	v_add_co_u32 v10, vcc_lo, v130, v95
	v_add_co_ci_u32_e64 v11, null, 0, v131, vcc_lo
	flat_load_dwordx2 v[77:78], v[10:11]
.LBB182_126:                            ;   in Loop: Header=BB182_102 Depth=1
	s_or_b32 exec_lo, exec_lo, s15
	ds_read_b64 v[10:11], v101
	v_cmp_ne_u32_e32 vcc_lo, 1, v42
	s_and_b32 vcc_lo, exec_lo, vcc_lo
	s_waitcnt vmcnt(0) lgkmcnt(0)
	v_mul_f32_e32 v12, v11, v74
	v_mul_f32_e32 v27, v11, v73
	;; [unrolled: 1-line block ×8, first 2 shown]
	v_fma_f32 v26, v10, v73, -v12
	v_fmac_f32_e32 v27, v10, v74
	v_fma_f32 v28, v10, v71, -v13
	v_fmac_f32_e32 v29, v10, v72
	;; [unrolled: 2-line block ×4, first 2 shown]
	ds_read_b128 v[18:21], v100 offset:128
	ds_read_b128 v[10:13], v100 offset:144
	ds_write2_b64 v102, v[26:27], v[28:29] offset1:67
	ds_write2_b64 v102, v[30:31], v[32:33] offset0:134 offset1:201
	s_waitcnt lgkmcnt(0)
	s_barrier
	buffer_gl0_inv
	ds_read2_b64 v[38:41], v103 offset1:1
	ds_read2_b64 v[34:37], v103 offset0:2 offset1:3
	v_add_co_u32 v26, s2, v136, v95
	v_add_co_ci_u32_e64 v27, null, 0, v137, s2
	s_waitcnt lgkmcnt(0)
	s_barrier
	buffer_gl0_inv
	s_cbranch_vccnz .LBB182_134
; %bb.127:                              ;   in Loop: Header=BB182_102 Depth=1
	v_mov_b32_e32 v79, 0
	v_mov_b32_e32 v81, 0
	;; [unrolled: 1-line block ×4, first 2 shown]
	s_mov_b32 s2, exec_lo
	v_cmpx_gt_i32_e64 s13, v111
	s_cbranch_execz .LBB182_129
; %bb.128:                              ;   in Loop: Header=BB182_102 Depth=1
	flat_load_dwordx2 v[81:82], v[26:27]
.LBB182_129:                            ;   in Loop: Header=BB182_102 Depth=1
	s_or_b32 exec_lo, exec_lo, s2
	s_mov_b32 s2, exec_lo
	v_cmpx_gt_i32_e64 s13, v112
	s_cbranch_execz .LBB182_131
; %bb.130:                              ;   in Loop: Header=BB182_102 Depth=1
	v_add_co_u32 v28, vcc_lo, v134, v95
	v_add_co_ci_u32_e64 v29, null, 0, v135, vcc_lo
	flat_load_dwordx2 v[79:80], v[28:29]
.LBB182_131:                            ;   in Loop: Header=BB182_102 Depth=1
	s_or_b32 exec_lo, exec_lo, s2
	v_mov_b32_e32 v83, 0
	v_mov_b32_e32 v84, 0
	s_mov_b32 s2, exec_lo
	v_cmpx_gt_i32_e64 s13, v113
	s_cbranch_execz .LBB182_133
; %bb.132:                              ;   in Loop: Header=BB182_102 Depth=1
	v_add_co_u32 v28, vcc_lo, v132, v95
	v_add_co_ci_u32_e64 v29, null, 0, v133, vcc_lo
	flat_load_dwordx2 v[83:84], v[28:29]
.LBB182_133:                            ;   in Loop: Header=BB182_102 Depth=1
	s_or_b32 exec_lo, exec_lo, s2
	v_cmp_gt_i32_e64 s2, s13, v114
	s_branch .LBB182_136
.LBB182_134:                            ;   in Loop: Header=BB182_102 Depth=1
	s_mov_b32 s2, 0
                                        ; implicit-def: $vgpr83_vgpr84
                                        ; implicit-def: $vgpr79_vgpr80
                                        ; implicit-def: $vgpr81_vgpr82
	s_cbranch_execz .LBB182_136
; %bb.135:                              ;   in Loop: Header=BB182_102 Depth=1
	v_add_co_u32 v28, vcc_lo, v134, v95
	v_add_co_ci_u32_e64 v29, null, 0, v135, vcc_lo
	v_add_co_u32 v30, vcc_lo, v132, v95
	v_add_co_ci_u32_e64 v31, null, 0, v133, vcc_lo
	s_waitcnt vmcnt(0) lgkmcnt(0)
	flat_load_dwordx2 v[81:82], v[26:27]
	flat_load_dwordx2 v[79:80], v[28:29]
	flat_load_dwordx2 v[83:84], v[30:31]
	s_or_b32 s2, s2, exec_lo
.LBB182_136:                            ;   in Loop: Header=BB182_102 Depth=1
	v_mov_b32_e32 v85, 0
	v_mov_b32_e32 v86, 0
	s_and_saveexec_b32 s15, s2
	s_cbranch_execz .LBB182_138
; %bb.137:                              ;   in Loop: Header=BB182_102 Depth=1
	v_add_co_u32 v26, vcc_lo, v138, v95
	v_add_co_ci_u32_e64 v27, null, 0, v139, vcc_lo
	flat_load_dwordx2 v[85:86], v[26:27]
.LBB182_138:                            ;   in Loop: Header=BB182_102 Depth=1
	s_or_b32 exec_lo, exec_lo, s15
	ds_read_b64 v[26:27], v101
	v_cmp_ne_u32_e32 vcc_lo, 1, v42
	v_add_co_u32 v42, s2, v144, v95
	s_and_b32 vcc_lo, exec_lo, vcc_lo
	s_waitcnt vmcnt(0) lgkmcnt(0)
	v_mul_f32_e32 v28, v27, v82
	v_mul_f32_e32 v44, v27, v81
	;; [unrolled: 1-line block ×8, first 2 shown]
	v_fma_f32 v43, v26, v81, -v28
	v_fmac_f32_e32 v44, v26, v82
	v_fma_f32 v45, v26, v79, -v29
	v_fmac_f32_e32 v46, v26, v80
	;; [unrolled: 2-line block ×4, first 2 shown]
	ds_read_b128 v[30:33], v100 offset:256
	ds_read_b128 v[26:29], v100 offset:272
	ds_write2_b64 v102, v[43:44], v[45:46] offset1:67
	ds_write2_b64 v102, v[47:48], v[49:50] offset0:134 offset1:201
	s_waitcnt lgkmcnt(0)
	s_barrier
	buffer_gl0_inv
	ds_read2_b64 v[54:57], v103 offset1:1
	ds_read2_b64 v[50:53], v103 offset0:2 offset1:3
	v_add_co_ci_u32_e64 v43, null, 0, v145, s2
	s_waitcnt lgkmcnt(0)
	s_barrier
	buffer_gl0_inv
	s_cbranch_vccnz .LBB182_146
; %bb.139:                              ;   in Loop: Header=BB182_102 Depth=1
	v_mov_b32_e32 v87, 0
	v_mov_b32_e32 v89, 0
	;; [unrolled: 1-line block ×4, first 2 shown]
	s_mov_b32 s2, exec_lo
	v_cmpx_gt_i32_e64 s13, v115
	s_cbranch_execz .LBB182_141
; %bb.140:                              ;   in Loop: Header=BB182_102 Depth=1
	flat_load_dwordx2 v[89:90], v[42:43]
.LBB182_141:                            ;   in Loop: Header=BB182_102 Depth=1
	s_or_b32 exec_lo, exec_lo, s2
	s_mov_b32 s2, exec_lo
	v_cmpx_gt_i32_e64 s13, v148
	s_cbranch_execz .LBB182_143
; %bb.142:                              ;   in Loop: Header=BB182_102 Depth=1
	v_add_co_u32 v44, vcc_lo, v142, v95
	v_add_co_ci_u32_e64 v45, null, 0, v143, vcc_lo
	flat_load_dwordx2 v[87:88], v[44:45]
.LBB182_143:                            ;   in Loop: Header=BB182_102 Depth=1
	s_or_b32 exec_lo, exec_lo, s2
	v_mov_b32_e32 v91, 0
	v_mov_b32_e32 v92, 0
	s_mov_b32 s2, exec_lo
	v_cmpx_gt_i32_e64 s13, v149
	s_cbranch_execz .LBB182_145
; %bb.144:                              ;   in Loop: Header=BB182_102 Depth=1
	v_add_co_u32 v44, vcc_lo, v140, v95
	v_add_co_ci_u32_e64 v45, null, 0, v141, vcc_lo
	flat_load_dwordx2 v[91:92], v[44:45]
.LBB182_145:                            ;   in Loop: Header=BB182_102 Depth=1
	s_or_b32 exec_lo, exec_lo, s2
	v_cmp_gt_i32_e64 s2, s13, v151
	s_branch .LBB182_148
.LBB182_146:                            ;   in Loop: Header=BB182_102 Depth=1
	s_mov_b32 s2, 0
                                        ; implicit-def: $vgpr91_vgpr92
                                        ; implicit-def: $vgpr87_vgpr88
                                        ; implicit-def: $vgpr89_vgpr90
	s_cbranch_execz .LBB182_148
; %bb.147:                              ;   in Loop: Header=BB182_102 Depth=1
	v_add_co_u32 v44, vcc_lo, v142, v95
	v_add_co_ci_u32_e64 v45, null, 0, v143, vcc_lo
	v_add_co_u32 v46, vcc_lo, v140, v95
	v_add_co_ci_u32_e64 v47, null, 0, v141, vcc_lo
	s_waitcnt vmcnt(0) lgkmcnt(0)
	flat_load_dwordx2 v[89:90], v[42:43]
	flat_load_dwordx2 v[87:88], v[44:45]
	;; [unrolled: 1-line block ×3, first 2 shown]
	s_or_b32 s2, s2, exec_lo
.LBB182_148:                            ;   in Loop: Header=BB182_102 Depth=1
	v_mov_b32_e32 v93, 0
	v_mov_b32_e32 v94, 0
	s_and_saveexec_b32 s15, s2
	s_cbranch_execz .LBB182_150
; %bb.149:                              ;   in Loop: Header=BB182_102 Depth=1
	v_add_co_u32 v42, vcc_lo, v146, v95
	v_add_co_ci_u32_e64 v43, null, 0, v147, vcc_lo
	flat_load_dwordx2 v[93:94], v[42:43]
.LBB182_150:                            ;   in Loop: Header=BB182_102 Depth=1
	s_or_b32 exec_lo, exec_lo, s15
	ds_read_b64 v[42:43], v101
	v_add_f32_e32 v54, 0, v54
	v_add_f32_e32 v55, 0, v55
	;; [unrolled: 1-line block ×6, first 2 shown]
	v_cmp_gt_i32_e32 vcc_lo, s13, v0
	v_add_f32_e32 v38, v38, v40
	v_add_f32_e32 v23, v23, v25
	;; [unrolled: 1-line block ×4, first 2 shown]
	s_or_b32 s2, s14, vcc_lo
	v_add_f32_e32 v34, v38, v34
	v_add_f32_e32 v41, v23, v15
	;; [unrolled: 1-line block ×4, first 2 shown]
	s_and_b32 s13, s1, s2
	v_add_f32_e32 v22, v34, v36
	v_add_f32_e32 v17, v41, v17
	s_waitcnt vmcnt(0) lgkmcnt(0)
	v_mul_f32_e32 v44, v43, v90
	v_mul_f32_e32 v153, v43, v89
	v_mul_f32_e32 v45, v43, v88
	v_mul_f32_e32 v155, v43, v87
	v_mul_f32_e32 v46, v43, v92
	v_mul_f32_e32 v157, v43, v91
	v_mul_f32_e32 v47, v43, v94
	v_mul_f32_e32 v159, v42, v94
	v_fma_f32 v152, v42, v89, -v44
	v_fmac_f32_e32 v153, v42, v90
	v_fma_f32 v154, v42, v87, -v45
	v_fmac_f32_e32 v155, v42, v88
	;; [unrolled: 2-line block ×4, first 2 shown]
	ds_read_b128 v[46:49], v100 offset:384
	ds_read_b128 v[42:45], v100 offset:400
	ds_write2_b64 v102, v[152:153], v[154:155] offset1:67
	ds_write2_b64 v102, v[156:157], v[158:159] offset0:134 offset1:201
	s_waitcnt lgkmcnt(0)
	s_barrier
	buffer_gl0_inv
	ds_read2_b64 v[152:155], v103 offset1:1
	v_add_f32_e32 v156, v54, v56
	v_add_f32_e32 v157, v55, v57
	ds_read2_b64 v[54:57], v103 offset0:2 offset1:3
	v_add_f32_e32 v16, v39, v16
	s_waitcnt lgkmcnt(0)
	v_add_f32_e32 v24, v156, v50
	v_add_f32_e32 v25, v157, v51
	s_barrier
	buffer_gl0_inv
	v_add_f32_e32 v14, v24, v52
	v_add_f32_e32 v15, v25, v53
	;; [unrolled: 1-line block ×11, first 2 shown]
	ds_write2_b64 v150, v[16:17], v[22:23] offset1:16
	ds_write2_b64 v150, v[14:15], v[24:25] offset0:32 offset1:48
	s_waitcnt lgkmcnt(0)
	s_barrier
	buffer_gl0_inv
	s_and_saveexec_b32 s2, s13
	s_cbranch_execz .LBB182_152
; %bb.151:                              ;   in Loop: Header=BB182_102 Depth=1
	ds_read_b64 v[38:39], v104
	ds_read2_b64 v[14:17], v104 offset0:1 offset1:2
	ds_read2_b64 v[22:25], v104 offset0:3 offset1:4
	;; [unrolled: 1-line block ×3, first 2 shown]
	s_waitcnt lgkmcnt(2)
	v_add_f32_e32 v14, v14, v38
	v_add_f32_e32 v15, v15, v39
	v_add_f32_e32 v38, v16, v14
	v_add_f32_e32 v39, v17, v15
	ds_read2_b64 v[14:17], v104 offset0:7 offset1:8
	s_waitcnt lgkmcnt(2)
	v_add_f32_e32 v22, v38, v22
	v_add_f32_e32 v23, v39, v23
	v_add_f32_e32 v38, v22, v24
	v_add_f32_e32 v39, v23, v25
	ds_read2_b64 v[22:25], v104 offset0:9 offset1:10
	;; [unrolled: 6-line block ×4, first 2 shown]
	s_waitcnt lgkmcnt(2)
	v_add_f32_e32 v22, v38, v22
	v_add_f32_e32 v23, v39, v23
	v_add_f32_e32 v24, v22, v24
	v_add_f32_e32 v25, v23, v25
	ds_read_b64 v[22:23], v105
	s_waitcnt lgkmcnt(2)
	v_add_f32_e32 v24, v24, v34
	v_add_f32_e32 v25, v25, v35
	;; [unrolled: 1-line block ×4, first 2 shown]
	v_add_nc_u32_e32 v24, s9, v0
	s_waitcnt lgkmcnt(1)
	v_add_f32_e32 v14, v34, v14
	v_add_f32_e32 v15, v25, v15
	v_ashrrev_i32_e32 v25, 31, v24
	v_add_f32_e32 v16, v14, v16
	v_add_f32_e32 v17, v15, v17
	v_lshlrev_b64 v[14:15], 3, v[24:25]
	s_waitcnt lgkmcnt(0)
	v_add_f32_e32 v16, v16, v22
	v_add_f32_e32 v17, v17, v23
	v_add_co_u32 v14, vcc_lo, s3, v14
	v_add_co_ci_u32_e64 v15, null, s7, v15, vcc_lo
	global_store_dwordx2 v[14:15], v[16:17], off
.LBB182_152:                            ;   in Loop: Header=BB182_102 Depth=1
	s_or_b32 exec_lo, exec_lo, s2
	v_mul_f32_e32 v14, v7, v66
	v_mul_f32_e32 v7, v7, v65
	;; [unrolled: 1-line block ×5, first 2 shown]
	v_fma_f32 v14, v6, v65, -v14
	v_fmac_f32_e32 v7, v6, v66
	v_fma_f32 v15, v8, v63, -v15
	v_mul_f32_e32 v3, v3, v67
	v_mul_f32_e32 v17, v5, v70
	v_add_f32_e32 v14, v60, v14
	v_fma_f32 v6, v2, v67, -v16
	v_fmac_f32_e32 v9, v8, v64
	v_add_f32_e32 v7, v61, v7
	v_mul_f32_e32 v5, v5, v69
	v_add_f32_e32 v14, v14, v15
	v_mul_f32_e32 v22, v19, v74
	v_fma_f32 v8, v4, v69, -v17
	v_fmac_f32_e32 v3, v2, v68
	v_add_f32_e32 v2, v7, v9
	v_add_f32_e32 v6, v14, v6
	v_mul_f32_e32 v19, v19, v73
	v_mul_f32_e32 v15, v21, v72
	v_fma_f32 v7, v18, v73, -v22
	v_fmac_f32_e32 v5, v4, v70
	v_add_f32_e32 v6, v6, v8
	v_add_f32_e32 v2, v2, v3
	v_mul_f32_e32 v14, v21, v71
	v_mul_f32_e32 v8, v11, v76
	v_fma_f32 v3, v20, v71, -v15
	v_add_f32_e32 v4, v6, v7
	v_fmac_f32_e32 v19, v18, v74
	v_add_f32_e32 v2, v2, v5
	v_mul_f32_e32 v6, v13, v78
	v_fma_f32 v5, v10, v75, -v8
	v_add_f32_e32 v3, v4, v3
	v_mul_f32_e32 v4, v11, v75
	v_fmac_f32_e32 v14, v20, v72
	v_add_f32_e32 v2, v2, v19
	v_fma_f32 v6, v12, v77, -v6
	v_add_f32_e32 v3, v3, v5
	v_mul_f32_e32 v5, v31, v82
	v_fmac_f32_e32 v4, v10, v76
	v_add_f32_e32 v2, v2, v14
	v_mul_f32_e32 v7, v13, v77
	v_add_f32_e32 v3, v3, v6
	v_fma_f32 v5, v30, v81, -v5
	v_mul_f32_e32 v6, v33, v80
	v_add_f32_e32 v2, v2, v4
	v_fmac_f32_e32 v7, v12, v78
	v_mul_f32_e32 v4, v31, v81
	v_add_f32_e32 v3, v3, v5
	v_fma_f32 v5, v32, v79, -v6
	v_mul_f32_e32 v6, v27, v84
	v_add_f32_e32 v2, v2, v7
	v_fmac_f32_e32 v4, v30, v82
	;; [unrolled: 6-line block ×3, first 2 shown]
	v_mul_f32_e32 v4, v27, v83
	v_add_co_u32 v116, vcc_lo, v116, s4
	v_add_f32_e32 v3, v3, v5
	v_fma_f32 v5, v28, v85, -v6
	v_add_f32_e32 v2, v2, v7
	v_fmac_f32_e32 v4, v26, v84
	v_mul_f32_e32 v6, v47, v90
	v_mul_f32_e32 v7, v29, v85
	v_add_co_ci_u32_e64 v117, null, s5, v117, vcc_lo
	v_add_co_u32 v118, vcc_lo, v118, s4
	v_add_co_ci_u32_e64 v119, null, s5, v119, vcc_lo
	v_add_co_u32 v120, vcc_lo, v120, s4
	;; [unrolled: 2-line block ×3, first 2 shown]
	v_add_f32_e32 v3, v3, v5
	v_add_f32_e32 v2, v2, v4
	v_fma_f32 v4, v46, v89, -v6
	v_mul_f32_e32 v5, v49, v88
	v_fmac_f32_e32 v7, v28, v86
	v_mul_f32_e32 v6, v47, v89
	v_add_co_ci_u32_e64 v123, null, s5, v123, vcc_lo
	v_add_co_u32 v124, vcc_lo, v124, s4
	v_add_co_ci_u32_e64 v125, null, s5, v125, vcc_lo
	v_add_co_u32 v126, vcc_lo, v126, s4
	v_add_f32_e32 v3, v3, v4
	v_fma_f32 v4, v48, v87, -v5
	v_add_f32_e32 v2, v2, v7
	v_mul_f32_e32 v5, v49, v87
	v_fmac_f32_e32 v6, v46, v90
	v_add_co_ci_u32_e64 v127, null, s5, v127, vcc_lo
	v_add_co_u32 v128, vcc_lo, v128, s4
	v_add_co_ci_u32_e64 v129, null, s5, v129, vcc_lo
	v_add_co_u32 v130, vcc_lo, v130, s4
	;; [unrolled: 2-line block ×3, first 2 shown]
	v_mul_f32_e32 v7, v43, v92
	v_add_f32_e32 v3, v3, v4
	v_mul_f32_e32 v4, v43, v91
	v_fmac_f32_e32 v5, v48, v88
	v_add_f32_e32 v2, v2, v6
	v_add_co_ci_u32_e64 v133, null, s5, v133, vcc_lo
	v_add_co_u32 v134, vcc_lo, v134, s4
	v_add_co_ci_u32_e64 v135, null, s5, v135, vcc_lo
	v_add_co_u32 v136, vcc_lo, v136, s4
	v_fma_f32 v6, v42, v91, -v7
	v_mul_f32_e32 v7, v45, v94
	v_mul_f32_e32 v8, v45, v93
	v_fmac_f32_e32 v4, v42, v92
	v_add_f32_e32 v2, v2, v5
	v_add_co_ci_u32_e64 v137, null, s5, v137, vcc_lo
	v_add_co_u32 v138, vcc_lo, v138, s4
	v_add_co_ci_u32_e64 v139, null, s5, v139, vcc_lo
	v_add_co_u32 v140, vcc_lo, v140, s4
	;; [unrolled: 2-line block ×3, first 2 shown]
	v_add_f32_e32 v3, v3, v6
	v_fma_f32 v5, v44, v93, -v7
	v_fmac_f32_e32 v8, v44, v94
	v_add_f32_e32 v2, v2, v4
	v_add_co_ci_u32_e64 v143, null, s5, v143, vcc_lo
	v_add_co_u32 v144, vcc_lo, v144, s4
	v_add_co_ci_u32_e64 v145, null, s5, v145, vcc_lo
	v_add_co_u32 v146, vcc_lo, v146, s4
	v_add_f32_e32 v60, v3, v5
	v_add_f32_e32 v61, v2, v8
	v_add_co_ci_u32_e64 v147, null, s5, v147, vcc_lo
	s_add_i32 s2, s6, 1
	s_add_i32 s6, s6, 2
	;; [unrolled: 1-line block ×3, first 2 shown]
	s_cmp_ge_u32 s6, s19
	s_waitcnt_vscnt null, 0x0
	s_barrier
	buffer_gl0_inv
	s_cbranch_scc0 .LBB182_97
.LBB182_153:
	v_cmp_gt_i32_e32 vcc_lo, s12, v0
	v_mad_u32_u24 v1, 0x218, v1, v95
	s_or_b32 s1, s23, vcc_lo
	ds_write_b64 v1, v[60:61]
	s_and_b32 s0, s0, s1
	s_waitcnt lgkmcnt(0)
	s_barrier
	buffer_gl0_inv
	s_and_saveexec_b32 s1, s0
	s_cbranch_execz .LBB182_155
; %bb.154:
	ds_read2_b64 v[0:3], v95 offset1:67
	ds_read2_b64 v[4:7], v95 offset0:134 offset1:201
	s_waitcnt lgkmcnt(1)
	v_add_f32_e32 v0, v2, v0
	v_add_f32_e32 v1, v3, v1
	s_waitcnt lgkmcnt(0)
	v_add_f32_e32 v2, v4, v0
	v_add_f32_e32 v3, v5, v1
	v_lshlrev_b64 v[0:1], 3, v[58:59]
	v_add_f32_e32 v2, v2, v6
	v_add_f32_e32 v3, v3, v7
	v_add_co_u32 v0, vcc_lo, s3, v0
	v_add_co_ci_u32_e64 v1, null, s7, v1, vcc_lo
	global_store_dwordx2 v[0:1], v[2:3], off
.LBB182_155:
	s_endpgm
	.section	.rodata,"a",@progbits
	.p2align	6, 0x0
	.amdhsa_kernel _ZL26rocblas_hemvn_kernel_upperILb0ELi64ELi4ELi33ELi32ELi16El19rocblas_complex_numIfEPKPKS1_PS1_EviT6_lT7_lT5_lS8_lS9_lS7_lT8_i
		.amdhsa_group_segment_fixed_size 9600
		.amdhsa_private_segment_fixed_size 0
		.amdhsa_kernarg_size 376
		.amdhsa_user_sgpr_count 6
		.amdhsa_user_sgpr_private_segment_buffer 1
		.amdhsa_user_sgpr_dispatch_ptr 0
		.amdhsa_user_sgpr_queue_ptr 0
		.amdhsa_user_sgpr_kernarg_segment_ptr 1
		.amdhsa_user_sgpr_dispatch_id 0
		.amdhsa_user_sgpr_flat_scratch_init 0
		.amdhsa_user_sgpr_private_segment_size 0
		.amdhsa_wavefront_size32 1
		.amdhsa_uses_dynamic_stack 0
		.amdhsa_system_sgpr_private_segment_wavefront_offset 0
		.amdhsa_system_sgpr_workgroup_id_x 1
		.amdhsa_system_sgpr_workgroup_id_y 0
		.amdhsa_system_sgpr_workgroup_id_z 1
		.amdhsa_system_sgpr_workgroup_info 0
		.amdhsa_system_vgpr_workitem_id 1
		.amdhsa_next_free_vgpr 160
		.amdhsa_next_free_sgpr 30
		.amdhsa_reserve_vcc 1
		.amdhsa_reserve_flat_scratch 1
		.amdhsa_float_round_mode_32 0
		.amdhsa_float_round_mode_16_64 0
		.amdhsa_float_denorm_mode_32 3
		.amdhsa_float_denorm_mode_16_64 3
		.amdhsa_dx10_clamp 1
		.amdhsa_ieee_mode 1
		.amdhsa_fp16_overflow 0
		.amdhsa_workgroup_processor_mode 1
		.amdhsa_memory_ordered 1
		.amdhsa_forward_progress 1
		.amdhsa_shared_vgpr_count 0
		.amdhsa_exception_fp_ieee_invalid_op 0
		.amdhsa_exception_fp_denorm_src 0
		.amdhsa_exception_fp_ieee_div_zero 0
		.amdhsa_exception_fp_ieee_overflow 0
		.amdhsa_exception_fp_ieee_underflow 0
		.amdhsa_exception_fp_ieee_inexact 0
		.amdhsa_exception_int_div_zero 0
	.end_amdhsa_kernel
	.section	.text._ZL26rocblas_hemvn_kernel_upperILb0ELi64ELi4ELi33ELi32ELi16El19rocblas_complex_numIfEPKPKS1_PS1_EviT6_lT7_lT5_lS8_lS9_lS7_lT8_i,"axG",@progbits,_ZL26rocblas_hemvn_kernel_upperILb0ELi64ELi4ELi33ELi32ELi16El19rocblas_complex_numIfEPKPKS1_PS1_EviT6_lT7_lT5_lS8_lS9_lS7_lT8_i,comdat
.Lfunc_end182:
	.size	_ZL26rocblas_hemvn_kernel_upperILb0ELi64ELi4ELi33ELi32ELi16El19rocblas_complex_numIfEPKPKS1_PS1_EviT6_lT7_lT5_lS8_lS9_lS7_lT8_i, .Lfunc_end182-_ZL26rocblas_hemvn_kernel_upperILb0ELi64ELi4ELi33ELi32ELi16El19rocblas_complex_numIfEPKPKS1_PS1_EviT6_lT7_lT5_lS8_lS9_lS7_lT8_i
                                        ; -- End function
	.set _ZL26rocblas_hemvn_kernel_upperILb0ELi64ELi4ELi33ELi32ELi16El19rocblas_complex_numIfEPKPKS1_PS1_EviT6_lT7_lT5_lS8_lS9_lS7_lT8_i.num_vgpr, 160
	.set _ZL26rocblas_hemvn_kernel_upperILb0ELi64ELi4ELi33ELi32ELi16El19rocblas_complex_numIfEPKPKS1_PS1_EviT6_lT7_lT5_lS8_lS9_lS7_lT8_i.num_agpr, 0
	.set _ZL26rocblas_hemvn_kernel_upperILb0ELi64ELi4ELi33ELi32ELi16El19rocblas_complex_numIfEPKPKS1_PS1_EviT6_lT7_lT5_lS8_lS9_lS7_lT8_i.numbered_sgpr, 30
	.set _ZL26rocblas_hemvn_kernel_upperILb0ELi64ELi4ELi33ELi32ELi16El19rocblas_complex_numIfEPKPKS1_PS1_EviT6_lT7_lT5_lS8_lS9_lS7_lT8_i.num_named_barrier, 0
	.set _ZL26rocblas_hemvn_kernel_upperILb0ELi64ELi4ELi33ELi32ELi16El19rocblas_complex_numIfEPKPKS1_PS1_EviT6_lT7_lT5_lS8_lS9_lS7_lT8_i.private_seg_size, 0
	.set _ZL26rocblas_hemvn_kernel_upperILb0ELi64ELi4ELi33ELi32ELi16El19rocblas_complex_numIfEPKPKS1_PS1_EviT6_lT7_lT5_lS8_lS9_lS7_lT8_i.uses_vcc, 1
	.set _ZL26rocblas_hemvn_kernel_upperILb0ELi64ELi4ELi33ELi32ELi16El19rocblas_complex_numIfEPKPKS1_PS1_EviT6_lT7_lT5_lS8_lS9_lS7_lT8_i.uses_flat_scratch, 1
	.set _ZL26rocblas_hemvn_kernel_upperILb0ELi64ELi4ELi33ELi32ELi16El19rocblas_complex_numIfEPKPKS1_PS1_EviT6_lT7_lT5_lS8_lS9_lS7_lT8_i.has_dyn_sized_stack, 0
	.set _ZL26rocblas_hemvn_kernel_upperILb0ELi64ELi4ELi33ELi32ELi16El19rocblas_complex_numIfEPKPKS1_PS1_EviT6_lT7_lT5_lS8_lS9_lS7_lT8_i.has_recursion, 0
	.set _ZL26rocblas_hemvn_kernel_upperILb0ELi64ELi4ELi33ELi32ELi16El19rocblas_complex_numIfEPKPKS1_PS1_EviT6_lT7_lT5_lS8_lS9_lS7_lT8_i.has_indirect_call, 0
	.section	.AMDGPU.csdata,"",@progbits
; Kernel info:
; codeLenInByte = 9284
; TotalNumSgprs: 32
; NumVgprs: 160
; ScratchSize: 0
; MemoryBound: 1
; FloatMode: 240
; IeeeMode: 1
; LDSByteSize: 9600 bytes/workgroup (compile time only)
; SGPRBlocks: 0
; VGPRBlocks: 19
; NumSGPRsForWavesPerEU: 32
; NumVGPRsForWavesPerEU: 160
; Occupancy: 6
; WaveLimiterHint : 1
; COMPUTE_PGM_RSRC2:SCRATCH_EN: 0
; COMPUTE_PGM_RSRC2:USER_SGPR: 6
; COMPUTE_PGM_RSRC2:TRAP_HANDLER: 0
; COMPUTE_PGM_RSRC2:TGID_X_EN: 1
; COMPUTE_PGM_RSRC2:TGID_Y_EN: 0
; COMPUTE_PGM_RSRC2:TGID_Z_EN: 1
; COMPUTE_PGM_RSRC2:TIDIG_COMP_CNT: 1
	.section	.text._ZL26rocblas_hemvn_kernel_upperILb0ELi64ELi4ELi33ELi32ELi16Ei19rocblas_complex_numIfEPKPKS1_PS1_EviT6_lT7_lT5_lS8_lS9_lS7_lT8_i,"axG",@progbits,_ZL26rocblas_hemvn_kernel_upperILb0ELi64ELi4ELi33ELi32ELi16Ei19rocblas_complex_numIfEPKPKS1_PS1_EviT6_lT7_lT5_lS8_lS9_lS7_lT8_i,comdat
	.globl	_ZL26rocblas_hemvn_kernel_upperILb0ELi64ELi4ELi33ELi32ELi16Ei19rocblas_complex_numIfEPKPKS1_PS1_EviT6_lT7_lT5_lS8_lS9_lS7_lT8_i ; -- Begin function _ZL26rocblas_hemvn_kernel_upperILb0ELi64ELi4ELi33ELi32ELi16Ei19rocblas_complex_numIfEPKPKS1_PS1_EviT6_lT7_lT5_lS8_lS9_lS7_lT8_i
	.p2align	8
	.type	_ZL26rocblas_hemvn_kernel_upperILb0ELi64ELi4ELi33ELi32ELi16Ei19rocblas_complex_numIfEPKPKS1_PS1_EviT6_lT7_lT5_lS8_lS9_lS7_lT8_i,@function
_ZL26rocblas_hemvn_kernel_upperILb0ELi64ELi4ELi33ELi32ELi16Ei19rocblas_complex_numIfEPKPKS1_PS1_EviT6_lT7_lT5_lS8_lS9_lS7_lT8_i: ; @_ZL26rocblas_hemvn_kernel_upperILb0ELi64ELi4ELi33ELi32ELi16Ei19rocblas_complex_numIfEPKPKS1_PS1_EviT6_lT7_lT5_lS8_lS9_lS7_lT8_i
; %bb.0:
	s_load_dwordx2 s[0:1], s[4:5], 0x84
	s_add_u32 s8, s4, 0x78
	s_addc_u32 s9, s5, 0
	s_waitcnt lgkmcnt(0)
	s_lshr_b32 s2, s0, 16
	s_and_b32 s0, s0, 0xffff
	s_and_b32 s1, s1, 0xffff
	s_mul_i32 s0, s2, s0
	s_mul_i32 s0, s0, s1
	s_cmpk_lg_i32 s0, 0x100
	s_cbranch_scc1 .LBB183_155
; %bb.1:
	s_load_dwordx2 s[0:1], s[4:5], 0x4
	s_mov_b32 s14, s7
	s_waitcnt lgkmcnt(0)
	s_or_b32 s0, s0, s1
	s_bitset0_b32 s0, 31
	s_cmp_lg_u32 s0, 0
	s_mov_b32 s0, -1
	s_cbranch_scc1 .LBB183_3
; %bb.2:
	s_load_dwordx2 s[0:1], s[4:5], 0x58
	s_waitcnt lgkmcnt(0)
	v_cmp_eq_f32_e64 s0, s0, 1.0
	v_cmp_eq_f32_e64 s1, s1, 0
	s_and_b32 s0, s0, s1
	s_andn2_b32 vcc_lo, exec_lo, s0
	s_mov_b32 s0, 0
.LBB183_3:
	s_andn2_b32 vcc_lo, exec_lo, s0
	s_cbranch_vccnz .LBB183_155
; %bb.4:
	s_clause 0x1
	s_load_dwordx4 s[0:3], s[4:5], 0x18
	s_load_dwordx4 s[16:19], s[4:5], 0x38
	s_mov_b32 s15, 0
	s_load_dword s24, s[4:5], 0x48
	s_lshl_b64 s[10:11], s[14:15], 3
	s_waitcnt lgkmcnt(0)
	s_add_u32 s0, s0, s10
	s_addc_u32 s1, s1, s11
	s_add_u32 s10, s16, s10
	s_addc_u32 s11, s17, s11
	s_lshl_b64 s[12:13], s[18:19], 3
	s_load_dwordx2 s[10:11], s[10:11], 0x0
	s_load_dword s15, s[4:5], 0x0
	s_load_dword s26, s[8:9], 0x0
	s_load_dwordx2 s[8:9], s[0:1], 0x0
	s_waitcnt lgkmcnt(0)
	s_add_u32 s7, s10, s12
	s_addc_u32 s10, s11, s13
	s_lshl_b32 s16, s6, 6
	s_ashr_i32 s25, s15, 31
	v_add_nc_u32_e32 v58, s16, v0
	s_lshr_b32 s0, s25, 26
	s_add_i32 s1, s26, -1
	s_add_i32 s0, s15, s0
	v_mul_lo_u32 v2, s24, v58
	s_andn2_b32 s0, s0, 63
	s_sub_i32 s27, s15, s0
	v_cmp_eq_u32_e64 s0, 0, v1
	s_cmp_eq_u32 s6, s1
	v_ashrrev_i32_e32 v3, 31, v2
	v_lshlrev_b64 v[2:3], 3, v[2:3]
	v_add_co_u32 v16, vcc_lo, s7, v2
	v_add_co_ci_u32_e64 v17, null, s10, v3, vcc_lo
	s_mov_b32 s7, -1
	s_cselect_b32 s10, s27, 0
	s_and_saveexec_b32 s1, s0
	s_cbranch_execz .LBB183_9
; %bb.5:
	v_cmp_le_i32_e32 vcc_lo, s10, v0
	s_cmp_lg_u32 s10, 0
	v_lshl_add_u32 v2, v0, 3, 0x2380
	s_cselect_b32 s11, -1, 0
	s_and_b32 s11, s11, vcc_lo
	s_and_saveexec_b32 s12, s11
	s_xor_b32 s11, exec_lo, s12
; %bb.6:
	v_mov_b32_e32 v3, 0
	v_mov_b32_e32 v4, v3
	ds_write_b64 v2, v[3:4]
                                        ; implicit-def: $vgpr2
; %bb.7:
	s_andn2_saveexec_b32 s11, s11
	s_cbranch_execz .LBB183_9
; %bb.8:
	flat_load_dwordx2 v[3:4], v[16:17]
	s_waitcnt vmcnt(0) lgkmcnt(0)
	ds_write_b64 v2, v[3:4]
.LBB183_9:
	s_or_b32 exec_lo, exec_lo, s1
	s_load_dword s12, s[4:5], 0x28
	v_lshl_add_u32 v24, v1, 6, v0
	v_and_b32_e32 v2, 31, v0
	s_lshl_b64 s[2:3], s[2:3], 3
	s_add_u32 s1, s8, s2
	v_lshrrev_b32_e32 v9, 5, v24
	s_addc_u32 s8, s9, s3
	s_ashr_i32 s17, s16, 31
	v_lshlrev_b32_e32 v10, 3, v2
	s_lshl_b64 s[2:3], s[16:17], 3
	v_mul_u32_u24_e32 v11, 0x108, v9
	s_add_u32 s9, s1, s2
	s_addc_u32 s8, s8, s3
	v_cmp_gt_i32_e64 s1, s10, v2
	s_waitcnt lgkmcnt(0)
	v_mad_u64_u32 v[3:4], null, s12, v9, v[2:3]
	s_mul_i32 s2, s12, s16
	s_ashr_i32 s3, s2, 31
	s_lshl_b64 s[2:3], s[2:3], 3
	s_cmp_eq_u32 s10, 0
	v_ashrrev_i32_e32 v4, 31, v3
	s_cselect_b32 s28, -1, 0
	s_cmp_lg_u32 s10, 0
	s_cselect_b32 s17, -1, 0
	v_lshlrev_b64 v[14:15], 3, v[3:4]
	v_add_co_u32 v3, vcc_lo, s9, v14
	v_add_co_ci_u32_e64 v4, null, s8, v15, vcc_lo
	s_and_b32 vcc_lo, exec_lo, s17
	v_add_co_u32 v5, s2, v3, s2
	v_add_co_ci_u32_e64 v6, null, s3, v4, s2
                                        ; implicit-def: $vgpr3_vgpr4
	s_cbranch_vccz .LBB183_27
; %bb.10:
	v_sub_co_u32 v3, vcc_lo, v5, v10
	s_ashr_i32 s11, s10, 31
	v_subrev_co_ci_u32_e64 v4, null, 0, v6, vcc_lo
	s_lshl_b64 s[2:3], s[10:11], 3
	v_add_nc_u32_e32 v7, v10, v11
	v_add_co_u32 v3, vcc_lo, v3, s2
	v_add_co_ci_u32_e64 v4, null, s3, v4, vcc_lo
	s_mov_b32 s7, exec_lo
	v_add_co_u32 v3, vcc_lo, v3, -8
	v_add_co_ci_u32_e64 v4, null, -1, v4, vcc_lo
	v_cndmask_b32_e64 v3, v3, v5, s1
	v_cndmask_b32_e64 v4, v4, v6, s1
	v_cmpx_le_i32_e64 s10, v9
	s_xor_b32 s7, exec_lo, s7
; %bb.11:
	v_mov_b32_e32 v12, 0
	v_mov_b32_e32 v13, v12
	ds_write_b64 v7, v[12:13]
; %bb.12:
	s_andn2_saveexec_b32 s7, s7
	s_cbranch_execz .LBB183_14
; %bb.13:
	flat_load_dwordx2 v[12:13], v[3:4]
	s_waitcnt vmcnt(0) lgkmcnt(0)
	ds_write_b64 v7, v[12:13]
.LBB183_14:
	s_or_b32 exec_lo, exec_lo, s7
	v_add_nc_u32_e32 v8, 8, v9
	s_mov_b32 s7, exec_lo
	v_cmpx_le_i32_e64 s10, v8
	s_xor_b32 s7, exec_lo, s7
; %bb.15:
	v_mov_b32_e32 v12, 0
	v_mov_b32_e32 v13, v12
	ds_write_b64 v7, v[12:13] offset:2112
; %bb.16:
	s_andn2_saveexec_b32 s7, s7
	s_cbranch_execz .LBB183_18
; %bb.17:
	s_lshl_b32 s8, s12, 3
	s_ashr_i32 s9, s8, 31
	s_lshl_b64 s[8:9], s[8:9], 3
	v_add_co_u32 v12, vcc_lo, v3, s8
	v_add_co_ci_u32_e64 v13, null, s9, v4, vcc_lo
	flat_load_dwordx2 v[12:13], v[12:13]
	s_waitcnt vmcnt(0) lgkmcnt(0)
	ds_write_b64 v7, v[12:13] offset:2112
.LBB183_18:
	s_or_b32 exec_lo, exec_lo, s7
	v_add_nc_u32_e32 v8, 16, v9
	s_mov_b32 s7, exec_lo
	v_cmpx_le_i32_e64 s10, v8
	s_xor_b32 s7, exec_lo, s7
; %bb.19:
	v_mov_b32_e32 v12, 0
	v_mov_b32_e32 v13, v12
	ds_write_b64 v7, v[12:13] offset:4224
; %bb.20:
	s_andn2_saveexec_b32 s7, s7
	s_cbranch_execz .LBB183_22
; %bb.21:
	s_lshl_b32 s8, s12, 4
	s_ashr_i32 s9, s8, 31
	s_lshl_b64 s[8:9], s[8:9], 3
	v_add_co_u32 v12, vcc_lo, v3, s8
	v_add_co_ci_u32_e64 v13, null, s9, v4, vcc_lo
	flat_load_dwordx2 v[12:13], v[12:13]
	s_waitcnt vmcnt(0) lgkmcnt(0)
	ds_write_b64 v7, v[12:13] offset:4224
.LBB183_22:
	s_or_b32 exec_lo, exec_lo, s7
	v_add_nc_u32_e32 v8, 24, v9
	s_mov_b32 s7, exec_lo
	v_cmpx_le_i32_e64 s10, v8
	s_xor_b32 s7, exec_lo, s7
; %bb.23:
	v_mov_b32_e32 v12, 0
	v_mov_b32_e32 v13, v12
	ds_write_b64 v7, v[12:13] offset:6336
                                        ; implicit-def: $vgpr7
; %bb.24:
	s_andn2_saveexec_b32 s7, s7
	s_cbranch_execz .LBB183_26
; %bb.25:
	s_mul_i32 s8, s12, 24
	s_ashr_i32 s9, s8, 31
	s_lshl_b64 s[8:9], s[8:9], 3
	v_add_co_u32 v12, vcc_lo, v3, s8
	v_add_co_ci_u32_e64 v13, null, s9, v4, vcc_lo
	flat_load_dwordx2 v[12:13], v[12:13]
	s_waitcnt vmcnt(0) lgkmcnt(0)
	ds_write_b64 v7, v[12:13] offset:6336
.LBB183_26:
	s_or_b32 exec_lo, exec_lo, s7
	v_add_co_u32 v3, vcc_lo, v3, v10
	v_add_co_ci_u32_e64 v4, null, 0, v4, vcc_lo
	s_mov_b32 s7, 0
	v_sub_co_u32 v3, vcc_lo, v3, s2
	v_subrev_co_ci_u32_e64 v4, null, s3, v4, vcc_lo
	v_add_co_u32 v3, vcc_lo, v3, 8
	v_add_co_ci_u32_e64 v4, null, 0, v4, vcc_lo
	v_cndmask_b32_e64 v3, v3, v5, s1
	v_cndmask_b32_e64 v4, v4, v6, s1
.LBB183_27:
	s_and_b32 vcc_lo, exec_lo, s7
	s_cbranch_vccz .LBB183_29
; %bb.28:
	s_lshl_b32 s2, s12, 3
	s_ashr_i32 s13, s12, 31
	s_ashr_i32 s3, s2, 31
	v_lshl_add_u32 v22, v2, 3, v11
	s_lshl_b64 s[2:3], s[2:3], 3
	v_add_co_u32 v3, vcc_lo, v5, s2
	v_add_co_ci_u32_e64 v4, null, s3, v6, vcc_lo
	s_lshl_b64 s[2:3], s[12:13], 6
	v_add_co_u32 v7, vcc_lo, v3, s2
	v_add_co_ci_u32_e64 v8, null, s3, v4, vcc_lo
	v_add_co_u32 v12, vcc_lo, v7, s2
	v_add_co_ci_u32_e64 v13, null, s3, v8, vcc_lo
	s_clause 0x3
	flat_load_dwordx2 v[18:19], v[5:6]
	flat_load_dwordx2 v[20:21], v[3:4]
	;; [unrolled: 1-line block ×4, first 2 shown]
	v_mov_b32_e32 v3, v5
	v_mov_b32_e32 v4, v6
	s_waitcnt vmcnt(3) lgkmcnt(3)
	ds_write_b64 v22, v[18:19]
	s_waitcnt vmcnt(2) lgkmcnt(3)
	ds_write_b64 v22, v[20:21] offset:2112
	s_waitcnt vmcnt(1) lgkmcnt(3)
	ds_write_b64 v22, v[7:8] offset:4224
	;; [unrolled: 2-line block ×3, first 2 shown]
.LBB183_29:
	v_lshlrev_b32_e32 v12, 2, v9
	v_lshl_or_b32 v5, v2, 8, v10
	s_waitcnt lgkmcnt(0)
	s_barrier
	buffer_gl0_inv
	v_cmp_gt_u32_e64 s2, v12, v2
	v_lshl_add_u32 v7, v12, 3, v5
	v_mad_u32_u24 v5, 0x420, v9, v10
	s_and_saveexec_b32 s1, s2
	s_cbranch_execz .LBB183_31
; %bb.30:
	ds_read_b64 v[18:19], v5
	s_waitcnt lgkmcnt(0)
	ds_write_b64 v7, v[18:19]
.LBB183_31:
	s_or_b32 exec_lo, exec_lo, s1
	v_or_b32_e32 v18, 1, v12
	v_cmp_ge_u32_e64 s3, v12, v2
	v_mad_u32_u24 v6, 0x108, v18, v10
	s_and_saveexec_b32 s1, s3
	s_cbranch_execz .LBB183_33
; %bb.32:
	ds_read_b64 v[19:20], v6
	s_waitcnt lgkmcnt(0)
	ds_write_b64 v7, v[19:20] offset:8
.LBB183_33:
	s_or_b32 exec_lo, exec_lo, s1
	v_or_b32_e32 v8, 2, v12
	v_cmp_gt_u32_e64 s7, v8, v2
	s_and_saveexec_b32 s1, s7
	s_cbranch_execz .LBB183_35
; %bb.34:
	v_mad_u32_u24 v8, 0x108, v8, v10
	ds_read_b64 v[19:20], v8
	s_waitcnt lgkmcnt(0)
	ds_write_b64 v7, v[19:20] offset:16
.LBB183_35:
	s_or_b32 exec_lo, exec_lo, s1
	v_or_b32_e32 v13, 3, v12
	s_mov_b32 s1, exec_lo
	v_cmp_gt_u32_e64 s8, v13, v2
	v_mul_u32_u24_e32 v8, 0x108, v13
	v_cmpx_le_u32_e64 v13, v2
	s_xor_b32 s1, exec_lo, s1
; %bb.36:
	v_mul_u32_u24_e32 v8, 0x108, v13
                                        ; implicit-def: $vgpr13
                                        ; implicit-def: $vgpr7
; %bb.37:
	s_andn2_saveexec_b32 s1, s1
	s_cbranch_execz .LBB183_39
; %bb.38:
	v_mad_u32_u24 v13, 0x108, v13, v10
	ds_read_b64 v[19:20], v13
	s_waitcnt lgkmcnt(0)
	ds_write_b64 v7, v[19:20] offset:24
.LBB183_39:
	s_or_b32 exec_lo, exec_lo, s1
	v_lshlrev_b32_e32 v19, 3, v12
	s_waitcnt lgkmcnt(0)
	s_barrier
	buffer_gl0_inv
	ds_read_b64 v[21:22], v5
	ds_read_b128 v[25:28], v19 offset:9088
	ds_read2_b64 v[29:32], v6 offset1:33
	v_add_nc_u32_e32 v20, v10, v8
	ds_read_b128 v[5:8], v19 offset:9104
	ds_read_b64 v[33:34], v20
	v_mul_u32_u24_e32 v13, 33, v2
	v_mov_b32_e32 v59, 0
	v_cmp_gt_u32_e64 s1, 32, v24
	v_mov_b32_e32 v60, 0
	s_waitcnt lgkmcnt(0)
	s_barrier
	buffer_gl0_inv
	v_mul_f32_e32 v23, v26, v22
	v_mul_f32_e32 v22, v25, v22
	;; [unrolled: 1-line block ×5, first 2 shown]
	v_fma_f32 v23, v25, v21, -v23
	v_fmac_f32_e32 v22, v26, v21
	v_mul_f32_e32 v32, v5, v32
	v_fma_f32 v25, v27, v29, -v35
	v_fmac_f32_e32 v30, v28, v29
	v_add_f32_e32 v23, 0, v23
	v_add_f32_e32 v22, 0, v22
	v_mul_f32_e32 v21, v8, v34
	v_mul_f32_e32 v27, v7, v34
	v_fma_f32 v5, v5, v31, -v36
	v_fmac_f32_e32 v32, v6, v31
	v_add_f32_e32 v6, v23, v25
	v_add_f32_e32 v22, v22, v30
	v_lshlrev_b32_e32 v25, 3, v13
	v_fma_f32 v7, v7, v33, -v21
	v_fmac_f32_e32 v27, v8, v33
	v_add_f32_e32 v5, v6, v5
	v_add_f32_e32 v6, v22, v32
	v_lshl_add_u32 v26, v9, 3, v25
	v_add_f32_e32 v5, v5, v7
	v_add_f32_e32 v6, v6, v27
	ds_write_b64 v26, v[5:6]
	s_waitcnt lgkmcnt(0)
	s_barrier
	buffer_gl0_inv
	s_and_saveexec_b32 s9, s1
	s_cbranch_execz .LBB183_41
; %bb.40:
	ds_read2_b64 v[5:8], v25 offset1:7
	ds_read2_b64 v[27:30], v25 offset0:1 offset1:2
	ds_read2_b64 v[31:34], v25 offset0:3 offset1:4
	;; [unrolled: 1-line block ×3, first 2 shown]
	s_waitcnt lgkmcnt(2)
	v_add_f32_e32 v5, v27, v5
	v_add_f32_e32 v6, v28, v6
	v_add_f32_e32 v5, v29, v5
	v_add_f32_e32 v6, v30, v6
	s_waitcnt lgkmcnt(1)
	v_add_f32_e32 v5, v5, v31
	v_add_f32_e32 v6, v6, v32
	v_add_f32_e32 v5, v5, v33
	v_add_f32_e32 v6, v6, v34
	;; [unrolled: 5-line block ×3, first 2 shown]
	v_add_f32_e32 v59, v5, v7
	v_add_f32_e32 v60, v6, v8
.LBB183_41:
	s_or_b32 exec_lo, exec_lo, s9
	s_lshl_b32 s18, s12, 5
	s_ashr_i32 s19, s18, 31
	s_barrier
	s_lshl_b64 s[20:21], s[18:19], 3
	buffer_gl0_inv
	v_add_co_u32 v5, vcc_lo, v3, s20
	v_add_co_ci_u32_e64 v6, null, s21, v4, vcc_lo
	v_add_co_u32 v3, vcc_lo, 0x100, v5
	v_add_co_ci_u32_e64 v4, null, 0, v6, vcc_lo
	s_and_b32 vcc_lo, exec_lo, s17
	s_cbranch_vccz .LBB183_59
; %bb.42:
	v_sub_co_u32 v7, vcc_lo, v5, v10
	s_ashr_i32 s11, s10, 31
	v_subrev_co_ci_u32_e64 v8, null, 0, v6, vcc_lo
	s_lshl_b64 s[22:23], s[10:11], 3
	v_or_b32_e32 v13, 32, v2
	v_add_co_u32 v7, vcc_lo, v7, s22
	v_add_co_ci_u32_e64 v8, null, s23, v8, vcc_lo
	s_sub_i32 s11, s10, 32
	v_add_co_u32 v7, vcc_lo, v7, -8
	v_add_co_ci_u32_e64 v8, null, -1, v8, vcc_lo
	v_cmp_gt_i32_e32 vcc_lo, s10, v13
	v_cmp_le_i32_e64 s9, s11, v9
	v_add_nc_u32_e32 v13, v10, v11
	v_cndmask_b32_e32 v8, v8, v4, vcc_lo
	v_cndmask_b32_e32 v7, v7, v3, vcc_lo
	s_and_saveexec_b32 s13, s9
	s_xor_b32 s9, exec_lo, s13
; %bb.43:
	v_mov_b32_e32 v21, 0
	v_mov_b32_e32 v22, v21
	ds_write_b64 v13, v[21:22]
; %bb.44:
	s_andn2_saveexec_b32 s9, s9
	s_cbranch_execz .LBB183_46
; %bb.45:
	flat_load_dwordx2 v[21:22], v[7:8]
	s_waitcnt vmcnt(0) lgkmcnt(0)
	ds_write_b64 v13, v[21:22]
.LBB183_46:
	s_or_b32 exec_lo, exec_lo, s9
	v_add_nc_u32_e32 v21, 8, v9
	v_cmp_le_i32_e64 s9, s11, v21
	s_and_saveexec_b32 s13, s9
	s_xor_b32 s9, exec_lo, s13
; %bb.47:
	v_mov_b32_e32 v21, 0
	v_mov_b32_e32 v22, v21
	ds_write_b64 v13, v[21:22] offset:2112
; %bb.48:
	s_andn2_saveexec_b32 s13, s9
	s_cbranch_execz .LBB183_50
; %bb.49:
	s_lshl_b32 s30, s12, 3
	s_ashr_i32 s31, s30, 31
	s_lshl_b64 s[30:31], s[30:31], 3
	v_add_co_u32 v21, s9, v7, s30
	v_add_co_ci_u32_e64 v22, null, s31, v8, s9
	flat_load_dwordx2 v[21:22], v[21:22]
	s_waitcnt vmcnt(0) lgkmcnt(0)
	ds_write_b64 v13, v[21:22] offset:2112
.LBB183_50:
	s_or_b32 exec_lo, exec_lo, s13
	v_add_nc_u32_e32 v21, 16, v9
	v_cmp_le_i32_e64 s9, s11, v21
	s_and_saveexec_b32 s13, s9
	s_xor_b32 s9, exec_lo, s13
; %bb.51:
	v_mov_b32_e32 v21, 0
	v_mov_b32_e32 v22, v21
	ds_write_b64 v13, v[21:22] offset:4224
; %bb.52:
	s_andn2_saveexec_b32 s13, s9
	s_cbranch_execz .LBB183_54
; %bb.53:
	s_lshl_b32 s30, s12, 4
	s_ashr_i32 s31, s30, 31
	s_lshl_b64 s[30:31], s[30:31], 3
	v_add_co_u32 v21, s9, v7, s30
	v_add_co_ci_u32_e64 v22, null, s31, v8, s9
	flat_load_dwordx2 v[21:22], v[21:22]
	s_waitcnt vmcnt(0) lgkmcnt(0)
	ds_write_b64 v13, v[21:22] offset:4224
.LBB183_54:
	s_or_b32 exec_lo, exec_lo, s13
	v_add_nc_u32_e32 v21, 24, v9
	v_cmp_le_i32_e64 s9, s11, v21
	s_and_saveexec_b32 s11, s9
	s_xor_b32 s9, exec_lo, s11
; %bb.55:
	v_mov_b32_e32 v21, 0
	v_mov_b32_e32 v22, v21
	ds_write_b64 v13, v[21:22] offset:6336
                                        ; implicit-def: $vgpr13
; %bb.56:
	s_andn2_saveexec_b32 s11, s9
	s_cbranch_execz .LBB183_58
; %bb.57:
	s_mul_i32 s30, s12, 24
	s_ashr_i32 s31, s30, 31
	s_lshl_b64 s[30:31], s[30:31], 3
	v_add_co_u32 v21, s9, v7, s30
	v_add_co_ci_u32_e64 v22, null, s31, v8, s9
	flat_load_dwordx2 v[21:22], v[21:22]
	s_waitcnt vmcnt(0) lgkmcnt(0)
	ds_write_b64 v13, v[21:22] offset:6336
.LBB183_58:
	s_or_b32 exec_lo, exec_lo, s11
	v_add_co_u32 v7, s9, v7, v10
	v_add_co_ci_u32_e64 v8, null, 0, v8, s9
	v_sub_co_u32 v7, s9, v7, s22
	v_subrev_co_ci_u32_e64 v8, null, s23, v8, s9
	v_add_co_u32 v7, s9, 0x108, v7
	v_add_co_ci_u32_e64 v8, null, 0, v8, s9
	v_cndmask_b32_e32 v7, v7, v3, vcc_lo
	v_cndmask_b32_e32 v8, v8, v4, vcc_lo
	v_mul_u32_u24_e32 v21, 0x420, v9
	v_mad_u32_u24 v13, 0x108, v9, v10
	s_branch .LBB183_61
.LBB183_59:
                                        ; implicit-def: $vgpr7_vgpr8
	v_mul_u32_u24_e32 v21, 0x420, v9
	v_mad_u32_u24 v13, 0x108, v9, v10
	s_cbranch_execz .LBB183_61
; %bb.60:
	s_lshl_b32 s22, s12, 3
	s_ashr_i32 s13, s12, 31
	s_ashr_i32 s23, s22, 31
	s_lshl_b64 s[22:23], s[22:23], 3
	v_add_co_u32 v7, vcc_lo, v5, s22
	v_add_co_ci_u32_e64 v8, null, s23, v6, vcc_lo
	s_lshl_b64 s[22:23], s[12:13], 6
	v_add_co_u32 v22, vcc_lo, v7, s22
	v_add_co_ci_u32_e64 v23, null, s23, v8, vcc_lo
	v_add_co_u32 v27, vcc_lo, v22, s22
	v_add_co_ci_u32_e64 v28, null, s23, v23, vcc_lo
	s_clause 0x3
	flat_load_dwordx2 v[5:6], v[5:6] offset:256
	flat_load_dwordx2 v[29:30], v[7:8] offset:256
	;; [unrolled: 1-line block ×4, first 2 shown]
	v_mov_b32_e32 v8, v4
	v_mov_b32_e32 v7, v3
	s_waitcnt vmcnt(3) lgkmcnt(3)
	ds_write_b64 v13, v[5:6]
	s_waitcnt vmcnt(2) lgkmcnt(3)
	ds_write_b64 v13, v[29:30] offset:2112
	s_waitcnt vmcnt(1) lgkmcnt(3)
	ds_write_b64 v13, v[22:23] offset:4224
	;; [unrolled: 2-line block ×3, first 2 shown]
.LBB183_61:
	v_mul_u32_u24_e32 v4, 0x108, v18
	v_add_nc_u32_e32 v21, v10, v21
	v_lshl_add_u32 v3, v12, 3, v25
	s_waitcnt lgkmcnt(0)
	s_barrier
	buffer_gl0_inv
	s_and_saveexec_b32 s9, s2
	s_cbranch_execz .LBB183_65
; %bb.62:
	ds_read_b64 v[5:6], v21
	s_waitcnt lgkmcnt(0)
	ds_write_b64 v3, v[5:6]
	s_or_b32 exec_lo, exec_lo, s9
	v_add_nc_u32_e32 v22, v10, v4
	s_and_saveexec_b32 s2, s3
	s_cbranch_execnz .LBB183_66
.LBB183_63:
	s_or_b32 exec_lo, exec_lo, s2
	s_and_saveexec_b32 s2, s7
	s_cbranch_execz .LBB183_67
.LBB183_64:
	ds_read_b64 v[4:5], v22 offset:264
	s_waitcnt lgkmcnt(0)
	ds_write_b64 v3, v[4:5] offset:16
	s_or_b32 exec_lo, exec_lo, s2
	v_add_nc_u32_e32 v23, 0x2380, v19
	s_and_saveexec_b32 s2, s8
	s_cbranch_execnz .LBB183_68
	s_branch .LBB183_69
.LBB183_65:
	s_or_b32 exec_lo, exec_lo, s9
	v_add_nc_u32_e32 v22, v10, v4
	s_and_saveexec_b32 s2, s3
	s_cbranch_execz .LBB183_63
.LBB183_66:
	ds_read_b64 v[4:5], v22
	s_waitcnt lgkmcnt(0)
	ds_write_b64 v3, v[4:5] offset:8
	s_or_b32 exec_lo, exec_lo, s2
	s_and_saveexec_b32 s2, s7
	s_cbranch_execnz .LBB183_64
.LBB183_67:
	s_or_b32 exec_lo, exec_lo, s2
	v_add_nc_u32_e32 v23, 0x2380, v19
	s_and_saveexec_b32 s2, s8
	s_cbranch_execz .LBB183_69
.LBB183_68:
	ds_read_b64 v[4:5], v20
	s_waitcnt lgkmcnt(0)
	ds_write_b64 v3, v[4:5] offset:24
.LBB183_69:
	s_or_b32 exec_lo, exec_lo, s2
	s_waitcnt lgkmcnt(0)
	s_barrier
	buffer_gl0_inv
	ds_read_b64 v[18:19], v21
	ds_read_b128 v[3:6], v23 offset:256
	ds_read2_b64 v[27:30], v22 offset1:33
	ds_read_b128 v[31:34], v23 offset:272
	ds_read_b64 v[35:36], v20
	v_cmp_eq_u32_e64 s2, 1, v9
	s_waitcnt lgkmcnt(0)
	s_barrier
	buffer_gl0_inv
	v_mul_f32_e32 v12, v4, v19
	v_mul_f32_e32 v19, v3, v19
	;; [unrolled: 1-line block ×5, first 2 shown]
	v_fma_f32 v3, v3, v18, -v12
	v_fmac_f32_e32 v19, v4, v18
	v_mul_f32_e32 v30, v31, v30
	v_fma_f32 v5, v5, v27, -v37
	v_fmac_f32_e32 v28, v6, v27
	v_add_f32_e32 v3, 0, v3
	v_add_f32_e32 v6, 0, v19
	v_mul_f32_e32 v4, v34, v36
	v_mul_f32_e32 v12, v33, v36
	v_fma_f32 v18, v31, v29, -v38
	v_fmac_f32_e32 v30, v32, v29
	v_add_f32_e32 v3, v3, v5
	v_add_f32_e32 v5, v6, v28
	v_fma_f32 v4, v33, v35, -v4
	v_fmac_f32_e32 v12, v34, v35
	v_add_f32_e32 v3, v3, v18
	v_add_f32_e32 v5, v5, v30
	;; [unrolled: 1-line block ×4, first 2 shown]
	ds_write_b64 v26, v[3:4]
	s_waitcnt lgkmcnt(0)
	s_barrier
	buffer_gl0_inv
	s_and_saveexec_b32 s3, s2
	s_cbranch_execz .LBB183_71
; %bb.70:
	ds_read2_b64 v[3:6], v25 offset1:7
	ds_read2_b64 v[27:30], v25 offset0:1 offset1:2
	ds_read2_b64 v[31:34], v25 offset0:3 offset1:4
	;; [unrolled: 1-line block ×3, first 2 shown]
	s_waitcnt lgkmcnt(2)
	v_add_f32_e32 v3, v27, v3
	v_add_f32_e32 v4, v28, v4
	v_add_f32_e32 v3, v29, v3
	v_add_f32_e32 v4, v30, v4
	s_waitcnt lgkmcnt(1)
	v_add_f32_e32 v3, v3, v31
	v_add_f32_e32 v4, v4, v32
	v_add_f32_e32 v3, v3, v33
	v_add_f32_e32 v4, v4, v34
	;; [unrolled: 5-line block ×3, first 2 shown]
	v_add_f32_e32 v59, v3, v5
	v_add_f32_e32 v60, v4, v6
.LBB183_71:
	s_or_b32 exec_lo, exec_lo, s3
	v_add_co_u32 v3, vcc_lo, 0xffffff00, v7
	v_add_co_ci_u32_e64 v4, null, -1, v8, vcc_lo
	s_and_b32 vcc_lo, exec_lo, s17
	s_barrier
	buffer_gl0_inv
	s_cbranch_vccz .LBB183_89
; %bb.72:
	v_sub_co_u32 v5, vcc_lo, v3, v10
	s_ashr_i32 s11, s10, 31
	v_subrev_co_ci_u32_e64 v6, null, 0, v4, vcc_lo
	s_lshl_b64 s[8:9], s[10:11], 3
	s_sub_i32 s7, s10, 32
	v_add_co_u32 v5, vcc_lo, v5, s8
	v_add_co_ci_u32_e64 v6, null, s9, v6, vcc_lo
	v_cmp_le_i32_e64 s3, s7, v9
	v_add_co_u32 v5, vcc_lo, v5, -8
	v_add_co_ci_u32_e64 v6, null, -1, v6, vcc_lo
	v_cmp_gt_i32_e32 vcc_lo, s10, v2
	v_add_nc_u32_e32 v8, v10, v11
	v_cndmask_b32_e32 v6, v6, v4, vcc_lo
	v_cndmask_b32_e32 v5, v5, v3, vcc_lo
	s_and_saveexec_b32 s11, s3
	s_xor_b32 s3, exec_lo, s11
; %bb.73:
	v_mov_b32_e32 v11, 0
	v_mov_b32_e32 v12, v11
	ds_write_b64 v8, v[11:12]
; %bb.74:
	s_andn2_saveexec_b32 s3, s3
	s_cbranch_execz .LBB183_76
; %bb.75:
	flat_load_dwordx2 v[11:12], v[5:6]
	s_waitcnt vmcnt(0) lgkmcnt(0)
	ds_write_b64 v8, v[11:12]
.LBB183_76:
	s_or_b32 exec_lo, exec_lo, s3
	v_add_nc_u32_e32 v2, 8, v9
	v_cmp_le_i32_e64 s3, s7, v2
	s_and_saveexec_b32 s11, s3
	s_xor_b32 s3, exec_lo, s11
; %bb.77:
	v_mov_b32_e32 v11, 0
	v_mov_b32_e32 v12, v11
	ds_write_b64 v8, v[11:12] offset:2112
; %bb.78:
	s_andn2_saveexec_b32 s11, s3
	s_cbranch_execz .LBB183_80
; %bb.79:
	s_lshl_b32 s22, s12, 3
	s_ashr_i32 s23, s22, 31
	s_lshl_b64 s[22:23], s[22:23], 3
	v_add_co_u32 v11, s3, v5, s22
	v_add_co_ci_u32_e64 v12, null, s23, v6, s3
	flat_load_dwordx2 v[11:12], v[11:12]
	s_waitcnt vmcnt(0) lgkmcnt(0)
	ds_write_b64 v8, v[11:12] offset:2112
.LBB183_80:
	s_or_b32 exec_lo, exec_lo, s11
	v_add_nc_u32_e32 v7, 16, v9
	v_cmp_le_i32_e64 s3, s7, v7
	s_and_saveexec_b32 s11, s3
	s_xor_b32 s3, exec_lo, s11
; %bb.81:
	v_mov_b32_e32 v11, 0
	v_mov_b32_e32 v12, v11
	ds_write_b64 v8, v[11:12] offset:4224
; %bb.82:
	s_andn2_saveexec_b32 s11, s3
	s_cbranch_execz .LBB183_84
; %bb.83:
	s_lshl_b32 s22, s12, 4
	s_ashr_i32 s23, s22, 31
	s_lshl_b64 s[22:23], s[22:23], 3
	v_add_co_u32 v11, s3, v5, s22
	v_add_co_ci_u32_e64 v12, null, s23, v6, s3
	flat_load_dwordx2 v[11:12], v[11:12]
	s_waitcnt vmcnt(0) lgkmcnt(0)
	ds_write_b64 v8, v[11:12] offset:4224
.LBB183_84:
	s_or_b32 exec_lo, exec_lo, s11
	v_add_nc_u32_e32 v11, 24, v9
	v_cmp_le_i32_e64 s3, s7, v11
	s_and_saveexec_b32 s7, s3
	s_xor_b32 s3, exec_lo, s7
; %bb.85:
	v_mov_b32_e32 v18, 0
	v_mov_b32_e32 v19, v18
	ds_write_b64 v8, v[18:19] offset:6336
                                        ; implicit-def: $vgpr8
; %bb.86:
	s_andn2_saveexec_b32 s7, s3
	s_cbranch_execz .LBB183_88
; %bb.87:
	s_mul_i32 s22, s12, 24
	s_ashr_i32 s23, s22, 31
	s_lshl_b64 s[22:23], s[22:23], 3
	v_add_co_u32 v18, s3, v5, s22
	v_add_co_ci_u32_e64 v19, null, s23, v6, s3
	flat_load_dwordx2 v[18:19], v[18:19]
	s_waitcnt vmcnt(0) lgkmcnt(0)
	ds_write_b64 v8, v[18:19] offset:6336
.LBB183_88:
	s_or_b32 exec_lo, exec_lo, s7
	v_add_co_u32 v5, s3, v5, v10
	v_add_co_ci_u32_e64 v6, null, 0, v6, s3
	v_sub_co_u32 v5, s3, v5, s8
	v_subrev_co_ci_u32_e64 v6, null, s9, v6, s3
	v_add_co_u32 v5, s3, v5, 8
	v_add_co_ci_u32_e64 v6, null, 0, v6, s3
	v_cndmask_b32_e32 v18, v5, v3, vcc_lo
	v_cndmask_b32_e32 v19, v6, v4, vcc_lo
	s_branch .LBB183_91
.LBB183_89:
                                        ; implicit-def: $vgpr18_vgpr19
                                        ; implicit-def: $vgpr2
                                        ; implicit-def: $vgpr7
                                        ; implicit-def: $vgpr11
	s_cbranch_execz .LBB183_91
; %bb.90:
	s_lshl_b32 s8, s12, 3
	s_ashr_i32 s13, s12, 31
	s_ashr_i32 s9, s8, 31
	v_mov_b32_e32 v19, v4
	s_lshl_b64 s[8:9], s[8:9], 3
	v_add_nc_u32_e32 v2, 8, v9
	v_add_co_u32 v5, vcc_lo, v3, s8
	v_add_co_ci_u32_e64 v6, null, s9, v4, vcc_lo
	s_lshl_b64 s[8:9], s[12:13], 6
	v_mov_b32_e32 v18, v3
	v_add_co_u32 v7, vcc_lo, v5, s8
	v_add_co_ci_u32_e64 v8, null, s9, v6, vcc_lo
	v_add_co_u32 v10, vcc_lo, v7, s8
	v_add_co_ci_u32_e64 v11, null, s9, v8, vcc_lo
	s_clause 0x3
	flat_load_dwordx2 v[27:28], v[3:4]
	flat_load_dwordx2 v[5:6], v[5:6]
	;; [unrolled: 1-line block ×4, first 2 shown]
	v_add_nc_u32_e32 v7, 16, v9
	v_add_nc_u32_e32 v11, 24, v9
	s_waitcnt vmcnt(3) lgkmcnt(3)
	ds_write_b64 v13, v[27:28]
	s_waitcnt vmcnt(2) lgkmcnt(3)
	ds_write_b64 v13, v[5:6] offset:2112
	s_waitcnt vmcnt(1) lgkmcnt(3)
	ds_write_b64 v13, v[29:30] offset:4224
	;; [unrolled: 2-line block ×3, first 2 shown]
.LBB183_91:
	v_lshlrev_b32_e32 v3, 3, v9
	v_lshlrev_b32_e32 v2, 3, v2
	s_waitcnt lgkmcnt(0)
	s_barrier
	buffer_gl0_inv
	v_add_nc_u32_e32 v5, v25, v3
	v_lshlrev_b32_e32 v4, 3, v7
	v_lshlrev_b32_e32 v6, 3, v11
	v_add_nc_u32_e32 v7, v25, v2
	ds_read_b64 v[27:28], v5
	ds_read_b64 v[29:30], v2 offset:9088
	ds_read_b64 v[31:32], v3 offset:9088
	v_add_nc_u32_e32 v8, v25, v4
	v_add_nc_u32_e32 v2, v25, v6
	ds_read_b64 v[33:34], v7
	ds_read_b64 v[35:36], v8
	ds_read_b64 v[37:38], v6 offset:9088
	ds_read_b64 v[39:40], v4 offset:9088
	ds_read_b64 v[41:42], v2
	ds_read_b128 v[10:13], v23 offset:256
	ds_read_b128 v[2:5], v23 offset:272
	ds_read2_b64 v[6:9], v22 offset1:33
	ds_read_b64 v[22:23], v21
	ds_read_b64 v[20:21], v20
	s_waitcnt lgkmcnt(0)
	s_barrier
	buffer_gl0_inv
	v_mul_f32_e32 v45, v40, v36
	v_mul_f32_e32 v43, v32, v28
	;; [unrolled: 1-line block ×6, first 2 shown]
	v_fma_f32 v31, v31, v27, -v43
	v_fmac_f32_e32 v28, v32, v27
	v_mul_f32_e32 v27, v39, v36
	v_fma_f32 v29, v29, v33, -v44
	v_fmac_f32_e32 v34, v30, v33
	v_add_f32_e32 v30, 0, v31
	v_add_f32_e32 v28, 0, v28
	v_mul_f32_e32 v31, v37, v42
	v_fma_f32 v32, v39, v35, -v45
	v_fmac_f32_e32 v27, v40, v35
	v_add_f32_e32 v29, v30, v29
	v_add_f32_e32 v28, v28, v34
	v_fma_f32 v30, v37, v41, -v46
	v_fmac_f32_e32 v31, v38, v41
	v_add_f32_e32 v29, v29, v32
	v_add_f32_e32 v28, v28, v27
	;; [unrolled: 1-line block ×4, first 2 shown]
	ds_write_b64 v26, v[27:28]
	s_waitcnt lgkmcnt(0)
	s_barrier
	buffer_gl0_inv
	s_and_saveexec_b32 s3, s2
	s_cbranch_execz .LBB183_93
; %bb.92:
	ds_read2_b64 v[27:30], v25 offset1:1
	ds_read2_b64 v[31:34], v25 offset0:2 offset1:3
	ds_read2_b64 v[35:38], v25 offset0:4 offset1:5
	s_waitcnt lgkmcnt(2)
	v_add_f32_e32 v27, v59, v27
	v_add_f32_e32 v28, v60, v28
	;; [unrolled: 1-line block ×4, first 2 shown]
	ds_read2_b64 v[27:30], v25 offset0:6 offset1:7
	s_waitcnt lgkmcnt(2)
	v_add_f32_e32 v31, v39, v31
	v_add_f32_e32 v32, v40, v32
	v_add_f32_e32 v31, v31, v33
	v_add_f32_e32 v32, v32, v34
	s_waitcnt lgkmcnt(1)
	v_add_f32_e32 v31, v31, v35
	v_add_f32_e32 v32, v32, v36
	v_add_f32_e32 v31, v31, v37
	v_add_f32_e32 v32, v32, v38
	;; [unrolled: 5-line block ×3, first 2 shown]
.LBB183_93:
	s_or_b32 exec_lo, exec_lo, s3
	v_mul_f32_e32 v27, v11, v23
	v_mul_f32_e32 v23, v10, v23
	;; [unrolled: 1-line block ×5, first 2 shown]
	v_fma_f32 v10, v10, v22, -v27
	v_fmac_f32_e32 v23, v11, v22
	v_mul_f32_e32 v9, v2, v9
	v_fma_f32 v12, v12, v6, -v28
	v_fmac_f32_e32 v7, v13, v6
	v_add_f32_e32 v10, 0, v10
	v_add_f32_e32 v6, 0, v23
	v_mul_f32_e32 v11, v5, v21
	v_mul_f32_e32 v13, v4, v21
	v_fma_f32 v2, v2, v8, -v29
	v_add_f32_e32 v10, v10, v12
	v_fmac_f32_e32 v9, v3, v8
	v_add_f32_e32 v3, v6, v7
	v_fma_f32 v4, v4, v20, -v11
	v_fmac_f32_e32 v13, v5, v20
	v_add_f32_e32 v2, v10, v2
	v_add_f32_e32 v3, v3, v9
	s_barrier
	buffer_gl0_inv
	v_add_f32_e32 v2, v2, v4
	v_add_f32_e32 v3, v3, v13
	ds_write_b64 v26, v[2:3]
	s_waitcnt lgkmcnt(0)
	s_barrier
	buffer_gl0_inv
	s_and_saveexec_b32 s2, s1
	s_cbranch_execz .LBB183_95
; %bb.94:
	ds_read2_b64 v[2:5], v25 offset1:1
	ds_read2_b64 v[6:9], v25 offset0:2 offset1:3
	ds_read2_b64 v[10:13], v25 offset0:4 offset1:5
	s_waitcnt lgkmcnt(2)
	v_add_f32_e32 v2, v59, v2
	v_add_f32_e32 v3, v60, v3
	;; [unrolled: 1-line block ×4, first 2 shown]
	ds_read2_b64 v[2:5], v25 offset0:6 offset1:7
	s_waitcnt lgkmcnt(2)
	v_add_f32_e32 v6, v20, v6
	v_add_f32_e32 v7, v21, v7
	v_add_f32_e32 v6, v6, v8
	v_add_f32_e32 v7, v7, v9
	s_waitcnt lgkmcnt(1)
	v_add_f32_e32 v6, v6, v10
	v_add_f32_e32 v7, v7, v11
	v_add_f32_e32 v6, v6, v12
	v_add_f32_e32 v7, v7, v13
	;; [unrolled: 5-line block ×3, first 2 shown]
.LBB183_95:
	s_or_b32 exec_lo, exec_lo, s2
	s_load_dwordx2 s[2:3], s[4:5], 0x68
	s_mul_hi_u32 s1, s15, s14
	s_mul_i32 s25, s25, s14
	s_mul_i32 s4, s15, s14
	s_add_i32 s1, s1, s25
	s_mul_hi_u32 s5, s4, s26
	s_mul_i32 s1, s1, s26
	s_mul_i32 s4, s4, s26
	s_add_i32 s5, s5, s1
	s_mul_hi_i32 s9, s15, s6
	s_lshl_b64 s[4:5], s[4:5], 3
	s_mul_i32 s8, s15, s6
	v_lshlrev_b32_e32 v96, 3, v0
	s_waitcnt lgkmcnt(0)
	s_barrier
	buffer_gl0_inv
	s_add_u32 s1, s2, s4
	s_addc_u32 s4, s3, s5
	s_lshl_b64 s[2:3], s[8:9], 3
	s_add_u32 s7, s1, s2
	s_addc_u32 s11, s4, s3
	s_add_i32 s4, s6, 1
	s_cmp_ge_u32 s4, s26
	s_cbranch_scc1 .LBB183_153
; %bb.96:
	v_lshlrev_b32_e32 v97, 2, v1
	s_mul_i32 s2, s24, s16
	s_ashr_i32 s13, s12, 31
	s_ashr_i32 s3, s2, 31
	s_lshl_b32 s30, s24, 6
	v_mad_u64_u32 v[2:3], null, s12, v97, v[0:1]
	s_lshl_b64 s[2:3], s[2:3], 3
	s_lshl_b32 s22, s12, 1
	v_sub_co_u32 v98, vcc_lo, v16, s2
	s_lshl_b32 s2, s12, 4
	s_mul_i32 s34, s12, 3
	v_ashrrev_i32_e32 v3, 31, v2
	s_mul_i32 s24, s24, s4
	s_lshl_b64 s[16:17], s[12:13], 4
	s_add_i32 s29, s26, -2
	v_subrev_co_ci_u32_e64 v99, null, s3, v17, vcc_lo
	v_lshlrev_b64 v[4:5], 3, v[2:3]
	s_ashr_i32 s3, s2, 31
	s_ashr_i32 s23, s22, 31
	;; [unrolled: 1-line block ×3, first 2 shown]
	s_lshl_b64 s[14:15], s[12:13], 3
	s_lshl_b32 s4, s24, 6
	s_add_u32 s5, s16, s20
	s_addc_u32 s13, s17, s21
	s_lshl_b64 s[8:9], s[2:3], 5
	v_add_co_u32 v9, vcc_lo, s5, v4
	s_add_u32 s31, s14, s20
	v_add_co_ci_u32_e64 v10, null, s13, v5, vcc_lo
	s_addc_u32 s33, s15, s21
	v_add_co_u32 v11, vcc_lo, s31, v4
	s_lshl_b64 s[22:23], s[22:23], 3
	v_add_co_ci_u32_e64 v12, null, s33, v5, vcc_lo
	v_add_co_u32 v13, vcc_lo, s20, v4
	s_add_u32 s36, s20, s22
	s_addc_u32 s37, s21, s23
	s_lshl_b64 s[24:25], s[34:35], 3
	v_add_co_ci_u32_e64 v16, null, s21, v5, vcc_lo
	v_add_co_u32 v17, vcc_lo, s36, v4
	s_add_u32 s36, s20, s24
	v_add_co_ci_u32_e64 v20, null, s37, v5, vcc_lo
	s_addc_u32 s37, s21, s25
	s_lshl_b64 s[34:35], s[2:3], 3
	v_add_co_u32 v21, vcc_lo, s36, v4
	s_add_u32 s36, s5, s34
	v_add_co_ci_u32_e64 v22, null, s37, v5, vcc_lo
	s_addc_u32 s37, s13, s35
	v_add_co_u32 v23, vcc_lo, s36, v4
	s_add_u32 s31, s31, s34
	v_lshrrev_b32_e32 v6, 4, v24
	v_cmp_gt_u32_e64 s1, 64, v24
	v_add_co_ci_u32_e64 v24, null, s37, v5, vcc_lo
	s_addc_u32 s33, s33, s35
	v_add_co_u32 v25, vcc_lo, s31, v4
	s_add_u32 s31, s20, s34
	v_add_co_ci_u32_e64 v26, null, s33, v5, vcc_lo
	s_addc_u32 s33, s21, s35
	v_add_co_u32 v27, vcc_lo, s31, v4
	s_add_u32 s34, s31, s22
	;; [unrolled: 4-line block ×3, first 2 shown]
	v_add_co_ci_u32_e64 v30, null, s35, v5, vcc_lo
	s_addc_u32 s33, s33, s25
	s_lshl_b64 s[34:35], s[2:3], 4
	v_add_co_u32 v31, vcc_lo, s31, v4
	s_add_u32 s3, s5, s34
	v_add_co_ci_u32_e64 v32, null, s33, v5, vcc_lo
	s_addc_u32 s5, s13, s35
	v_add_co_u32 v33, vcc_lo, s3, v4
	s_add_u32 s3, s34, s20
	v_add_co_ci_u32_e64 v34, null, s5, v5, vcc_lo
	s_addc_u32 s5, s35, s21
	s_add_u32 s13, s3, s14
	s_addc_u32 s20, s5, s15
	v_add_co_u32 v35, vcc_lo, s13, v4
	v_add_co_ci_u32_e64 v36, null, s20, v5, vcc_lo
	v_add_co_u32 v37, vcc_lo, s3, v4
	v_add_co_ci_u32_e64 v38, null, s5, v5, vcc_lo
	v_add_co_u32 v2, vcc_lo, s18, v2
	v_add_co_ci_u32_e64 v3, null, s19, v3, vcc_lo
	s_add_u32 s13, s3, s22
	s_addc_u32 s20, s5, s23
	v_add_co_u32 v39, vcc_lo, s13, v4
	v_lshlrev_b64 v[2:3], 3, v[2:3]
	s_add_u32 s3, s3, s24
	v_add_co_ci_u32_e64 v40, null, s20, v5, vcc_lo
	s_addc_u32 s5, s5, s25
	v_add_co_u32 v41, vcc_lo, s3, v4
	v_add_co_ci_u32_e64 v42, null, s5, v5, vcc_lo
	v_mad_i64_i32 v[4:5], null, s2, 24, v[2:3]
	s_mul_i32 s3, s12, 0x180
	s_mul_hi_i32 s5, s2, 24
	s_add_u32 s2, s3, s16
	s_addc_u32 s3, s5, s17
	v_add_co_u32 v2, vcc_lo, s2, v2
	v_add_co_ci_u32_e64 v3, null, s3, v3, vcc_lo
	v_add_co_u32 v43, vcc_lo, v4, s14
	v_add_co_ci_u32_e64 v44, null, s15, v5, vcc_lo
	;; [unrolled: 2-line block ×19, first 2 shown]
	v_add_co_u32 v133, vcc_lo, v18, v41
	v_and_b32_e32 v7, 15, v0
	v_and_b32_e32 v8, 48, v0
	v_lshlrev_b32_e32 v47, 5, v6
	v_add_co_ci_u32_e64 v134, null, v19, v42, vcc_lo
	v_add_co_u32 v135, vcc_lo, v18, v2
	v_add_co_ci_u32_e64 v136, null, v19, v3, vcc_lo
	v_add_co_u32 v137, vcc_lo, v18, v43
	;; [unrolled: 2-line block ×3, first 2 shown]
	v_lshlrev_b32_e32 v8, 3, v8
	v_or_b32_e32 v2, 0x78, v96
	v_mad_u32_u24 v144, 0x218, v7, v47
	v_mul_i32_i24_e32 v3, 0xffffffe8, v6
	v_add_co_ci_u32_e64 v140, null, v19, v46, vcc_lo
	v_add_co_u32 v141, vcc_lo, v18, v4
	v_add_co_ci_u32_e64 v142, null, v19, v5, vcc_lo
	v_sub_co_u32 v147, vcc_lo, 0, v14
	v_add_nc_u32_e32 v100, 0x2180, v96
	v_lshl_add_u32 v101, v1, 5, 0x2180
	v_add_nc_u32_e32 v102, 0x2380, v96
	v_mad_u32_u24 v143, 0x860, v1, v96
	v_mad_u32_u24 v145, 0x218, v7, v8
	;; [unrolled: 1-line block ×3, first 2 shown]
	v_sub_co_ci_u32_e64 v148, null, 0, v15, vcc_lo
	v_add_nc_u32_e32 v149, v144, v3
	v_add_nc_u32_e32 v150, 49, v97
	;; [unrolled: 1-line block ×5, first 2 shown]
	v_mov_b32_e32 v63, 0
	s_cmp_eq_u32 s29, s6
	s_cselect_b32 s3, s27, 0
	s_and_saveexec_b32 s2, s0
	s_cbranch_execz .LBB183_102
	s_branch .LBB183_98
.LBB183_97:                             ;   in Loop: Header=BB183_102 Depth=1
	s_mov_b32 s6, s2
	s_cmp_eq_u32 s29, s6
	s_cselect_b32 s3, s27, 0
	s_and_saveexec_b32 s2, s0
	s_cbranch_execz .LBB183_102
.LBB183_98:
	v_cmp_le_i32_e32 vcc_lo, s3, v0
	s_cmp_lg_u32 s3, 0
	s_cselect_b32 s5, -1, 0
	s_and_b32 s5, s5, vcc_lo
	s_and_saveexec_b32 s12, s5
	s_xor_b32 s5, exec_lo, s12
; %bb.99:
	v_mov_b32_e32 v64, v63
	ds_write_b64 v100, v[63:64]
; %bb.100:
	s_andn2_saveexec_b32 s5, s5
	s_cbranch_execz .LBB183_102
; %bb.101:
	s_ashr_i32 s5, s4, 31
	s_lshl_b64 s[12:13], s[4:5], 3
	v_add_co_u32 v2, vcc_lo, v98, s12
	v_add_co_ci_u32_e64 v3, null, s13, v99, vcc_lo
	flat_load_dwordx2 v[2:3], v[2:3]
	s_waitcnt vmcnt(0) lgkmcnt(0)
	ds_write_b64 v100, v[2:3]
.LBB183_102:                            ; =>This Inner Loop Header: Depth=1
	s_or_b32 exec_lo, exec_lo, s2
	s_cmp_eq_u32 s3, 0
	v_add_co_u32 v2, vcc_lo, v109, v147
	s_cselect_b32 s5, -1, 0
	s_cmp_lg_u32 s3, 0
	v_add_co_ci_u32_e64 v3, null, v110, v148, vcc_lo
	s_cselect_b32 s2, -1, 0
	s_waitcnt lgkmcnt(0)
	s_and_b32 vcc_lo, exec_lo, s2
	s_barrier
	buffer_gl0_inv
	s_cbranch_vccz .LBB183_110
; %bb.103:                              ;   in Loop: Header=BB183_102 Depth=1
	v_mov_b32_e32 v64, 0
	v_mov_b32_e32 v66, 0
	;; [unrolled: 1-line block ×4, first 2 shown]
	s_mov_b32 s12, exec_lo
	v_cmpx_gt_i32_e64 s3, v97
	s_cbranch_execz .LBB183_105
; %bb.104:                              ;   in Loop: Header=BB183_102 Depth=1
	flat_load_dwordx2 v[66:67], v[2:3]
.LBB183_105:                            ;   in Loop: Header=BB183_102 Depth=1
	s_or_b32 exec_lo, exec_lo, s12
	v_or_b32_e32 v4, 1, v97
	s_mov_b32 s12, exec_lo
	v_cmpx_gt_i32_e64 s3, v4
	s_cbranch_execz .LBB183_107
; %bb.106:                              ;   in Loop: Header=BB183_102 Depth=1
	v_add_co_u32 v4, vcc_lo, v107, v147
	v_add_co_ci_u32_e64 v5, null, v108, v148, vcc_lo
	flat_load_dwordx2 v[64:65], v[4:5]
.LBB183_107:                            ;   in Loop: Header=BB183_102 Depth=1
	s_or_b32 exec_lo, exec_lo, s12
	v_mov_b32_e32 v68, 0
	v_or_b32_e32 v4, 2, v97
	v_mov_b32_e32 v69, 0
	s_mov_b32 s12, exec_lo
	v_cmpx_gt_i32_e64 s3, v4
	s_cbranch_execz .LBB183_109
; %bb.108:                              ;   in Loop: Header=BB183_102 Depth=1
	v_add_co_u32 v4, vcc_lo, v111, v147
	v_add_co_ci_u32_e64 v5, null, v112, v148, vcc_lo
	flat_load_dwordx2 v[68:69], v[4:5]
.LBB183_109:                            ;   in Loop: Header=BB183_102 Depth=1
	s_or_b32 exec_lo, exec_lo, s12
	v_or_b32_e32 v4, 3, v97
	v_cmp_gt_i32_e64 s12, s3, v4
	s_branch .LBB183_112
.LBB183_110:                            ;   in Loop: Header=BB183_102 Depth=1
	s_mov_b32 s12, 0
                                        ; implicit-def: $vgpr68_vgpr69
                                        ; implicit-def: $vgpr64_vgpr65
                                        ; implicit-def: $vgpr66_vgpr67
	s_cbranch_execz .LBB183_112
; %bb.111:                              ;   in Loop: Header=BB183_102 Depth=1
	v_add_co_u32 v4, vcc_lo, v107, v147
	v_add_co_ci_u32_e64 v5, null, v108, v148, vcc_lo
	v_add_co_u32 v6, vcc_lo, v105, v147
	v_add_co_ci_u32_e64 v7, null, v106, v148, vcc_lo
	s_waitcnt vmcnt(0) lgkmcnt(0)
	flat_load_dwordx2 v[66:67], v[2:3]
	flat_load_dwordx2 v[64:65], v[4:5]
	flat_load_dwordx2 v[68:69], v[6:7]
	s_or_b32 s12, s12, exec_lo
.LBB183_112:                            ;   in Loop: Header=BB183_102 Depth=1
	v_mov_b32_e32 v70, 0
	v_mov_b32_e32 v71, 0
	s_and_saveexec_b32 s13, s12
	s_cbranch_execz .LBB183_114
; %bb.113:                              ;   in Loop: Header=BB183_102 Depth=1
	v_add_co_u32 v2, vcc_lo, v113, v147
	v_add_co_ci_u32_e64 v3, null, v114, v148, vcc_lo
	flat_load_dwordx2 v[70:71], v[2:3]
.LBB183_114:                            ;   in Loop: Header=BB183_102 Depth=1
	s_or_b32 exec_lo, exec_lo, s13
	ds_read_b64 v[2:3], v102
	v_cndmask_b32_e64 v42, 0, 1, s2
	s_waitcnt vmcnt(0) lgkmcnt(0)
	v_mul_f32_e32 v4, v3, v67
	v_mul_f32_e32 v11, v3, v66
	;; [unrolled: 1-line block ×8, first 2 shown]
	v_fma_f32 v10, v2, v66, -v4
	v_fmac_f32_e32 v11, v2, v67
	v_fma_f32 v12, v2, v64, -v5
	v_fmac_f32_e32 v13, v2, v65
	;; [unrolled: 2-line block ×4, first 2 shown]
	ds_read_b128 v[6:9], v101
	ds_read_b128 v[2:5], v101 offset:16
	ds_write2_b64 v143, v[10:11], v[12:13] offset1:67
	ds_write2_b64 v143, v[14:15], v[16:17] offset0:134 offset1:201
	s_waitcnt lgkmcnt(0)
	s_barrier
	buffer_gl0_inv
	ds_read2_b64 v[18:21], v144 offset1:1
	ds_read2_b64 v[14:17], v144 offset0:2 offset1:3
	v_add_co_u32 v10, vcc_lo, v119, v147
	v_add_co_ci_u32_e64 v11, null, v120, v148, vcc_lo
	s_andn2_b32 vcc_lo, exec_lo, s2
	s_waitcnt lgkmcnt(0)
	s_barrier
	buffer_gl0_inv
	s_cbranch_vccnz .LBB183_122
; %bb.115:                              ;   in Loop: Header=BB183_102 Depth=1
	v_mov_b32_e32 v72, 0
	v_mov_b32_e32 v74, 0
	v_add_nc_u32_e32 v12, 16, v97
	v_mov_b32_e32 v73, 0
	v_mov_b32_e32 v75, 0
	s_mov_b32 s2, exec_lo
	v_cmpx_gt_i32_e64 s3, v12
	s_cbranch_execz .LBB183_117
; %bb.116:                              ;   in Loop: Header=BB183_102 Depth=1
	flat_load_dwordx2 v[74:75], v[10:11]
.LBB183_117:                            ;   in Loop: Header=BB183_102 Depth=1
	s_or_b32 exec_lo, exec_lo, s2
	v_add_nc_u32_e32 v12, 17, v97
	s_mov_b32 s2, exec_lo
	v_cmpx_gt_i32_e64 s3, v12
	s_cbranch_execz .LBB183_119
; %bb.118:                              ;   in Loop: Header=BB183_102 Depth=1
	v_add_co_u32 v12, vcc_lo, v117, v147
	v_add_co_ci_u32_e64 v13, null, v118, v148, vcc_lo
	flat_load_dwordx2 v[72:73], v[12:13]
.LBB183_119:                            ;   in Loop: Header=BB183_102 Depth=1
	s_or_b32 exec_lo, exec_lo, s2
	v_mov_b32_e32 v76, 0
	v_add_nc_u32_e32 v12, 18, v97
	v_mov_b32_e32 v77, 0
	s_mov_b32 s2, exec_lo
	v_cmpx_gt_i32_e64 s3, v12
	s_cbranch_execz .LBB183_121
; %bb.120:                              ;   in Loop: Header=BB183_102 Depth=1
	v_add_co_u32 v12, vcc_lo, v121, v147
	v_add_co_ci_u32_e64 v13, null, v122, v148, vcc_lo
	flat_load_dwordx2 v[76:77], v[12:13]
.LBB183_121:                            ;   in Loop: Header=BB183_102 Depth=1
	s_or_b32 exec_lo, exec_lo, s2
	v_add_nc_u32_e32 v12, 19, v97
	v_cmp_gt_i32_e64 s2, s3, v12
	s_branch .LBB183_124
.LBB183_122:                            ;   in Loop: Header=BB183_102 Depth=1
	s_mov_b32 s2, 0
                                        ; implicit-def: $vgpr76_vgpr77
                                        ; implicit-def: $vgpr72_vgpr73
                                        ; implicit-def: $vgpr74_vgpr75
	s_cbranch_execz .LBB183_124
; %bb.123:                              ;   in Loop: Header=BB183_102 Depth=1
	v_add_co_u32 v12, vcc_lo, v117, v147
	v_add_co_ci_u32_e64 v13, null, v118, v148, vcc_lo
	v_add_co_u32 v22, vcc_lo, v115, v147
	v_add_co_ci_u32_e64 v23, null, v116, v148, vcc_lo
	s_waitcnt vmcnt(0) lgkmcnt(0)
	flat_load_dwordx2 v[74:75], v[10:11]
	flat_load_dwordx2 v[72:73], v[12:13]
	;; [unrolled: 1-line block ×3, first 2 shown]
	s_or_b32 s2, s2, exec_lo
.LBB183_124:                            ;   in Loop: Header=BB183_102 Depth=1
	v_mov_b32_e32 v78, 0
	v_mov_b32_e32 v79, 0
	s_and_saveexec_b32 s12, s2
	s_cbranch_execz .LBB183_126
; %bb.125:                              ;   in Loop: Header=BB183_102 Depth=1
	v_add_co_u32 v10, vcc_lo, v123, v147
	v_add_co_ci_u32_e64 v11, null, v124, v148, vcc_lo
	flat_load_dwordx2 v[78:79], v[10:11]
.LBB183_126:                            ;   in Loop: Header=BB183_102 Depth=1
	s_or_b32 exec_lo, exec_lo, s12
	ds_read_b64 v[10:11], v102
	v_cmp_ne_u32_e32 vcc_lo, 1, v42
	s_and_b32 vcc_lo, exec_lo, vcc_lo
	s_waitcnt vmcnt(0) lgkmcnt(0)
	v_mul_f32_e32 v12, v11, v75
	v_mul_f32_e32 v27, v11, v74
	;; [unrolled: 1-line block ×8, first 2 shown]
	v_fma_f32 v26, v10, v74, -v12
	v_fmac_f32_e32 v27, v10, v75
	v_fma_f32 v28, v10, v72, -v13
	v_fmac_f32_e32 v29, v10, v73
	;; [unrolled: 2-line block ×4, first 2 shown]
	ds_read_b128 v[22:25], v101 offset:128
	ds_read_b128 v[10:13], v101 offset:144
	ds_write2_b64 v143, v[26:27], v[28:29] offset1:67
	ds_write2_b64 v143, v[30:31], v[32:33] offset0:134 offset1:201
	s_waitcnt lgkmcnt(0)
	s_barrier
	buffer_gl0_inv
	ds_read2_b64 v[38:41], v144 offset1:1
	ds_read2_b64 v[34:37], v144 offset0:2 offset1:3
	v_add_co_u32 v26, s2, v129, v147
	v_add_co_ci_u32_e64 v27, null, v130, v148, s2
	s_waitcnt lgkmcnt(0)
	s_barrier
	buffer_gl0_inv
	s_cbranch_vccnz .LBB183_134
; %bb.127:                              ;   in Loop: Header=BB183_102 Depth=1
	v_mov_b32_e32 v80, 0
	v_mov_b32_e32 v82, 0
	v_add_nc_u32_e32 v28, 32, v97
	v_mov_b32_e32 v81, 0
	v_mov_b32_e32 v83, 0
	s_mov_b32 s2, exec_lo
	v_cmpx_gt_i32_e64 s3, v28
	s_cbranch_execz .LBB183_129
; %bb.128:                              ;   in Loop: Header=BB183_102 Depth=1
	flat_load_dwordx2 v[82:83], v[26:27]
.LBB183_129:                            ;   in Loop: Header=BB183_102 Depth=1
	s_or_b32 exec_lo, exec_lo, s2
	v_add_nc_u32_e32 v28, 33, v97
	s_mov_b32 s2, exec_lo
	v_cmpx_gt_i32_e64 s3, v28
	s_cbranch_execz .LBB183_131
; %bb.130:                              ;   in Loop: Header=BB183_102 Depth=1
	v_add_co_u32 v28, vcc_lo, v127, v147
	v_add_co_ci_u32_e64 v29, null, v128, v148, vcc_lo
	flat_load_dwordx2 v[80:81], v[28:29]
.LBB183_131:                            ;   in Loop: Header=BB183_102 Depth=1
	s_or_b32 exec_lo, exec_lo, s2
	v_mov_b32_e32 v84, 0
	v_add_nc_u32_e32 v28, 34, v97
	v_mov_b32_e32 v85, 0
	s_mov_b32 s2, exec_lo
	v_cmpx_gt_i32_e64 s3, v28
	s_cbranch_execz .LBB183_133
; %bb.132:                              ;   in Loop: Header=BB183_102 Depth=1
	v_add_co_u32 v28, vcc_lo, v131, v147
	v_add_co_ci_u32_e64 v29, null, v132, v148, vcc_lo
	flat_load_dwordx2 v[84:85], v[28:29]
.LBB183_133:                            ;   in Loop: Header=BB183_102 Depth=1
	s_or_b32 exec_lo, exec_lo, s2
	v_add_nc_u32_e32 v28, 35, v97
	v_cmp_gt_i32_e64 s2, s3, v28
	s_branch .LBB183_136
.LBB183_134:                            ;   in Loop: Header=BB183_102 Depth=1
	s_mov_b32 s2, 0
                                        ; implicit-def: $vgpr84_vgpr85
                                        ; implicit-def: $vgpr80_vgpr81
                                        ; implicit-def: $vgpr82_vgpr83
	s_cbranch_execz .LBB183_136
; %bb.135:                              ;   in Loop: Header=BB183_102 Depth=1
	v_add_co_u32 v28, vcc_lo, v127, v147
	v_add_co_ci_u32_e64 v29, null, v128, v148, vcc_lo
	v_add_co_u32 v30, vcc_lo, v125, v147
	v_add_co_ci_u32_e64 v31, null, v126, v148, vcc_lo
	s_waitcnt vmcnt(0) lgkmcnt(0)
	flat_load_dwordx2 v[82:83], v[26:27]
	flat_load_dwordx2 v[80:81], v[28:29]
	;; [unrolled: 1-line block ×3, first 2 shown]
	s_or_b32 s2, s2, exec_lo
.LBB183_136:                            ;   in Loop: Header=BB183_102 Depth=1
	v_mov_b32_e32 v86, 0
	v_mov_b32_e32 v87, 0
	s_and_saveexec_b32 s12, s2
	s_cbranch_execz .LBB183_138
; %bb.137:                              ;   in Loop: Header=BB183_102 Depth=1
	v_add_co_u32 v26, vcc_lo, v133, v147
	v_add_co_ci_u32_e64 v27, null, v134, v148, vcc_lo
	flat_load_dwordx2 v[86:87], v[26:27]
.LBB183_138:                            ;   in Loop: Header=BB183_102 Depth=1
	s_or_b32 exec_lo, exec_lo, s12
	ds_read_b64 v[26:27], v102
	v_cmp_ne_u32_e32 vcc_lo, 1, v42
	v_add_co_u32 v42, s2, v103, v147
	s_and_b32 vcc_lo, exec_lo, vcc_lo
	s_waitcnt vmcnt(0) lgkmcnt(0)
	v_mul_f32_e32 v28, v27, v83
	v_mul_f32_e32 v44, v27, v82
	;; [unrolled: 1-line block ×8, first 2 shown]
	v_fma_f32 v43, v26, v82, -v28
	v_fmac_f32_e32 v44, v26, v83
	v_fma_f32 v45, v26, v80, -v29
	v_fmac_f32_e32 v46, v26, v81
	;; [unrolled: 2-line block ×4, first 2 shown]
	ds_read_b128 v[30:33], v101 offset:256
	ds_read_b128 v[26:29], v101 offset:272
	ds_write2_b64 v143, v[43:44], v[45:46] offset1:67
	ds_write2_b64 v143, v[47:48], v[49:50] offset0:134 offset1:201
	s_waitcnt lgkmcnt(0)
	s_barrier
	buffer_gl0_inv
	ds_read2_b64 v[54:57], v144 offset1:1
	ds_read2_b64 v[50:53], v144 offset0:2 offset1:3
	v_add_co_ci_u32_e64 v43, null, v104, v148, s2
	s_waitcnt lgkmcnt(0)
	s_barrier
	buffer_gl0_inv
	s_cbranch_vccnz .LBB183_146
; %bb.139:                              ;   in Loop: Header=BB183_102 Depth=1
	v_mov_b32_e32 v88, 0
	v_mov_b32_e32 v90, 0
	v_add_nc_u32_e32 v44, 48, v97
	v_mov_b32_e32 v89, 0
	v_mov_b32_e32 v91, 0
	s_mov_b32 s2, exec_lo
	v_cmpx_gt_i32_e64 s3, v44
	s_cbranch_execz .LBB183_141
; %bb.140:                              ;   in Loop: Header=BB183_102 Depth=1
	flat_load_dwordx2 v[90:91], v[42:43]
.LBB183_141:                            ;   in Loop: Header=BB183_102 Depth=1
	s_or_b32 exec_lo, exec_lo, s2
	s_mov_b32 s2, exec_lo
	v_cmpx_gt_i32_e64 s3, v150
	s_cbranch_execz .LBB183_143
; %bb.142:                              ;   in Loop: Header=BB183_102 Depth=1
	v_add_co_u32 v44, vcc_lo, v137, v147
	v_add_co_ci_u32_e64 v45, null, v138, v148, vcc_lo
	flat_load_dwordx2 v[88:89], v[44:45]
.LBB183_143:                            ;   in Loop: Header=BB183_102 Depth=1
	s_or_b32 exec_lo, exec_lo, s2
	v_mov_b32_e32 v92, 0
	v_mov_b32_e32 v93, 0
	s_mov_b32 s2, exec_lo
	v_cmpx_gt_i32_e64 s3, v151
	s_cbranch_execz .LBB183_145
; %bb.144:                              ;   in Loop: Header=BB183_102 Depth=1
	v_add_co_u32 v44, vcc_lo, v139, v147
	v_add_co_ci_u32_e64 v45, null, v140, v148, vcc_lo
	flat_load_dwordx2 v[92:93], v[44:45]
.LBB183_145:                            ;   in Loop: Header=BB183_102 Depth=1
	s_or_b32 exec_lo, exec_lo, s2
	v_cmp_gt_i32_e64 s2, s3, v152
	s_branch .LBB183_148
.LBB183_146:                            ;   in Loop: Header=BB183_102 Depth=1
	s_mov_b32 s2, 0
                                        ; implicit-def: $vgpr92_vgpr93
                                        ; implicit-def: $vgpr88_vgpr89
                                        ; implicit-def: $vgpr90_vgpr91
	s_cbranch_execz .LBB183_148
; %bb.147:                              ;   in Loop: Header=BB183_102 Depth=1
	v_add_co_u32 v44, vcc_lo, v137, v147
	v_add_co_ci_u32_e64 v45, null, v138, v148, vcc_lo
	v_add_co_u32 v46, vcc_lo, v135, v147
	v_add_co_ci_u32_e64 v47, null, v136, v148, vcc_lo
	s_waitcnt vmcnt(0) lgkmcnt(0)
	flat_load_dwordx2 v[90:91], v[42:43]
	flat_load_dwordx2 v[88:89], v[44:45]
	flat_load_dwordx2 v[92:93], v[46:47]
	s_or_b32 s2, s2, exec_lo
.LBB183_148:                            ;   in Loop: Header=BB183_102 Depth=1
	v_mov_b32_e32 v94, 0
	v_mov_b32_e32 v95, 0
	s_and_saveexec_b32 s12, s2
	s_cbranch_execz .LBB183_150
; %bb.149:                              ;   in Loop: Header=BB183_102 Depth=1
	v_add_co_u32 v42, vcc_lo, v141, v147
	v_add_co_ci_u32_e64 v43, null, v142, v148, vcc_lo
	flat_load_dwordx2 v[94:95], v[42:43]
.LBB183_150:                            ;   in Loop: Header=BB183_102 Depth=1
	s_or_b32 exec_lo, exec_lo, s12
	ds_read_b64 v[42:43], v102
	v_add_f32_e32 v54, 0, v54
	v_add_f32_e32 v55, 0, v55
	;; [unrolled: 1-line block ×10, first 2 shown]
	v_cmp_gt_i32_e32 vcc_lo, s3, v0
	v_add_f32_e32 v18, v18, v20
	v_add_f32_e32 v34, v38, v34
	;; [unrolled: 1-line block ×8, first 2 shown]
	s_waitcnt vmcnt(0) lgkmcnt(0)
	v_mul_f32_e32 v44, v43, v91
	v_mul_f32_e32 v154, v43, v90
	;; [unrolled: 1-line block ×8, first 2 shown]
	v_fma_f32 v153, v42, v90, -v44
	v_fmac_f32_e32 v154, v42, v91
	v_fma_f32 v155, v42, v88, -v45
	v_fmac_f32_e32 v156, v42, v89
	;; [unrolled: 2-line block ×4, first 2 shown]
	ds_read_b128 v[46:49], v101 offset:384
	ds_read_b128 v[42:45], v101 offset:400
	ds_write2_b64 v143, v[153:154], v[155:156] offset1:67
	ds_write2_b64 v143, v[157:158], v[159:160] offset0:134 offset1:201
	s_waitcnt lgkmcnt(0)
	s_barrier
	buffer_gl0_inv
	ds_read2_b64 v[153:156], v144 offset1:1
	v_add_f32_e32 v157, v55, v57
	ds_read2_b64 v[54:57], v144 offset0:2 offset1:3
	v_add_f32_e32 v16, v39, v16
	v_add_f32_e32 v17, v41, v17
	s_or_b32 s2, s5, vcc_lo
	v_add_f32_e32 v21, v157, v51
	s_and_b32 s3, s1, s2
	s_waitcnt lgkmcnt(0)
	s_barrier
	buffer_gl0_inv
	v_add_f32_e32 v15, v21, v53
	v_add_f32_e32 v38, 0, v153
	;; [unrolled: 1-line block ×10, first 2 shown]
	ds_write2_b64 v149, v[16:17], v[18:19] offset1:16
	ds_write2_b64 v149, v[14:15], v[20:21] offset0:32 offset1:48
	s_waitcnt lgkmcnt(0)
	s_barrier
	buffer_gl0_inv
	s_and_saveexec_b32 s2, s3
	s_cbranch_execz .LBB183_152
; %bb.151:                              ;   in Loop: Header=BB183_102 Depth=1
	ds_read_b64 v[38:39], v145
	ds_read2_b64 v[14:17], v145 offset0:1 offset1:2
	ds_read2_b64 v[18:21], v145 offset0:3 offset1:4
	ds_read2_b64 v[34:37], v145 offset0:5 offset1:6
	v_ashrrev_i32_e32 v62, 31, v61
	s_waitcnt lgkmcnt(2)
	v_add_f32_e32 v14, v14, v38
	v_add_f32_e32 v15, v15, v39
	v_add_f32_e32 v38, v16, v14
	v_add_f32_e32 v39, v17, v15
	ds_read2_b64 v[14:17], v145 offset0:7 offset1:8
	s_waitcnt lgkmcnt(2)
	v_add_f32_e32 v18, v38, v18
	v_add_f32_e32 v19, v39, v19
	v_add_f32_e32 v38, v18, v20
	v_add_f32_e32 v39, v19, v21
	ds_read2_b64 v[18:21], v145 offset0:9 offset1:10
	;; [unrolled: 6-line block ×4, first 2 shown]
	s_waitcnt lgkmcnt(2)
	v_add_f32_e32 v18, v38, v18
	v_add_f32_e32 v19, v39, v19
	;; [unrolled: 1-line block ×4, first 2 shown]
	ds_read_b64 v[18:19], v146
	s_waitcnt lgkmcnt(2)
	v_add_f32_e32 v20, v20, v34
	v_add_f32_e32 v21, v21, v35
	;; [unrolled: 1-line block ×4, first 2 shown]
	s_waitcnt lgkmcnt(1)
	v_add_f32_e32 v14, v20, v14
	v_add_f32_e32 v15, v21, v15
	;; [unrolled: 1-line block ×4, first 2 shown]
	v_lshlrev_b64 v[14:15], 3, v[61:62]
	s_waitcnt lgkmcnt(0)
	v_add_f32_e32 v16, v16, v18
	v_add_f32_e32 v17, v17, v19
	v_add_co_u32 v14, vcc_lo, s7, v14
	v_add_co_ci_u32_e64 v15, null, s11, v15, vcc_lo
	global_store_dwordx2 v[14:15], v[16:17], off
.LBB183_152:                            ;   in Loop: Header=BB183_102 Depth=1
	s_or_b32 exec_lo, exec_lo, s2
	v_mul_f32_e32 v14, v7, v67
	v_mul_f32_e32 v7, v7, v66
	;; [unrolled: 1-line block ×5, first 2 shown]
	v_fma_f32 v14, v6, v66, -v14
	v_fmac_f32_e32 v7, v6, v67
	v_fma_f32 v15, v8, v64, -v15
	v_mul_f32_e32 v3, v3, v68
	v_mul_f32_e32 v17, v5, v71
	v_add_f32_e32 v14, v59, v14
	v_fma_f32 v6, v2, v68, -v16
	v_fmac_f32_e32 v9, v8, v65
	v_add_f32_e32 v7, v60, v7
	v_mul_f32_e32 v5, v5, v70
	v_add_f32_e32 v14, v14, v15
	v_mul_f32_e32 v18, v23, v75
	v_fma_f32 v8, v4, v70, -v17
	v_fmac_f32_e32 v3, v2, v69
	v_add_f32_e32 v2, v7, v9
	v_add_f32_e32 v6, v14, v6
	v_mul_f32_e32 v19, v23, v74
	v_mul_f32_e32 v15, v25, v73
	v_fma_f32 v7, v22, v74, -v18
	v_fmac_f32_e32 v5, v4, v71
	v_add_f32_e32 v6, v6, v8
	v_add_f32_e32 v2, v2, v3
	v_mul_f32_e32 v14, v25, v72
	v_mul_f32_e32 v8, v11, v77
	v_fma_f32 v3, v24, v72, -v15
	v_add_f32_e32 v4, v6, v7
	v_fmac_f32_e32 v19, v22, v75
	v_add_f32_e32 v2, v2, v5
	v_mul_f32_e32 v6, v13, v79
	v_fma_f32 v5, v10, v76, -v8
	v_add_f32_e32 v3, v4, v3
	v_mul_f32_e32 v4, v11, v76
	v_fmac_f32_e32 v14, v24, v73
	v_add_f32_e32 v2, v2, v19
	v_fma_f32 v6, v12, v78, -v6
	v_add_f32_e32 v3, v3, v5
	v_mul_f32_e32 v5, v31, v83
	v_fmac_f32_e32 v4, v10, v77
	v_add_f32_e32 v2, v2, v14
	v_mul_f32_e32 v7, v13, v78
	v_add_f32_e32 v3, v3, v6
	v_fma_f32 v5, v30, v82, -v5
	v_mul_f32_e32 v6, v33, v81
	v_add_f32_e32 v2, v2, v4
	v_fmac_f32_e32 v7, v12, v79
	v_mul_f32_e32 v4, v31, v82
	v_add_f32_e32 v3, v3, v5
	v_fma_f32 v5, v32, v80, -v6
	v_mul_f32_e32 v6, v27, v85
	v_add_f32_e32 v2, v2, v7
	v_fmac_f32_e32 v4, v30, v83
	v_mul_f32_e32 v7, v33, v80
	v_add_co_u32 v105, vcc_lo, v105, s8
	v_add_co_ci_u32_e64 v106, null, s9, v106, vcc_lo
	v_add_co_u32 v107, vcc_lo, v107, s8
	v_add_co_ci_u32_e64 v108, null, s9, v108, vcc_lo
	v_add_co_u32 v109, vcc_lo, v109, s8
	v_add_f32_e32 v3, v3, v5
	v_fma_f32 v5, v26, v84, -v6
	v_mul_f32_e32 v6, v29, v87
	v_add_f32_e32 v2, v2, v4
	v_fmac_f32_e32 v7, v32, v81
	v_mul_f32_e32 v4, v27, v84
	v_add_co_ci_u32_e64 v110, null, s9, v110, vcc_lo
	v_add_co_u32 v111, vcc_lo, v111, s8
	v_add_co_ci_u32_e64 v112, null, s9, v112, vcc_lo
	v_add_co_u32 v113, vcc_lo, v113, s8
	v_add_f32_e32 v3, v3, v5
	v_fma_f32 v5, v28, v86, -v6
	v_add_f32_e32 v2, v2, v7
	v_fmac_f32_e32 v4, v26, v85
	v_mul_f32_e32 v6, v47, v91
	v_mul_f32_e32 v7, v29, v86
	v_add_co_ci_u32_e64 v114, null, s9, v114, vcc_lo
	v_add_co_u32 v115, vcc_lo, v115, s8
	v_add_co_ci_u32_e64 v116, null, s9, v116, vcc_lo
	v_add_co_u32 v117, vcc_lo, v117, s8
	;; [unrolled: 2-line block ×3, first 2 shown]
	v_add_f32_e32 v3, v3, v5
	v_add_f32_e32 v2, v2, v4
	v_fma_f32 v4, v46, v90, -v6
	v_mul_f32_e32 v5, v49, v89
	v_fmac_f32_e32 v7, v28, v87
	v_mul_f32_e32 v6, v47, v90
	v_add_co_ci_u32_e64 v120, null, s9, v120, vcc_lo
	v_add_co_u32 v121, vcc_lo, v121, s8
	v_add_co_ci_u32_e64 v122, null, s9, v122, vcc_lo
	v_add_co_u32 v123, vcc_lo, v123, s8
	v_add_f32_e32 v3, v3, v4
	v_fma_f32 v4, v48, v88, -v5
	v_add_f32_e32 v2, v2, v7
	v_mul_f32_e32 v5, v49, v88
	v_fmac_f32_e32 v6, v46, v91
	v_add_co_ci_u32_e64 v124, null, s9, v124, vcc_lo
	v_add_co_u32 v125, vcc_lo, v125, s8
	v_add_co_ci_u32_e64 v126, null, s9, v126, vcc_lo
	v_add_co_u32 v127, vcc_lo, v127, s8
	;; [unrolled: 2-line block ×3, first 2 shown]
	v_mul_f32_e32 v7, v43, v93
	v_add_f32_e32 v3, v3, v4
	v_mul_f32_e32 v4, v43, v92
	v_fmac_f32_e32 v5, v48, v89
	v_add_f32_e32 v2, v2, v6
	v_add_co_ci_u32_e64 v130, null, s9, v130, vcc_lo
	v_add_co_u32 v131, vcc_lo, v131, s8
	v_add_co_ci_u32_e64 v132, null, s9, v132, vcc_lo
	v_add_co_u32 v133, vcc_lo, v133, s8
	v_fma_f32 v6, v42, v92, -v7
	v_mul_f32_e32 v7, v45, v95
	v_mul_f32_e32 v8, v45, v94
	v_fmac_f32_e32 v4, v42, v93
	v_add_f32_e32 v2, v2, v5
	v_add_co_ci_u32_e64 v134, null, s9, v134, vcc_lo
	v_add_co_u32 v135, vcc_lo, v135, s8
	v_add_co_ci_u32_e64 v136, null, s9, v136, vcc_lo
	v_add_co_u32 v137, vcc_lo, v137, s8
	;; [unrolled: 2-line block ×3, first 2 shown]
	v_add_f32_e32 v3, v3, v6
	v_fma_f32 v5, v44, v94, -v7
	v_fmac_f32_e32 v8, v44, v95
	v_add_f32_e32 v2, v2, v4
	v_add_co_ci_u32_e64 v104, null, s9, v104, vcc_lo
	v_add_co_u32 v139, vcc_lo, v139, s8
	v_add_co_ci_u32_e64 v140, null, s9, v140, vcc_lo
	v_add_co_u32 v141, vcc_lo, v141, s8
	v_add_f32_e32 v59, v3, v5
	v_add_f32_e32 v60, v2, v8
	v_add_nc_u32_e32 v61, 64, v61
	v_add_co_ci_u32_e64 v142, null, s9, v142, vcc_lo
	s_add_i32 s3, s6, 2
	s_add_i32 s2, s6, 1
	;; [unrolled: 1-line block ×3, first 2 shown]
	s_cmp_ge_u32 s3, s26
	s_waitcnt_vscnt null, 0x0
	s_barrier
	buffer_gl0_inv
	s_cbranch_scc0 .LBB183_97
.LBB183_153:
	v_cmp_gt_i32_e32 vcc_lo, s10, v0
	v_mad_u32_u24 v1, 0x218, v1, v96
	s_or_b32 s1, s28, vcc_lo
	ds_write_b64 v1, v[59:60]
	s_and_b32 s0, s0, s1
	s_waitcnt lgkmcnt(0)
	s_barrier
	buffer_gl0_inv
	s_and_saveexec_b32 s1, s0
	s_cbranch_execz .LBB183_155
; %bb.154:
	ds_read2_b64 v[0:3], v96 offset1:67
	ds_read2_b64 v[4:7], v96 offset0:134 offset1:201
	v_ashrrev_i32_e32 v59, 31, v58
	s_waitcnt lgkmcnt(1)
	v_add_f32_e32 v0, v2, v0
	v_add_f32_e32 v1, v3, v1
	s_waitcnt lgkmcnt(0)
	v_add_f32_e32 v2, v4, v0
	v_add_f32_e32 v3, v5, v1
	v_lshlrev_b64 v[0:1], 3, v[58:59]
	v_add_f32_e32 v2, v2, v6
	v_add_f32_e32 v3, v3, v7
	v_add_co_u32 v0, vcc_lo, s7, v0
	v_add_co_ci_u32_e64 v1, null, s11, v1, vcc_lo
	global_store_dwordx2 v[0:1], v[2:3], off
.LBB183_155:
	s_endpgm
	.section	.rodata,"a",@progbits
	.p2align	6, 0x0
	.amdhsa_kernel _ZL26rocblas_hemvn_kernel_upperILb0ELi64ELi4ELi33ELi32ELi16Ei19rocblas_complex_numIfEPKPKS1_PS1_EviT6_lT7_lT5_lS8_lS9_lS7_lT8_i
		.amdhsa_group_segment_fixed_size 9600
		.amdhsa_private_segment_fixed_size 0
		.amdhsa_kernarg_size 376
		.amdhsa_user_sgpr_count 6
		.amdhsa_user_sgpr_private_segment_buffer 1
		.amdhsa_user_sgpr_dispatch_ptr 0
		.amdhsa_user_sgpr_queue_ptr 0
		.amdhsa_user_sgpr_kernarg_segment_ptr 1
		.amdhsa_user_sgpr_dispatch_id 0
		.amdhsa_user_sgpr_flat_scratch_init 0
		.amdhsa_user_sgpr_private_segment_size 0
		.amdhsa_wavefront_size32 1
		.amdhsa_uses_dynamic_stack 0
		.amdhsa_system_sgpr_private_segment_wavefront_offset 0
		.amdhsa_system_sgpr_workgroup_id_x 1
		.amdhsa_system_sgpr_workgroup_id_y 0
		.amdhsa_system_sgpr_workgroup_id_z 1
		.amdhsa_system_sgpr_workgroup_info 0
		.amdhsa_system_vgpr_workitem_id 1
		.amdhsa_next_free_vgpr 161
		.amdhsa_next_free_sgpr 38
		.amdhsa_reserve_vcc 1
		.amdhsa_reserve_flat_scratch 1
		.amdhsa_float_round_mode_32 0
		.amdhsa_float_round_mode_16_64 0
		.amdhsa_float_denorm_mode_32 3
		.amdhsa_float_denorm_mode_16_64 3
		.amdhsa_dx10_clamp 1
		.amdhsa_ieee_mode 1
		.amdhsa_fp16_overflow 0
		.amdhsa_workgroup_processor_mode 1
		.amdhsa_memory_ordered 1
		.amdhsa_forward_progress 1
		.amdhsa_shared_vgpr_count 0
		.amdhsa_exception_fp_ieee_invalid_op 0
		.amdhsa_exception_fp_denorm_src 0
		.amdhsa_exception_fp_ieee_div_zero 0
		.amdhsa_exception_fp_ieee_overflow 0
		.amdhsa_exception_fp_ieee_underflow 0
		.amdhsa_exception_fp_ieee_inexact 0
		.amdhsa_exception_int_div_zero 0
	.end_amdhsa_kernel
	.section	.text._ZL26rocblas_hemvn_kernel_upperILb0ELi64ELi4ELi33ELi32ELi16Ei19rocblas_complex_numIfEPKPKS1_PS1_EviT6_lT7_lT5_lS8_lS9_lS7_lT8_i,"axG",@progbits,_ZL26rocblas_hemvn_kernel_upperILb0ELi64ELi4ELi33ELi32ELi16Ei19rocblas_complex_numIfEPKPKS1_PS1_EviT6_lT7_lT5_lS8_lS9_lS7_lT8_i,comdat
.Lfunc_end183:
	.size	_ZL26rocblas_hemvn_kernel_upperILb0ELi64ELi4ELi33ELi32ELi16Ei19rocblas_complex_numIfEPKPKS1_PS1_EviT6_lT7_lT5_lS8_lS9_lS7_lT8_i, .Lfunc_end183-_ZL26rocblas_hemvn_kernel_upperILb0ELi64ELi4ELi33ELi32ELi16Ei19rocblas_complex_numIfEPKPKS1_PS1_EviT6_lT7_lT5_lS8_lS9_lS7_lT8_i
                                        ; -- End function
	.set _ZL26rocblas_hemvn_kernel_upperILb0ELi64ELi4ELi33ELi32ELi16Ei19rocblas_complex_numIfEPKPKS1_PS1_EviT6_lT7_lT5_lS8_lS9_lS7_lT8_i.num_vgpr, 161
	.set _ZL26rocblas_hemvn_kernel_upperILb0ELi64ELi4ELi33ELi32ELi16Ei19rocblas_complex_numIfEPKPKS1_PS1_EviT6_lT7_lT5_lS8_lS9_lS7_lT8_i.num_agpr, 0
	.set _ZL26rocblas_hemvn_kernel_upperILb0ELi64ELi4ELi33ELi32ELi16Ei19rocblas_complex_numIfEPKPKS1_PS1_EviT6_lT7_lT5_lS8_lS9_lS7_lT8_i.numbered_sgpr, 38
	.set _ZL26rocblas_hemvn_kernel_upperILb0ELi64ELi4ELi33ELi32ELi16Ei19rocblas_complex_numIfEPKPKS1_PS1_EviT6_lT7_lT5_lS8_lS9_lS7_lT8_i.num_named_barrier, 0
	.set _ZL26rocblas_hemvn_kernel_upperILb0ELi64ELi4ELi33ELi32ELi16Ei19rocblas_complex_numIfEPKPKS1_PS1_EviT6_lT7_lT5_lS8_lS9_lS7_lT8_i.private_seg_size, 0
	.set _ZL26rocblas_hemvn_kernel_upperILb0ELi64ELi4ELi33ELi32ELi16Ei19rocblas_complex_numIfEPKPKS1_PS1_EviT6_lT7_lT5_lS8_lS9_lS7_lT8_i.uses_vcc, 1
	.set _ZL26rocblas_hemvn_kernel_upperILb0ELi64ELi4ELi33ELi32ELi16Ei19rocblas_complex_numIfEPKPKS1_PS1_EviT6_lT7_lT5_lS8_lS9_lS7_lT8_i.uses_flat_scratch, 1
	.set _ZL26rocblas_hemvn_kernel_upperILb0ELi64ELi4ELi33ELi32ELi16Ei19rocblas_complex_numIfEPKPKS1_PS1_EviT6_lT7_lT5_lS8_lS9_lS7_lT8_i.has_dyn_sized_stack, 0
	.set _ZL26rocblas_hemvn_kernel_upperILb0ELi64ELi4ELi33ELi32ELi16Ei19rocblas_complex_numIfEPKPKS1_PS1_EviT6_lT7_lT5_lS8_lS9_lS7_lT8_i.has_recursion, 0
	.set _ZL26rocblas_hemvn_kernel_upperILb0ELi64ELi4ELi33ELi32ELi16Ei19rocblas_complex_numIfEPKPKS1_PS1_EviT6_lT7_lT5_lS8_lS9_lS7_lT8_i.has_indirect_call, 0
	.section	.AMDGPU.csdata,"",@progbits
; Kernel info:
; codeLenInByte = 9296
; TotalNumSgprs: 40
; NumVgprs: 161
; ScratchSize: 0
; MemoryBound: 1
; FloatMode: 240
; IeeeMode: 1
; LDSByteSize: 9600 bytes/workgroup (compile time only)
; SGPRBlocks: 0
; VGPRBlocks: 20
; NumSGPRsForWavesPerEU: 40
; NumVGPRsForWavesPerEU: 161
; Occupancy: 5
; WaveLimiterHint : 1
; COMPUTE_PGM_RSRC2:SCRATCH_EN: 0
; COMPUTE_PGM_RSRC2:USER_SGPR: 6
; COMPUTE_PGM_RSRC2:TRAP_HANDLER: 0
; COMPUTE_PGM_RSRC2:TGID_X_EN: 1
; COMPUTE_PGM_RSRC2:TGID_Y_EN: 0
; COMPUTE_PGM_RSRC2:TGID_Z_EN: 1
; COMPUTE_PGM_RSRC2:TIDIG_COMP_CNT: 1
	.section	.text._ZL26rocblas_hemvn_kernel_lowerILb0ELi64ELi4ELi33ELi32ELi16ElPK19rocblas_complex_numIfEPKS3_PS1_EviT6_lT7_lT5_lS8_lS9_lS7_lT8_i,"axG",@progbits,_ZL26rocblas_hemvn_kernel_lowerILb0ELi64ELi4ELi33ELi32ELi16ElPK19rocblas_complex_numIfEPKS3_PS1_EviT6_lT7_lT5_lS8_lS9_lS7_lT8_i,comdat
	.globl	_ZL26rocblas_hemvn_kernel_lowerILb0ELi64ELi4ELi33ELi32ELi16ElPK19rocblas_complex_numIfEPKS3_PS1_EviT6_lT7_lT5_lS8_lS9_lS7_lT8_i ; -- Begin function _ZL26rocblas_hemvn_kernel_lowerILb0ELi64ELi4ELi33ELi32ELi16ElPK19rocblas_complex_numIfEPKS3_PS1_EviT6_lT7_lT5_lS8_lS9_lS7_lT8_i
	.p2align	8
	.type	_ZL26rocblas_hemvn_kernel_lowerILb0ELi64ELi4ELi33ELi32ELi16ElPK19rocblas_complex_numIfEPKS3_PS1_EviT6_lT7_lT5_lS8_lS9_lS7_lT8_i,@function
_ZL26rocblas_hemvn_kernel_lowerILb0ELi64ELi4ELi33ELi32ELi16ElPK19rocblas_complex_numIfEPKS3_PS1_EviT6_lT7_lT5_lS8_lS9_lS7_lT8_i: ; @_ZL26rocblas_hemvn_kernel_lowerILb0ELi64ELi4ELi33ELi32ELi16ElPK19rocblas_complex_numIfEPKS3_PS1_EviT6_lT7_lT5_lS8_lS9_lS7_lT8_i
; %bb.0:
	s_load_dwordx2 s[0:1], s[4:5], 0x84
	s_add_u32 s16, s4, 0x78
	s_addc_u32 s17, s5, 0
	s_waitcnt lgkmcnt(0)
	s_lshr_b32 s2, s0, 16
	s_and_b32 s0, s0, 0xffff
	s_and_b32 s1, s1, 0xffff
	s_mul_i32 s0, s2, s0
	s_mul_i32 s0, s0, s1
	s_cmpk_lg_i32 s0, 0x100
	s_cbranch_scc1 .LBB184_104
; %bb.1:
	s_load_dwordx8 s[8:15], s[4:5], 0x8
	s_mov_b32 s18, s7
	s_mov_b32 s19, 0
	s_waitcnt lgkmcnt(0)
	s_mul_i32 s0, s11, s7
	s_mul_hi_u32 s1, s10, s7
	s_add_i32 s1, s1, s0
	s_mul_i32 s0, s10, s7
	s_lshl_b64 s[0:1], s[0:1], 3
	s_add_u32 s0, s8, s0
	s_addc_u32 s1, s9, s1
	s_load_dwordx2 s[8:9], s[0:1], 0x0
	s_clause 0x1
	s_load_dwordx2 s[20:21], s[4:5], 0x68
	s_load_dwordx4 s[0:3], s[4:5], 0x58
	s_waitcnt lgkmcnt(0)
	s_or_b32 s7, s8, s9
	s_bitset0_b32 s7, 31
	s_cmp_lg_u32 s7, 0
	s_mov_b32 s7, -1
	s_cbranch_scc1 .LBB184_3
; %bb.2:
	s_mul_i32 s3, s3, s18
	s_mul_hi_u32 s7, s2, s18
	s_mul_i32 s2, s2, s18
	s_add_i32 s3, s7, s3
	s_mov_b32 s7, 0
	s_lshl_b64 s[2:3], s[2:3], 3
	s_add_u32 s0, s0, s2
	s_addc_u32 s1, s1, s3
	s_load_dwordx2 s[0:1], s[0:1], 0x0
	s_waitcnt lgkmcnt(0)
	v_cmp_eq_f32_e64 s0, s0, 1.0
	v_cmp_eq_f32_e64 s1, s1, 0
	s_and_b32 s0, s0, s1
	s_andn2_b32 vcc_lo, exec_lo, s0
.LBB184_3:
	s_andn2_b32 vcc_lo, exec_lo, s7
	s_cbranch_vccnz .LBB184_104
; %bb.4:
	s_load_dwordx4 s[0:3], s[4:5], 0x38
	s_lshl_b64 s[8:9], s[18:19], 3
	s_load_dword s19, s[4:5], 0x0
	s_add_u32 s12, s12, s8
	s_addc_u32 s13, s13, s9
	s_load_dwordx2 s[10:11], s[4:5], 0x48
	s_load_dword s28, s[16:17], 0x0
	s_waitcnt lgkmcnt(0)
	s_add_u32 s0, s0, s8
	s_addc_u32 s1, s1, s9
	s_lshl_b64 s[2:3], s[2:3], 3
	s_load_dwordx2 s[0:1], s[0:1], 0x0
	s_waitcnt lgkmcnt(0)
	s_add_u32 s7, s0, s2
	s_addc_u32 s1, s1, s3
	s_lshl_b32 s22, s6, 6
	s_load_dwordx2 s[16:17], s[4:5], 0x28
	s_load_dwordx2 s[2:3], s[12:13], 0x0
	v_add_nc_u32_e32 v34, s22, v0
	s_ashr_i32 s29, s19, 31
	s_add_i32 s5, s28, -1
	s_lshr_b32 s0, s29, 26
	v_ashrrev_i32_e32 v35, 31, v34
	v_mul_lo_u32 v4, s11, v34
	v_mad_u64_u32 v[2:3], null, s10, v34, 0
	s_add_i32 s4, s19, s0
	v_mul_lo_u32 v5, s10, v35
	s_andn2_b32 s4, s4, 63
	v_cmp_ne_u32_e64 s0, 0, v1
	s_sub_i32 s8, s19, s4
	s_cmp_eq_u32 s6, s5
	s_mov_b32 s4, -1
	s_cselect_b32 s24, s8, 0
	v_add3_u32 v3, v3, v5, v4
	v_lshlrev_b64 v[2:3], 3, v[2:3]
	v_add_co_u32 v18, vcc_lo, s7, v2
	v_add_co_ci_u32_e64 v19, null, s1, v3, vcc_lo
	v_cmp_eq_u32_e64 s1, 0, v1
	s_and_saveexec_b32 s5, s1
	s_cbranch_execz .LBB184_9
; %bb.5:
	v_cmp_le_i32_e32 vcc_lo, s24, v0
	s_cmp_lg_u32 s24, 0
	v_lshl_add_u32 v2, v0, 3, 0x2380
	s_cselect_b32 s7, -1, 0
	s_and_b32 s7, s7, vcc_lo
	s_and_saveexec_b32 s8, s7
	s_xor_b32 s7, exec_lo, s8
; %bb.6:
	v_mov_b32_e32 v3, 0
	v_mov_b32_e32 v4, v3
	ds_write_b64 v2, v[3:4]
                                        ; implicit-def: $vgpr2
; %bb.7:
	s_andn2_saveexec_b32 s7, s7
	s_cbranch_execz .LBB184_9
; %bb.8:
	flat_load_dwordx2 v[3:4], v[18:19]
	s_waitcnt vmcnt(0) lgkmcnt(0)
	ds_write_b64 v2, v[3:4]
.LBB184_9:
	s_or_b32 exec_lo, exec_lo, s5
	v_lshl_add_u32 v24, v1, 6, v0
	v_and_b32_e32 v2, 31, v0
	v_mov_b32_e32 v3, 0
	s_lshl_b64 s[8:9], s[14:15], 3
	s_waitcnt lgkmcnt(0)
	s_mul_hi_u32 s5, s16, s22
	v_lshrrev_b32_e32 v7, 5, v24
	s_add_u32 s7, s2, s8
	s_addc_u32 s8, s3, s9
	s_ashr_i32 s23, s22, 31
	s_mul_i32 s9, s17, s22
	v_mad_u64_u32 v[3:4], null, s16, v7, v[2:3]
	s_lshl_b64 s[2:3], s[22:23], 3
	s_mul_i32 s12, s16, s23
	s_add_u32 s7, s7, s2
	s_addc_u32 s8, s8, s3
	s_add_i32 s3, s5, s12
	s_mul_i32 s2, s16, s22
	v_mad_u64_u32 v[4:5], null, s17, v7, v[4:5]
	s_add_i32 s3, s3, s9
	s_lshl_b64 s[14:15], s[2:3], 3
	s_cmp_lg_u32 s24, 0
	s_cselect_b32 s30, -1, 0
	v_lshlrev_b64 v[20:21], 3, v[3:4]
	s_cmp_eq_u32 s24, 0
	v_add_co_u32 v3, vcc_lo, s7, v20
	v_add_co_ci_u32_e64 v4, null, s8, v21, vcc_lo
	s_cselect_b32 s8, -1, 0
	v_add_co_u32 v3, vcc_lo, v3, s14
	v_add_co_ci_u32_e64 v4, null, s15, v4, vcc_lo
	s_and_b32 vcc_lo, exec_lo, s30
	s_cbranch_vccnz .LBB184_11
; %bb.10:
	s_lshl_b64 s[2:3], s[16:17], 6
	v_mul_u32_u24_e32 v14, 0x108, v7
	v_add_co_u32 v5, vcc_lo, v3, s2
	v_add_co_ci_u32_e64 v6, null, s3, v4, vcc_lo
	v_lshl_add_u32 v14, v2, 3, v14
	v_add_co_u32 v8, vcc_lo, v5, s2
	v_add_co_ci_u32_e64 v9, null, s3, v6, vcc_lo
	s_mov_b32 s4, 0
	v_add_co_u32 v10, vcc_lo, v8, s2
	v_add_co_ci_u32_e64 v11, null, s3, v9, vcc_lo
	s_clause 0x3
	flat_load_dwordx2 v[12:13], v[3:4]
	flat_load_dwordx2 v[5:6], v[5:6]
	;; [unrolled: 1-line block ×4, first 2 shown]
	s_waitcnt vmcnt(3) lgkmcnt(3)
	ds_write_b64 v14, v[12:13]
	s_waitcnt vmcnt(2) lgkmcnt(3)
	ds_write_b64 v14, v[5:6] offset:2112
	s_waitcnt vmcnt(1) lgkmcnt(3)
	ds_write_b64 v14, v[8:9] offset:4224
	;; [unrolled: 2-line block ×3, first 2 shown]
.LBB184_11:
	v_lshlrev_b32_e32 v8, 3, v2
	s_andn2_b32 vcc_lo, exec_lo, s4
	s_cbranch_vccnz .LBB184_29
; %bb.12:
	v_lshlrev_b32_e32 v9, 3, v2
	s_ashr_i32 s25, s24, 31
	v_cmp_le_i32_e64 s2, s24, v7
	s_lshl_b64 s[4:5], s[24:25], 3
	v_mul_u32_u24_e32 v10, 0x108, v7
	v_sub_co_u32 v5, vcc_lo, v3, v9
	v_subrev_co_ci_u32_e64 v6, null, 0, v4, vcc_lo
	v_add_co_u32 v5, vcc_lo, v5, s4
	v_add_co_ci_u32_e64 v6, null, s5, v6, vcc_lo
	v_add_co_u32 v5, vcc_lo, v5, -8
	v_add_co_ci_u32_e64 v6, null, -1, v6, vcc_lo
	v_cmp_gt_i32_e32 vcc_lo, s24, v2
	v_cndmask_b32_e32 v6, v6, v4, vcc_lo
	v_cndmask_b32_e32 v5, v5, v3, vcc_lo
	s_and_saveexec_b32 s3, s2
	s_xor_b32 s2, exec_lo, s3
	s_cbranch_execz .LBB184_14
; %bb.13:
	v_mov_b32_e32 v11, 0
	v_add_nc_u32_e32 v13, v8, v10
	v_mov_b32_e32 v12, v11
	ds_write_b64 v13, v[11:12]
.LBB184_14:
	s_andn2_saveexec_b32 s2, s2
	s_cbranch_execz .LBB184_16
; %bb.15:
	flat_load_dwordx2 v[11:12], v[5:6]
	v_add_nc_u32_e32 v13, v8, v10
	s_waitcnt vmcnt(0) lgkmcnt(0)
	ds_write_b64 v13, v[11:12]
.LBB184_16:
	s_or_b32 exec_lo, exec_lo, s2
	v_add_nc_u32_e32 v11, 8, v7
	v_cmp_le_i32_e64 s2, s24, v11
	s_and_saveexec_b32 s3, s2
	s_xor_b32 s2, exec_lo, s3
	s_cbranch_execz .LBB184_18
; %bb.17:
	v_mov_b32_e32 v11, 0
	v_add_nc_u32_e32 v13, v10, v8
	v_mov_b32_e32 v12, v11
	ds_write_b64 v13, v[11:12] offset:2112
.LBB184_18:
	s_andn2_saveexec_b32 s3, s2
	s_cbranch_execz .LBB184_20
; %bb.19:
	s_lshl_b64 s[12:13], s[16:17], 6
	v_add_nc_u32_e32 v13, v10, v8
	v_add_co_u32 v11, s2, v5, s12
	v_add_co_ci_u32_e64 v12, null, s13, v6, s2
	flat_load_dwordx2 v[11:12], v[11:12]
	s_waitcnt vmcnt(0) lgkmcnt(0)
	ds_write_b64 v13, v[11:12] offset:2112
.LBB184_20:
	s_or_b32 exec_lo, exec_lo, s3
	v_add_nc_u32_e32 v11, 16, v7
	v_cmp_le_i32_e64 s2, s24, v11
	s_and_saveexec_b32 s3, s2
	s_xor_b32 s2, exec_lo, s3
	s_cbranch_execz .LBB184_22
; %bb.21:
	v_mov_b32_e32 v11, 0
	v_add_nc_u32_e32 v13, v10, v8
	v_mov_b32_e32 v12, v11
	ds_write_b64 v13, v[11:12] offset:4224
.LBB184_22:
	s_andn2_saveexec_b32 s3, s2
	s_cbranch_execz .LBB184_24
; %bb.23:
	s_lshl_b64 s[12:13], s[16:17], 7
	v_add_nc_u32_e32 v13, v10, v8
	v_add_co_u32 v11, s2, v5, s12
	v_add_co_ci_u32_e64 v12, null, s13, v6, s2
	flat_load_dwordx2 v[11:12], v[11:12]
	s_waitcnt vmcnt(0) lgkmcnt(0)
	ds_write_b64 v13, v[11:12] offset:4224
.LBB184_24:
	s_or_b32 exec_lo, exec_lo, s3
	v_add_nc_u32_e32 v11, 24, v7
	v_cmp_le_i32_e64 s2, s24, v11
	s_and_saveexec_b32 s3, s2
	s_xor_b32 s2, exec_lo, s3
	s_cbranch_execz .LBB184_26
; %bb.25:
	v_mov_b32_e32 v11, 0
	v_add_nc_u32_e32 v10, v10, v8
	v_mov_b32_e32 v12, v11
	ds_write_b64 v10, v[11:12] offset:6336
                                        ; implicit-def: $vgpr10
.LBB184_26:
	s_andn2_saveexec_b32 s2, s2
	s_cbranch_execz .LBB184_28
; %bb.27:
	v_mad_u64_u32 v[11:12], null, 0xc0, s16, v[5:6]
	v_add_nc_u32_e32 v10, v10, v8
	v_mad_u64_u32 v[12:13], null, 0xc0, s17, v[12:13]
	flat_load_dwordx2 v[11:12], v[11:12]
	s_waitcnt vmcnt(0) lgkmcnt(0)
	ds_write_b64 v10, v[11:12] offset:6336
.LBB184_28:
	s_or_b32 exec_lo, exec_lo, s2
	v_add_co_u32 v5, s2, v5, v9
	v_add_co_ci_u32_e64 v6, null, 0, v6, s2
	v_sub_co_u32 v5, s2, v5, s4
	v_subrev_co_ci_u32_e64 v6, null, s5, v6, s2
	v_add_co_u32 v5, s2, v5, 8
	v_add_co_ci_u32_e64 v6, null, 0, v6, s2
	v_cndmask_b32_e32 v3, v5, v3, vcc_lo
	v_cndmask_b32_e32 v4, v6, v4, vcc_lo
.LBB184_29:
	v_lshlrev_b32_e32 v5, 2, v7
	v_lshl_or_b32 v6, v2, 8, v8
	v_mad_u32_u24 v10, 0x420, v7, v8
	s_waitcnt lgkmcnt(0)
	s_barrier
	v_cmp_lt_u32_e64 s3, v5, v2
	buffer_gl0_inv
	s_and_saveexec_b32 s2, s3
	s_cbranch_execz .LBB184_31
; %bb.30:
	ds_read_b64 v[11:12], v10
	v_lshl_add_u32 v9, v5, 3, v6
	s_waitcnt lgkmcnt(0)
	ds_write_b64 v9, v[11:12]
.LBB184_31:
	s_or_b32 exec_lo, exec_lo, s2
	v_or_b32_e32 v9, 1, v5
	v_cmp_lt_u32_e64 s4, v9, v2
	v_mad_u32_u24 v11, 0x108, v9, v8
	s_and_saveexec_b32 s2, s4
	s_cbranch_execz .LBB184_33
; %bb.32:
	ds_read_b64 v[12:13], v11
	v_lshl_add_u32 v14, v5, 3, v6
	s_waitcnt lgkmcnt(0)
	ds_write_b64 v14, v[12:13] offset:8
.LBB184_33:
	s_or_b32 exec_lo, exec_lo, s2
	v_or_b32_e32 v12, 2, v5
	v_cmp_lt_u32_e64 s5, v12, v2
	s_and_saveexec_b32 s2, s5
	s_cbranch_execz .LBB184_35
; %bb.34:
	v_mad_u32_u24 v12, 0x108, v12, v8
	v_lshl_add_u32 v14, v5, 3, v6
	ds_read_b64 v[12:13], v12
	s_waitcnt lgkmcnt(0)
	ds_write_b64 v14, v[12:13] offset:16
.LBB184_35:
	s_or_b32 exec_lo, exec_lo, s2
	v_or_b32_e32 v13, 3, v5
	s_mov_b32 s2, exec_lo
                                        ; implicit-def: $vgpr12
	v_cmp_lt_u32_e64 s7, v13, v2
	v_cmpx_ge_u32_e64 v13, v2
	s_xor_b32 s2, exec_lo, s2
; %bb.36:
	v_mul_u32_u24_e32 v12, 0x108, v13
                                        ; implicit-def: $vgpr6
                                        ; implicit-def: $vgpr13
; %bb.37:
	s_andn2_saveexec_b32 s2, s2
	s_cbranch_execz .LBB184_39
; %bb.38:
	v_mad_u32_u24 v12, 0x108, v13, v8
	v_lshl_add_u32 v6, v5, 3, v6
	ds_read_b64 v[14:15], v12
	v_mul_u32_u24_e32 v12, 0x108, v13
	s_waitcnt lgkmcnt(0)
	ds_write_b64 v6, v[14:15] offset:24
.LBB184_39:
	s_or_b32 exec_lo, exec_lo, s2
	v_lshlrev_b32_e32 v6, 3, v5
	s_waitcnt lgkmcnt(0)
	s_barrier
	buffer_gl0_inv
	ds_read_b64 v[22:23], v10
	ds_read_b128 v[13:16], v6 offset:9088
	ds_read2_b64 v[25:28], v11 offset1:33
	v_add_nc_u32_e32 v10, v8, v12
	v_mul_u32_u24_e32 v17, 33, v2
	v_cmp_gt_u32_e64 s2, 32, v24
	ds_read_b128 v[29:32], v6 offset:9104
	ds_read_b64 v[11:12], v10
	s_waitcnt lgkmcnt(0)
	s_barrier
	buffer_gl0_inv
	v_mul_f32_e32 v33, v14, v23
	v_mul_f32_e32 v23, v13, v23
	;; [unrolled: 1-line block ×5, first 2 shown]
	v_fma_f32 v13, v13, v22, -v33
	v_fmac_f32_e32 v23, v14, v22
	v_mul_f32_e32 v28, v29, v28
	v_fma_f32 v15, v15, v25, -v36
	v_fmac_f32_e32 v26, v16, v25
	v_add_f32_e32 v13, 0, v13
	v_add_f32_e32 v16, 0, v23
	v_mul_f32_e32 v14, v32, v12
	v_mul_f32_e32 v12, v31, v12
	v_fma_f32 v22, v29, v27, -v37
	v_fmac_f32_e32 v28, v30, v27
	v_add_f32_e32 v13, v13, v15
	v_add_f32_e32 v15, v16, v26
	v_lshlrev_b32_e32 v25, 3, v17
	v_fma_f32 v14, v31, v11, -v14
	v_fmac_f32_e32 v12, v32, v11
	v_add_f32_e32 v11, v13, v22
	v_add_f32_e32 v13, v15, v28
	v_mov_b32_e32 v36, 0
	v_lshl_add_u32 v26, v7, 3, v25
	v_mov_b32_e32 v37, 0
	v_add_f32_e32 v11, v11, v14
	v_add_f32_e32 v12, v13, v12
	ds_write_b64 v26, v[11:12]
	s_waitcnt lgkmcnt(0)
	s_barrier
	buffer_gl0_inv
	s_and_saveexec_b32 s9, s2
	s_cbranch_execz .LBB184_41
; %bb.40:
	ds_read2_b64 v[11:14], v25 offset1:7
	ds_read2_b64 v[27:30], v25 offset0:1 offset1:2
	ds_read2_b64 v[36:39], v25 offset0:3 offset1:4
	;; [unrolled: 1-line block ×3, first 2 shown]
	s_waitcnt lgkmcnt(2)
	v_add_f32_e32 v11, v27, v11
	v_add_f32_e32 v12, v28, v12
	v_add_f32_e32 v11, v29, v11
	v_add_f32_e32 v12, v30, v12
	s_waitcnt lgkmcnt(1)
	v_add_f32_e32 v11, v11, v36
	v_add_f32_e32 v12, v12, v37
	v_add_f32_e32 v11, v11, v38
	v_add_f32_e32 v12, v12, v39
	;; [unrolled: 5-line block ×3, first 2 shown]
	v_add_f32_e32 v36, v11, v13
	v_add_f32_e32 v37, v12, v14
.LBB184_41:
	s_or_b32 exec_lo, exec_lo, s9
	s_lshl_b64 s[12:13], s[16:17], 8
	v_cndmask_b32_e64 v11, 0, 1, s8
	v_add_co_u32 v3, vcc_lo, v3, s12
	v_add_co_ci_u32_e64 v4, null, s13, v4, vcc_lo
	v_add_co_u32 v12, vcc_lo, 0x100, v3
	v_add_co_ci_u32_e64 v13, null, 0, v4, vcc_lo
	s_andn2_b32 vcc_lo, exec_lo, s8
	s_mov_b32 s8, -1
	s_barrier
	buffer_gl0_inv
	s_cbranch_vccnz .LBB184_43
; %bb.42:
	s_lshl_b64 s[8:9], s[16:17], 6
	v_mad_u32_u24 v29, 0x108, v7, v8
	v_add_co_u32 v14, vcc_lo, v3, s8
	v_add_co_ci_u32_e64 v15, null, s9, v4, vcc_lo
	v_add_co_u32 v16, vcc_lo, v14, s8
	v_add_co_ci_u32_e64 v17, null, s9, v15, vcc_lo
	;; [unrolled: 2-line block ×3, first 2 shown]
	s_clause 0x3
	flat_load_dwordx2 v[27:28], v[3:4] offset:256
	flat_load_dwordx2 v[14:15], v[14:15] offset:256
	;; [unrolled: 1-line block ×4, first 2 shown]
	s_mov_b32 s8, 0
	s_waitcnt vmcnt(3) lgkmcnt(3)
	ds_write_b64 v29, v[27:28]
	s_waitcnt vmcnt(2) lgkmcnt(3)
	ds_write_b64 v29, v[14:15] offset:2112
	s_waitcnt vmcnt(1) lgkmcnt(3)
	ds_write_b64 v29, v[16:17] offset:4224
	;; [unrolled: 2-line block ×3, first 2 shown]
.LBB184_43:
	s_andn2_b32 vcc_lo, exec_lo, s8
	s_cbranch_vccnz .LBB184_61
; %bb.44:
	v_lshlrev_b32_e32 v14, 3, v2
	s_ashr_i32 s25, s24, 31
	v_or_b32_e32 v15, 32, v2
	s_lshl_b64 s[26:27], s[24:25], 3
	s_sub_i32 s9, s24, 32
	v_sub_co_u32 v3, vcc_lo, v3, v14
	v_subrev_co_ci_u32_e64 v4, null, 0, v4, vcc_lo
	v_cmp_le_i32_e64 s8, s9, v7
	v_add_co_u32 v3, vcc_lo, v3, s26
	v_add_co_ci_u32_e64 v4, null, s27, v4, vcc_lo
	v_add_co_u32 v3, vcc_lo, v3, -8
	v_add_co_ci_u32_e64 v4, null, -1, v4, vcc_lo
	v_cmp_gt_i32_e32 vcc_lo, s24, v15
	v_mul_u32_u24_e32 v15, 0x108, v7
	v_cndmask_b32_e32 v4, v4, v13, vcc_lo
	v_cndmask_b32_e32 v3, v3, v12, vcc_lo
	s_and_saveexec_b32 s25, s8
	s_xor_b32 s8, exec_lo, s25
	s_cbranch_execz .LBB184_46
; %bb.45:
	v_mov_b32_e32 v16, 0
	v_add_nc_u32_e32 v22, v8, v15
	v_mov_b32_e32 v17, v16
	ds_write_b64 v22, v[16:17]
.LBB184_46:
	s_andn2_saveexec_b32 s8, s8
	s_cbranch_execz .LBB184_48
; %bb.47:
	flat_load_dwordx2 v[16:17], v[3:4]
	v_add_nc_u32_e32 v22, v8, v15
	s_waitcnt vmcnt(0) lgkmcnt(0)
	ds_write_b64 v22, v[16:17]
.LBB184_48:
	s_or_b32 exec_lo, exec_lo, s8
	v_add_nc_u32_e32 v16, 8, v7
	v_cmp_le_i32_e64 s8, s9, v16
	s_and_saveexec_b32 s25, s8
	s_xor_b32 s8, exec_lo, s25
	s_cbranch_execz .LBB184_50
; %bb.49:
	v_mov_b32_e32 v16, 0
	v_add_nc_u32_e32 v22, v15, v8
	v_mov_b32_e32 v17, v16
	ds_write_b64 v22, v[16:17] offset:2112
.LBB184_50:
	s_andn2_saveexec_b32 s25, s8
	s_cbranch_execz .LBB184_52
; %bb.51:
	s_lshl_b64 s[34:35], s[16:17], 6
	v_add_nc_u32_e32 v22, v15, v8
	v_add_co_u32 v16, s8, v3, s34
	v_add_co_ci_u32_e64 v17, null, s35, v4, s8
	flat_load_dwordx2 v[16:17], v[16:17]
	s_waitcnt vmcnt(0) lgkmcnt(0)
	ds_write_b64 v22, v[16:17] offset:2112
.LBB184_52:
	s_or_b32 exec_lo, exec_lo, s25
	v_add_nc_u32_e32 v16, 16, v7
	v_cmp_le_i32_e64 s8, s9, v16
	s_and_saveexec_b32 s25, s8
	s_xor_b32 s8, exec_lo, s25
	s_cbranch_execz .LBB184_54
; %bb.53:
	v_mov_b32_e32 v16, 0
	v_add_nc_u32_e32 v22, v15, v8
	v_mov_b32_e32 v17, v16
	ds_write_b64 v22, v[16:17] offset:4224
.LBB184_54:
	s_andn2_saveexec_b32 s25, s8
	s_cbranch_execz .LBB184_56
; %bb.55:
	s_lshl_b64 s[34:35], s[16:17], 7
	v_add_nc_u32_e32 v22, v15, v8
	v_add_co_u32 v16, s8, v3, s34
	v_add_co_ci_u32_e64 v17, null, s35, v4, s8
	flat_load_dwordx2 v[16:17], v[16:17]
	s_waitcnt vmcnt(0) lgkmcnt(0)
	ds_write_b64 v22, v[16:17] offset:4224
.LBB184_56:
	s_or_b32 exec_lo, exec_lo, s25
	v_add_nc_u32_e32 v16, 24, v7
	v_cmp_le_i32_e64 s8, s9, v16
	s_and_saveexec_b32 s9, s8
	s_xor_b32 s8, exec_lo, s9
	s_cbranch_execz .LBB184_58
; %bb.57:
	v_mov_b32_e32 v16, 0
	v_add_nc_u32_e32 v15, v15, v8
	v_mov_b32_e32 v17, v16
	ds_write_b64 v15, v[16:17] offset:6336
                                        ; implicit-def: $vgpr15
.LBB184_58:
	s_andn2_saveexec_b32 s8, s8
	s_cbranch_execz .LBB184_60
; %bb.59:
	v_mad_u64_u32 v[16:17], null, 0xc0, s16, v[3:4]
	v_add_nc_u32_e32 v15, v15, v8
	v_mad_u64_u32 v[22:23], null, 0xc0, s17, v[17:18]
	v_mov_b32_e32 v17, v22
	flat_load_dwordx2 v[16:17], v[16:17]
	s_waitcnt vmcnt(0) lgkmcnt(0)
	ds_write_b64 v15, v[16:17] offset:6336
.LBB184_60:
	s_or_b32 exec_lo, exec_lo, s8
	v_add_co_u32 v3, s8, v3, v14
	v_add_co_ci_u32_e64 v4, null, 0, v4, s8
	v_sub_co_u32 v3, s8, v3, s26
	v_subrev_co_ci_u32_e64 v4, null, s27, v4, s8
	v_add_co_u32 v3, s8, 0x108, v3
	v_add_co_ci_u32_e64 v4, null, 0, v4, s8
	v_cndmask_b32_e32 v12, v3, v12, vcc_lo
	v_cndmask_b32_e32 v13, v4, v13, vcc_lo
.LBB184_61:
	v_mul_u32_u24_e32 v3, 0x420, v7
	v_add_nc_u32_e32 v6, 0x2380, v6
	v_mul_u32_u24_e32 v4, 0x108, v9
	s_lshl_b64 s[8:9], s[16:17], 5
	s_waitcnt lgkmcnt(0)
	v_add_nc_u32_e32 v3, v8, v3
	s_barrier
	buffer_gl0_inv
	s_and_saveexec_b32 s25, s3
	s_cbranch_execnz .LBB184_70
; %bb.62:
	s_or_b32 exec_lo, exec_lo, s25
	v_add_nc_u32_e32 v4, v8, v4
	s_and_saveexec_b32 s3, s4
	s_cbranch_execnz .LBB184_71
.LBB184_63:
	s_or_b32 exec_lo, exec_lo, s3
	s_and_saveexec_b32 s3, s5
	s_cbranch_execnz .LBB184_72
.LBB184_64:
	s_or_b32 exec_lo, exec_lo, s3
	s_and_saveexec_b32 s3, s7
	s_cbranch_execz .LBB184_66
.LBB184_65:
	ds_read_b64 v[14:15], v10
	v_lshl_add_u32 v9, v5, 3, v25
	s_waitcnt lgkmcnt(0)
	ds_write_b64 v9, v[14:15] offset:24
.LBB184_66:
	s_or_b32 exec_lo, exec_lo, s3
	s_waitcnt lgkmcnt(0)
	s_barrier
	buffer_gl0_inv
	ds_read_b64 v[22:23], v3
	ds_read_b128 v[14:17], v6 offset:256
	ds_read2_b64 v[27:30], v4 offset1:33
	ds_read_b128 v[38:41], v6 offset:272
	ds_read_b64 v[3:4], v10
	v_cmp_eq_u32_e64 s3, 1, v7
	s_waitcnt lgkmcnt(0)
	s_barrier
	buffer_gl0_inv
	v_mul_f32_e32 v9, v15, v23
	v_mul_f32_e32 v10, v14, v23
	;; [unrolled: 1-line block ×5, first 2 shown]
	v_fma_f32 v9, v14, v22, -v9
	v_fmac_f32_e32 v10, v15, v22
	v_mul_f32_e32 v30, v38, v30
	v_fma_f32 v15, v16, v27, -v23
	v_fmac_f32_e32 v28, v17, v27
	v_add_f32_e32 v9, 0, v9
	v_add_f32_e32 v10, 0, v10
	v_mul_f32_e32 v14, v41, v4
	v_mul_f32_e32 v4, v40, v4
	v_fma_f32 v16, v38, v29, -v31
	v_fmac_f32_e32 v30, v39, v29
	v_add_f32_e32 v9, v9, v15
	v_add_f32_e32 v10, v10, v28
	v_fma_f32 v14, v40, v3, -v14
	v_fmac_f32_e32 v4, v41, v3
	v_add_f32_e32 v3, v9, v16
	v_add_f32_e32 v9, v10, v30
	;; [unrolled: 1-line block ×4, first 2 shown]
	ds_write_b64 v26, v[3:4]
	s_waitcnt lgkmcnt(0)
	s_barrier
	buffer_gl0_inv
	s_and_saveexec_b32 s4, s3
	s_cbranch_execz .LBB184_68
; %bb.67:
	ds_read2_b64 v[14:17], v25 offset1:7
	ds_read2_b64 v[27:30], v25 offset0:1 offset1:2
	ds_read2_b64 v[36:39], v25 offset0:3 offset1:4
	;; [unrolled: 1-line block ×3, first 2 shown]
	s_waitcnt lgkmcnt(2)
	v_add_f32_e32 v3, v27, v14
	v_add_f32_e32 v4, v28, v15
	v_add_f32_e32 v3, v29, v3
	v_add_f32_e32 v4, v30, v4
	s_waitcnt lgkmcnt(1)
	v_add_f32_e32 v3, v3, v36
	v_add_f32_e32 v4, v4, v37
	v_add_f32_e32 v3, v3, v38
	v_add_f32_e32 v4, v4, v39
	;; [unrolled: 5-line block ×3, first 2 shown]
	v_add_f32_e32 v36, v3, v16
	v_add_f32_e32 v37, v4, v17
.LBB184_68:
	s_or_b32 exec_lo, exec_lo, s4
	s_lshl_b64 s[4:5], s[8:9], 3
	v_cmp_ne_u32_e32 vcc_lo, 1, v11
	v_sub_co_u32 v22, s4, v12, s4
	v_subrev_co_ci_u32_e64 v23, null, s5, v13, s4
	s_barrier
	buffer_gl0_inv
	s_cbranch_vccnz .LBB184_73
; %bb.69:
	s_lshl_b64 s[4:5], s[16:17], 6
	flat_load_dwordx2 v[10:11], v[22:23]
	v_add_co_u32 v3, vcc_lo, v22, s4
	v_add_co_ci_u32_e64 v4, null, s5, v23, vcc_lo
	v_mul_u32_u24_e32 v9, 0x108, v7
	v_add_co_u32 v12, vcc_lo, v3, s4
	v_add_co_ci_u32_e64 v13, null, s5, v4, vcc_lo
	v_add_co_u32 v14, vcc_lo, v12, s4
	v_add_co_ci_u32_e64 v15, null, s5, v13, vcc_lo
	s_movk_i32 s4, 0x840
	s_clause 0x2
	flat_load_dwordx2 v[16:17], v[3:4]
	flat_load_dwordx2 v[27:28], v[12:13]
	;; [unrolled: 1-line block ×3, first 2 shown]
	v_mad_u32_u24 v4, 0x108, v7, s4
	s_movk_i32 s4, 0x18c0
	s_movk_i32 s5, 0x1080
	v_mad_u32_u24 v12, 0x108, v7, v8
	v_mad_u32_u24 v13, 0x108, v7, s4
	v_mad_u32_u24 v3, 0x108, v7, s5
	v_add_nc_u32_e32 v29, v8, v4
	v_add_nc_u32_e32 v31, v8, v13
	;; [unrolled: 1-line block ×3, first 2 shown]
	s_waitcnt vmcnt(3) lgkmcnt(3)
	ds_write_b64 v12, v[10:11]
	v_add_nc_u32_e32 v10, 8, v7
	v_add_nc_u32_e32 v11, 16, v7
	;; [unrolled: 1-line block ×3, first 2 shown]
	s_waitcnt vmcnt(2) lgkmcnt(3)
	ds_write_b64 v29, v[16:17]
	s_waitcnt vmcnt(1) lgkmcnt(3)
	ds_write_b64 v30, v[27:28]
	s_waitcnt vmcnt(0) lgkmcnt(3)
	ds_write_b64 v31, v[14:15]
	s_cbranch_execz .LBB184_74
	s_branch .LBB184_91
.LBB184_70:
	ds_read_b64 v[14:15], v3
	v_lshl_add_u32 v9, v5, 3, v25
	s_waitcnt lgkmcnt(0)
	ds_write_b64 v9, v[14:15]
	s_or_b32 exec_lo, exec_lo, s25
	v_add_nc_u32_e32 v4, v8, v4
	s_and_saveexec_b32 s3, s4
	s_cbranch_execz .LBB184_63
.LBB184_71:
	ds_read_b64 v[14:15], v4
	v_lshl_add_u32 v9, v5, 3, v25
	s_waitcnt lgkmcnt(0)
	ds_write_b64 v9, v[14:15] offset:8
	s_or_b32 exec_lo, exec_lo, s3
	s_and_saveexec_b32 s3, s5
	s_cbranch_execz .LBB184_64
.LBB184_72:
	ds_read_b64 v[14:15], v4 offset:264
	v_lshl_add_u32 v9, v5, 3, v25
	s_waitcnt lgkmcnt(0)
	ds_write_b64 v9, v[14:15] offset:16
	s_or_b32 exec_lo, exec_lo, s3
	s_and_saveexec_b32 s3, s7
	s_cbranch_execnz .LBB184_65
	s_branch .LBB184_66
.LBB184_73:
                                        ; implicit-def: $vgpr9
                                        ; implicit-def: $vgpr10
                                        ; implicit-def: $vgpr4
                                        ; implicit-def: $vgpr11
                                        ; implicit-def: $vgpr3
                                        ; implicit-def: $vgpr12
                                        ; implicit-def: $vgpr13
.LBB184_74:
	v_or_b32_e32 v3, 32, v2
	s_ashr_i32 s25, s24, 31
	v_cmp_le_i32_e64 s4, s24, v7
	s_lshl_b64 s[8:9], s[24:25], 3
	v_lshlrev_b32_e32 v4, 3, v3
	v_sub_co_u32 v4, vcc_lo, v22, v4
	v_subrev_co_ci_u32_e64 v9, null, 0, v23, vcc_lo
	v_add_co_u32 v4, vcc_lo, v4, s8
	v_add_co_ci_u32_e64 v9, null, s9, v9, vcc_lo
	v_add_co_u32 v10, vcc_lo, v4, -8
	v_add_co_ci_u32_e64 v4, null, -1, v9, vcc_lo
	v_cmp_gt_i32_e32 vcc_lo, s24, v3
	v_mul_u32_u24_e32 v9, 0x108, v7
	v_cndmask_b32_e32 v4, v4, v23, vcc_lo
	v_cndmask_b32_e32 v3, v10, v22, vcc_lo
	s_and_saveexec_b32 s5, s4
	s_xor_b32 s4, exec_lo, s5
	s_cbranch_execz .LBB184_76
; %bb.75:
	v_mov_b32_e32 v10, 0
	v_add_nc_u32_e32 v12, v8, v9
	v_mov_b32_e32 v11, v10
	ds_write_b64 v12, v[10:11]
.LBB184_76:
	s_andn2_saveexec_b32 s4, s4
	s_cbranch_execz .LBB184_78
; %bb.77:
	flat_load_dwordx2 v[10:11], v[3:4]
	v_add_nc_u32_e32 v12, v8, v9
	s_waitcnt vmcnt(0) lgkmcnt(0)
	ds_write_b64 v12, v[10:11]
.LBB184_78:
	s_or_b32 exec_lo, exec_lo, s4
	v_add_nc_u32_e32 v10, 8, v7
	v_cmp_le_i32_e64 s4, s24, v10
	s_and_saveexec_b32 s5, s4
	s_xor_b32 s4, exec_lo, s5
	s_cbranch_execz .LBB184_80
; %bb.79:
	v_mov_b32_e32 v11, 0
	v_add_nc_u32_e32 v13, v9, v8
	v_mov_b32_e32 v12, v11
	ds_write_b64 v13, v[11:12] offset:2112
.LBB184_80:
	s_andn2_saveexec_b32 s5, s4
	s_cbranch_execz .LBB184_82
; %bb.81:
	s_lshl_b64 s[26:27], s[16:17], 6
	v_add_nc_u32_e32 v13, v9, v8
	v_add_co_u32 v11, s4, v3, s26
	v_add_co_ci_u32_e64 v12, null, s27, v4, s4
	flat_load_dwordx2 v[11:12], v[11:12]
	s_waitcnt vmcnt(0) lgkmcnt(0)
	ds_write_b64 v13, v[11:12] offset:2112
.LBB184_82:
	s_or_b32 exec_lo, exec_lo, s5
	v_add_nc_u32_e32 v11, 16, v7
	v_cmp_le_i32_e64 s4, s24, v11
	s_and_saveexec_b32 s5, s4
	s_xor_b32 s4, exec_lo, s5
	s_cbranch_execz .LBB184_84
; %bb.83:
	v_mov_b32_e32 v12, 0
	v_add_nc_u32_e32 v14, v9, v8
	v_mov_b32_e32 v13, v12
	ds_write_b64 v14, v[12:13] offset:4224
.LBB184_84:
	s_andn2_saveexec_b32 s5, s4
	s_cbranch_execz .LBB184_86
; %bb.85:
	s_lshl_b64 s[26:27], s[16:17], 7
	v_add_nc_u32_e32 v14, v9, v8
	v_add_co_u32 v12, s4, v3, s26
	v_add_co_ci_u32_e64 v13, null, s27, v4, s4
	flat_load_dwordx2 v[12:13], v[12:13]
	s_waitcnt vmcnt(0) lgkmcnt(0)
	ds_write_b64 v14, v[12:13] offset:4224
.LBB184_86:
	s_or_b32 exec_lo, exec_lo, s5
	v_add_nc_u32_e32 v12, 24, v7
                                        ; implicit-def: $vgpr13
	v_cmp_le_i32_e64 s4, s24, v12
	s_and_saveexec_b32 s5, s4
	s_xor_b32 s4, exec_lo, s5
	s_cbranch_execz .LBB184_88
; %bb.87:
	v_add_nc_u32_e32 v13, 0x18c0, v9
	v_mov_b32_e32 v14, 0
	v_add_nc_u32_e32 v16, v8, v13
	v_mov_b32_e32 v15, v14
	ds_write_b64 v16, v[14:15]
.LBB184_88:
	s_andn2_saveexec_b32 s4, s4
	s_cbranch_execz .LBB184_90
; %bb.89:
	v_mad_u64_u32 v[13:14], null, 0xc0, s16, v[3:4]
	v_mad_u64_u32 v[14:15], null, 0xc0, s17, v[14:15]
	flat_load_dwordx2 v[14:15], v[13:14]
	v_add_nc_u32_e32 v13, 0x18c0, v9
	v_add_nc_u32_e32 v16, v8, v13
	s_waitcnt vmcnt(0) lgkmcnt(0)
	ds_write_b64 v16, v[14:15]
.LBB184_90:
	s_or_b32 exec_lo, exec_lo, s4
	v_lshlrev_b32_e32 v2, 3, v2
	v_add_co_u32 v2, s4, v3, v2
	v_add_co_ci_u32_e64 v3, null, 0, v4, s4
	v_add_nc_u32_e32 v4, 0x840, v9
	v_sub_co_u32 v2, s4, v2, s8
	v_subrev_co_ci_u32_e64 v3, null, s9, v3, s4
	v_add_co_u32 v2, s4, 0x108, v2
	v_add_co_ci_u32_e64 v3, null, 0, v3, s4
	v_cndmask_b32_e32 v22, v2, v22, vcc_lo
	v_cndmask_b32_e32 v23, v3, v23, vcc_lo
	v_add_nc_u32_e32 v3, 0x1080, v9
.LBB184_91:
	v_add_nc_u32_e32 v2, v8, v9
	v_lshlrev_b32_e32 v7, 3, v7
	v_add_nc_u32_e32 v4, v8, v4
	v_lshlrev_b32_e32 v9, 3, v10
	v_add_nc_u32_e32 v3, v8, v3
	s_waitcnt lgkmcnt(0)
	s_barrier
	buffer_gl0_inv
	v_lshlrev_b32_e32 v10, 3, v11
	v_add_nc_u32_e32 v8, v8, v13
	v_lshlrev_b32_e32 v11, 3, v12
	ds_read_b64 v[27:28], v2
	ds_read_b64 v[29:30], v7 offset:9088
	ds_read_b64 v[31:32], v4
	ds_read_b64 v[38:39], v9 offset:9088
	;; [unrolled: 2-line block ×3, first 2 shown]
	ds_read2_b32 v[44:45], v8 offset1:1
	ds_read_b64 v[46:47], v11 offset:9088
	v_lshl_add_u32 v7, v5, 3, v25
	ds_read_b128 v[10:13], v6 offset:256
	ds_read_b128 v[2:5], v6 offset:272
	ds_read2_b64 v[14:17], v7 offset1:1
	ds_read2_b64 v[6:9], v7 offset0:2 offset1:3
	s_waitcnt lgkmcnt(0)
	s_barrier
	buffer_gl0_inv
	v_mul_f32_e32 v33, v30, v28
	v_mul_f32_e32 v28, v29, v28
	;; [unrolled: 1-line block ×5, first 2 shown]
	v_fma_f32 v29, v29, v27, -v33
	v_fmac_f32_e32 v28, v30, v27
	v_mul_f32_e32 v27, v42, v41
	v_fma_f32 v30, v38, v31, -v48
	v_fmac_f32_e32 v32, v39, v31
	v_add_f32_e32 v29, 0, v29
	v_add_f32_e32 v28, 0, v28
	v_mul_f32_e32 v50, v47, v45
	v_mul_f32_e32 v31, v46, v45
	v_fma_f32 v33, v42, v40, -v49
	v_fmac_f32_e32 v27, v43, v40
	v_add_f32_e32 v29, v29, v30
	v_add_f32_e32 v28, v28, v32
	v_fma_f32 v30, v46, v44, -v50
	v_fmac_f32_e32 v31, v47, v44
	v_add_f32_e32 v29, v29, v33
	v_add_f32_e32 v28, v28, v27
	;; [unrolled: 1-line block ×4, first 2 shown]
	ds_write_b64 v26, v[27:28]
	s_waitcnt lgkmcnt(0)
	s_barrier
	buffer_gl0_inv
	s_and_saveexec_b32 s4, s3
	s_cbranch_execz .LBB184_93
; %bb.92:
	ds_read2_b64 v[27:30], v25 offset1:1
	ds_read2_b64 v[38:41], v25 offset0:2 offset1:3
	ds_read2_b64 v[42:45], v25 offset0:4 offset1:5
	s_waitcnt lgkmcnt(2)
	v_add_f32_e32 v27, v36, v27
	v_add_f32_e32 v28, v37, v28
	;; [unrolled: 1-line block ×4, first 2 shown]
	ds_read2_b64 v[27:30], v25 offset0:6 offset1:7
	s_waitcnt lgkmcnt(2)
	v_add_f32_e32 v31, v31, v38
	v_add_f32_e32 v32, v32, v39
	v_add_f32_e32 v31, v31, v40
	v_add_f32_e32 v32, v32, v41
	s_waitcnt lgkmcnt(1)
	v_add_f32_e32 v31, v31, v42
	v_add_f32_e32 v32, v32, v43
	v_add_f32_e32 v31, v31, v44
	v_add_f32_e32 v32, v32, v45
	;; [unrolled: 5-line block ×3, first 2 shown]
.LBB184_93:
	s_or_b32 exec_lo, exec_lo, s4
	v_mul_f32_e32 v27, v11, v15
	v_mul_f32_e32 v15, v10, v15
	;; [unrolled: 1-line block ×5, first 2 shown]
	v_fma_f32 v10, v10, v14, -v27
	v_fmac_f32_e32 v15, v11, v14
	v_mul_f32_e32 v7, v2, v7
	v_fma_f32 v12, v12, v16, -v28
	v_fmac_f32_e32 v17, v13, v16
	v_add_f32_e32 v10, 0, v10
	v_add_f32_e32 v13, 0, v15
	v_mul_f32_e32 v11, v5, v9
	v_mul_f32_e32 v9, v4, v9
	v_fma_f32 v2, v2, v6, -v29
	v_add_f32_e32 v10, v10, v12
	v_fmac_f32_e32 v7, v3, v6
	v_add_f32_e32 v3, v13, v17
	v_fma_f32 v4, v4, v8, -v11
	v_fmac_f32_e32 v9, v5, v8
	v_add_f32_e32 v2, v10, v2
	v_add_f32_e32 v3, v3, v7
	s_barrier
	buffer_gl0_inv
	v_add_f32_e32 v2, v2, v4
	v_add_f32_e32 v3, v3, v9
	ds_write_b64 v26, v[2:3]
	s_waitcnt lgkmcnt(0)
	s_barrier
	buffer_gl0_inv
	s_and_saveexec_b32 s3, s2
	s_cbranch_execz .LBB184_95
; %bb.94:
	ds_read2_b64 v[2:5], v25 offset1:1
	ds_read2_b64 v[6:9], v25 offset0:2 offset1:3
	ds_read2_b64 v[10:13], v25 offset0:4 offset1:5
	s_waitcnt lgkmcnt(2)
	v_add_f32_e32 v2, v36, v2
	v_add_f32_e32 v3, v37, v3
	;; [unrolled: 1-line block ×4, first 2 shown]
	ds_read2_b64 v[2:5], v25 offset0:6 offset1:7
	s_waitcnt lgkmcnt(2)
	v_add_f32_e32 v6, v14, v6
	v_add_f32_e32 v7, v15, v7
	v_add_f32_e32 v6, v6, v8
	v_add_f32_e32 v7, v7, v9
	s_waitcnt lgkmcnt(1)
	v_add_f32_e32 v6, v6, v10
	v_add_f32_e32 v7, v7, v11
	v_add_f32_e32 v6, v6, v12
	v_add_f32_e32 v7, v7, v13
	;; [unrolled: 5-line block ×3, first 2 shown]
.LBB184_95:
	s_or_b32 exec_lo, exec_lo, s3
	s_mul_hi_u32 s2, s19, s18
	s_mul_i32 s29, s29, s18
	s_mul_i32 s3, s19, s18
	s_add_i32 s2, s2, s29
	s_mul_hi_u32 s5, s3, s28
	s_mul_i32 s4, s2, s28
	s_mul_i32 s2, s3, s28
	s_add_i32 s3, s5, s4
	s_mul_i32 s4, s19, s6
	s_lshl_b64 s[2:3], s[2:3], 3
	v_cmp_le_i32_e32 vcc_lo, s24, v0
	s_add_u32 s7, s20, s2
	s_addc_u32 s8, s21, s3
	s_ashr_i32 s5, s4, 31
	v_lshlrev_b32_e32 v74, 3, v0
	s_lshl_b64 s[2:3], s[4:5], 3
	s_add_u32 s7, s7, s2
	s_addc_u32 s20, s8, s3
	s_and_b32 vcc_lo, s30, vcc_lo
	s_cmp_lt_i32 s6, 1
	s_barrier
	buffer_gl0_inv
	s_cbranch_scc1 .LBB184_102
; %bb.96:
	v_lshlrev_b32_e32 v4, 2, v1
	s_ashr_i32 s25, s24, 31
	s_mul_i32 s3, s10, s23
	s_lshl_b64 s[8:9], s[24:25], 3
	s_mul_hi_u32 s5, s10, s22
	v_mad_u64_u32 v[2:3], null, s16, v4, 0
	s_mul_i32 s18, s11, s22
	s_add_i32 s3, s5, s3
	s_mul_hi_u32 s23, s16, 0x90
	s_add_i32 s5, s3, s18
	s_mul_i32 s3, s17, 24
	s_mul_hi_u32 s18, s16, 24
	v_mad_u64_u32 v[3:4], null, s17, v4, v[3:4]
	v_sub_co_u32 v4, s2, v22, s14
	v_subrev_co_ci_u32_e64 v7, null, s15, v23, s2
	s_add_i32 s21, s18, s3
	v_add_co_u32 v4, s2, 0xffffff00, v4
	v_add_co_ci_u32_e64 v7, null, -1, v7, s2
	v_lshlrev_b64 v[2:3], 3, v[2:3]
	v_sub_co_u32 v4, s2, v4, v20
	v_sub_co_ci_u32_e64 v7, null, v7, v21, s2
	s_mul_i32 s3, s17, 0x90
	v_add_co_u32 v2, s2, v4, v2
	v_add_co_ci_u32_e64 v3, null, v7, v3, s2
	v_lshrrev_b32_e32 v5, 4, v24
	v_add_co_u32 v4, s2, v2, s8
	v_add_co_ci_u32_e64 v7, null, s9, v3, s2
	v_add_co_u32 v2, s2, v2, v74
	v_add_co_ci_u32_e64 v3, null, 0, v3, s2
	v_add_co_u32 v4, s2, v4, -8
	v_add_co_ci_u32_e64 v7, null, -1, v7, s2
	s_add_i32 s23, s23, s3
	s_mul_i32 s3, s17, 0x98
	s_mul_hi_u32 s25, s16, 0x98
	s_mul_hi_u32 s27, s16, 0x110
	s_add_i32 s25, s25, s3
	s_mul_i32 s3, s17, 0x110
	s_mul_hi_u32 s29, s16, 0x118
	s_add_i32 s27, s27, s3
	s_mul_i32 s3, s17, 0x118
	v_and_b32_e32 v6, 15, v0
	v_cndmask_b32_e32 v41, v3, v7, vcc_lo
	v_cndmask_b32_e32 v40, v2, v4, vcc_lo
	v_and_b32_e32 v2, 48, v0
	v_lshlrev_b32_e32 v3, 5, v5
	s_add_i32 s29, s29, s3
	s_mul_i32 s3, s17, 0x180
	s_mul_hi_u32 s31, s16, 0x180
	s_mul_hi_u32 s34, s16, 0x190
	s_add_i32 s31, s31, s3
	s_mul_i32 s3, s17, 0x190
	s_mul_i32 s4, s10, s22
	v_lshlrev_b32_e32 v2, 3, v2
	v_or_b32_e32 v4, 0x78, v74
	v_mad_u32_u24 v81, 0x218, v6, v3
	v_mul_i32_i24_e32 v3, 0xffffffe8, v5
	s_add_i32 s34, s34, s3
	s_mul_i32 s3, s17, 0x198
	s_mul_hi_u32 s36, s16, 0x198
	s_lshl_b64 s[4:5], s[4:5], 3
	s_add_i32 s36, s36, s3
	s_mul_i32 s3, s17, 0x188
	s_mul_hi_u32 s38, s16, 0x188
	v_sub_co_u32 v75, s2, v18, s4
	s_add_i32 s38, s38, s3
	s_mul_i32 s3, s17, 0x108
	s_mul_hi_u32 s40, s16, 0x108
	v_mov_b32_e32 v39, 0
	v_subrev_co_ci_u32_e64 v76, null, s5, v19, s2
	v_add_nc_u32_e32 v77, 0x2180, v74
	v_lshl_add_u32 v78, v1, 5, 0x2180
	v_add_nc_u32_e32 v79, 0x2380, v74
	v_mad_u32_u24 v80, 0x860, v1, v74
	v_cmp_gt_u32_e64 s2, 64, v24
	v_mad_u32_u24 v82, 0x218, v6, v2
	v_mad_u32_u24 v83, 0x218, v6, v4
	v_add_nc_u32_e32 v84, v81, v3
	s_lshl_b64 s[4:5], s[16:17], 3
	s_lshl_b64 s[8:9], s[16:17], 4
	;; [unrolled: 1-line block ×4, first 2 shown]
	s_add_i32 s40, s40, s3
	s_mul_i32 s3, s17, 0x88
	s_mul_hi_u32 s17, s16, 0x88
	s_mul_i32 s22, s16, 24
	s_mul_i32 s24, s16, 0x90
	;; [unrolled: 1-line block ×10, first 2 shown]
	s_add_i32 s17, s17, s3
	s_mulk_i32 s16, 0x88
	s_mov_b32 s42, 0
	s_branch .LBB184_98
.LBB184_97:                             ;   in Loop: Header=BB184_98 Depth=1
	s_or_b32 exec_lo, exec_lo, s43
	v_mul_f32_e32 v38, v7, v43
	v_mul_f32_e32 v7, v7, v42
	;; [unrolled: 1-line block ×5, first 2 shown]
	v_fma_f32 v38, v6, v42, -v38
	v_fmac_f32_e32 v7, v6, v43
	v_fma_f32 v48, v8, v48, -v85
	v_mul_f32_e32 v3, v3, v46
	v_mul_f32_e32 v42, v5, v45
	v_add_f32_e32 v36, v36, v38
	v_fma_f32 v6, v2, v46, -v86
	v_fmac_f32_e32 v9, v8, v49
	v_add_f32_e32 v7, v37, v7
	v_mul_f32_e32 v5, v5, v44
	v_add_f32_e32 v36, v36, v48
	v_mul_f32_e32 v38, v15, v57
	v_fma_f32 v8, v4, v44, -v42
	v_fmac_f32_e32 v3, v2, v47
	v_add_f32_e32 v2, v7, v9
	v_add_f32_e32 v6, v36, v6
	v_mul_f32_e32 v15, v15, v56
	v_mul_f32_e32 v43, v17, v55
	v_fma_f32 v7, v14, v56, -v38
	v_fmac_f32_e32 v5, v4, v45
	v_add_f32_e32 v6, v6, v8
	v_add_f32_e32 v2, v2, v3
	v_mul_f32_e32 v17, v17, v54
	v_mul_f32_e32 v8, v11, v53
	v_fma_f32 v3, v16, v54, -v43
	v_add_f32_e32 v4, v6, v7
	v_fmac_f32_e32 v15, v14, v57
	v_add_f32_e32 v2, v2, v5
	v_mul_f32_e32 v6, v13, v51
	v_fma_f32 v5, v10, v52, -v8
	v_add_f32_e32 v3, v4, v3
	v_mul_f32_e32 v4, v11, v52
	v_fmac_f32_e32 v17, v16, v55
	v_add_f32_e32 v2, v2, v15
	v_fma_f32 v6, v12, v50, -v6
	v_add_f32_e32 v3, v3, v5
	v_mul_f32_e32 v5, v23, v65
	v_fmac_f32_e32 v4, v10, v53
	v_add_f32_e32 v2, v2, v17
	v_mul_f32_e32 v7, v13, v50
	v_add_f32_e32 v3, v3, v6
	v_fma_f32 v5, v22, v64, -v5
	v_mul_f32_e32 v6, v25, v63
	v_add_f32_e32 v2, v2, v4
	v_fmac_f32_e32 v7, v12, v51
	v_mul_f32_e32 v4, v23, v64
	v_add_f32_e32 v3, v3, v5
	v_fma_f32 v5, v24, v62, -v6
	v_mul_f32_e32 v6, v19, v61
	v_add_f32_e32 v2, v2, v7
	v_fmac_f32_e32 v4, v22, v65
	;; [unrolled: 6-line block ×4, first 2 shown]
	v_mul_f32_e32 v7, v21, v58
	v_add_f32_e32 v3, v3, v5
	v_mul_f32_e32 v5, v33, v71
	v_mul_f32_e32 v8, v29, v66
	v_add_f32_e32 v2, v2, v4
	v_fma_f32 v4, v30, v72, -v6
	v_fmac_f32_e32 v7, v20, v59
	v_mul_f32_e32 v6, v31, v72
	v_fmac_f32_e32 v8, v28, v67
	v_add_co_u32 v40, s3, v40, s14
	v_add_f32_e32 v3, v3, v4
	v_fma_f32 v4, v32, v70, -v5
	v_add_f32_e32 v2, v2, v7
	v_mul_f32_e32 v5, v33, v70
	v_fmac_f32_e32 v6, v30, v73
	v_mul_f32_e32 v7, v27, v69
	v_add_f32_e32 v3, v3, v4
	v_mul_f32_e32 v4, v27, v68
	v_fmac_f32_e32 v5, v32, v71
	v_add_f32_e32 v2, v2, v6
	v_fma_f32 v6, v26, v68, -v7
	v_mul_f32_e32 v7, v29, v67
	v_fmac_f32_e32 v4, v26, v69
	v_add_co_ci_u32_e64 v41, null, s15, v41, s3
	v_add_f32_e32 v2, v2, v5
	v_add_f32_e32 v3, v3, v6
	v_fma_f32 v5, v28, v66, -v7
	s_add_i32 s6, s6, -1
	s_add_i32 s42, s42, 64
	v_add_f32_e32 v2, v2, v4
	s_cmp_eq_u32 s6, 0
	v_add_f32_e32 v36, v3, v5
	s_waitcnt_vscnt null, 0x0
	s_barrier
	v_add_f32_e32 v37, v2, v8
	buffer_gl0_inv
	s_cbranch_scc1 .LBB184_102
.LBB184_98:                             ; =>This Inner Loop Header: Depth=1
	s_and_saveexec_b32 s43, s1
	s_cbranch_execz .LBB184_100
; %bb.99:                               ;   in Loop: Header=BB184_98 Depth=1
	s_mul_i32 s3, s11, s42
	s_mul_hi_u32 s45, s10, s42
	s_mul_i32 s44, s10, s42
	s_add_i32 s45, s45, s3
	s_lshl_b64 s[44:45], s[44:45], 3
	v_add_co_u32 v2, s3, v75, s44
	v_add_co_ci_u32_e64 v3, null, s45, v76, s3
	flat_load_dwordx2 v[2:3], v[2:3]
	s_waitcnt vmcnt(0) lgkmcnt(0)
	ds_write_b64 v77, v[2:3]
.LBB184_100:                            ;   in Loop: Header=BB184_98 Depth=1
	s_or_b32 exec_lo, exec_lo, s43
	v_add_co_u32 v2, s3, v40, s4
	v_add_co_ci_u32_e64 v3, null, s5, v41, s3
	v_add_co_u32 v4, s3, v40, s8
	v_add_co_ci_u32_e64 v5, null, s9, v41, s3
	;; [unrolled: 2-line block ×3, first 2 shown]
	s_waitcnt lgkmcnt(0)
	s_barrier
	buffer_gl0_inv
	s_clause 0x3
	flat_load_dwordx2 v[42:43], v[40:41]
	flat_load_dwordx2 v[48:49], v[2:3]
	;; [unrolled: 1-line block ×4, first 2 shown]
	ds_read_b64 v[10:11], v79
	ds_read_b128 v[6:9], v78
	ds_read_b128 v[2:5], v78 offset:16
	v_add_co_u32 v12, s3, v40, s18
	v_add_co_ci_u32_e64 v13, null, s19, v41, s3
	v_add_co_u32 v16, s3, v40, s16
	v_add_co_ci_u32_e64 v17, null, s17, v41, s3
	s_waitcnt vmcnt(2) lgkmcnt(2)
	v_mul_f32_e32 v18, v11, v49
	v_mul_f32_e32 v14, v11, v43
	;; [unrolled: 1-line block ×4, first 2 shown]
	s_waitcnt vmcnt(1)
	v_mul_f32_e32 v20, v11, v47
	v_mul_f32_e32 v21, v11, v46
	s_waitcnt vmcnt(0)
	v_mul_f32_e32 v22, v11, v45
	v_mul_f32_e32 v23, v10, v45
	v_fma_f32 v14, v10, v42, -v14
	v_fmac_f32_e32 v15, v10, v43
	v_fma_f32 v18, v10, v48, -v18
	v_fmac_f32_e32 v19, v10, v49
	;; [unrolled: 2-line block ×4, first 2 shown]
	v_add_co_u32 v10, s3, v40, s24
	v_add_co_ci_u32_e64 v11, null, s23, v41, s3
	ds_write2_b64 v80, v[14:15], v[18:19] offset1:67
	ds_write2_b64 v80, v[20:21], v[22:23] offset0:134 offset1:201
	s_waitcnt lgkmcnt(0)
	s_barrier
	buffer_gl0_inv
	ds_read2_b64 v[85:88], v81 offset1:1
	ds_read2_b64 v[89:92], v81 offset0:2 offset1:3
	s_waitcnt lgkmcnt(0)
	s_barrier
	buffer_gl0_inv
	flat_load_dwordx2 v[56:57], v[12:13]
	v_add_co_u32 v12, s3, v40, s26
	v_add_co_ci_u32_e64 v13, null, s25, v41, s3
	s_clause 0x2
	flat_load_dwordx2 v[54:55], v[16:17]
	flat_load_dwordx2 v[52:53], v[10:11]
	;; [unrolled: 1-line block ×3, first 2 shown]
	ds_read_b64 v[10:11], v79
	v_add_co_u32 v18, s3, v40, s12
	v_add_co_ci_u32_e64 v19, null, s13, v41, s3
	v_add_co_u32 v20, s3, v40, s41
	v_add_co_ci_u32_e64 v21, null, s40, v41, s3
	;; [unrolled: 2-line block ×4, first 2 shown]
	v_add_f32_e32 v38, 0, v85
	v_add_f32_e32 v85, 0, v86
	;; [unrolled: 1-line block ×8, first 2 shown]
	s_waitcnt vmcnt(3) lgkmcnt(0)
	v_mul_f32_e32 v12, v11, v57
	v_mul_f32_e32 v25, v11, v56
	s_waitcnt vmcnt(2)
	v_mul_f32_e32 v13, v11, v55
	v_mul_f32_e32 v27, v11, v54
	s_waitcnt vmcnt(1)
	;; [unrolled: 3-line block ×3, first 2 shown]
	v_mul_f32_e32 v15, v11, v51
	v_mul_f32_e32 v31, v10, v51
	v_fma_f32 v24, v10, v56, -v12
	v_fmac_f32_e32 v25, v10, v57
	v_fma_f32 v26, v10, v54, -v13
	v_fmac_f32_e32 v27, v10, v55
	;; [unrolled: 2-line block ×4, first 2 shown]
	ds_read_b128 v[14:17], v78 offset:128
	ds_read_b128 v[10:13], v78 offset:144
	ds_write2_b64 v80, v[24:25], v[26:27] offset1:67
	ds_write2_b64 v80, v[28:29], v[30:31] offset0:134 offset1:201
	s_waitcnt lgkmcnt(0)
	s_barrier
	buffer_gl0_inv
	ds_read2_b64 v[93:96], v81 offset1:1
	ds_read2_b64 v[97:100], v81 offset0:2 offset1:3
	s_waitcnt lgkmcnt(0)
	s_barrier
	buffer_gl0_inv
	s_clause 0x3
	flat_load_dwordx2 v[64:65], v[18:19]
	flat_load_dwordx2 v[62:63], v[20:21]
	;; [unrolled: 1-line block ×4, first 2 shown]
	ds_read_b64 v[18:19], v79
	v_add_co_u32 v26, s3, v40, s33
	v_add_co_ci_u32_e64 v27, null, s31, v41, s3
	v_add_co_u32 v28, s3, v40, s39
	v_add_co_ci_u32_e64 v29, null, s38, v41, s3
	;; [unrolled: 2-line block ×3, first 2 shown]
	v_add_f32_e32 v93, 0, v93
	v_add_f32_e32 v94, 0, v94
	;; [unrolled: 1-line block ×7, first 2 shown]
	s_waitcnt vmcnt(3) lgkmcnt(0)
	v_mul_f32_e32 v20, v19, v65
	v_mul_f32_e32 v31, v19, v64
	s_waitcnt vmcnt(2)
	v_mul_f32_e32 v21, v19, v63
	v_mul_f32_e32 v33, v19, v62
	s_waitcnt vmcnt(1)
	v_mul_f32_e32 v22, v19, v61
	s_waitcnt vmcnt(0)
	v_mul_f32_e32 v23, v19, v59
	v_mul_f32_e32 v67, v19, v60
	v_mul_f32_e32 v69, v18, v59
	v_fma_f32 v30, v18, v64, -v20
	v_fma_f32 v32, v18, v62, -v21
	v_fmac_f32_e32 v31, v18, v65
	v_fmac_f32_e32 v33, v18, v63
	v_fma_f32 v66, v18, v60, -v22
	v_fma_f32 v68, v18, v58, -v23
	v_fmac_f32_e32 v67, v18, v61
	v_fmac_f32_e32 v69, v19, v58
	ds_read_b128 v[22:25], v78 offset:256
	ds_read_b128 v[18:21], v78 offset:272
	ds_write2_b64 v80, v[30:31], v[32:33] offset1:67
	ds_write2_b64 v80, v[66:67], v[68:69] offset0:134 offset1:201
	s_waitcnt lgkmcnt(0)
	s_barrier
	buffer_gl0_inv
	ds_read2_b64 v[101:104], v81 offset1:1
	ds_read2_b64 v[105:108], v81 offset0:2 offset1:3
	s_waitcnt lgkmcnt(0)
	s_barrier
	buffer_gl0_inv
	flat_load_dwordx2 v[72:73], v[26:27]
	v_add_co_u32 v26, s3, v40, s37
	v_add_co_ci_u32_e64 v27, null, s36, v41, s3
	s_clause 0x2
	flat_load_dwordx2 v[70:71], v[28:29]
	flat_load_dwordx2 v[68:69], v[109:110]
	;; [unrolled: 1-line block ×3, first 2 shown]
	ds_read_b64 v[26:27], v79
	v_add_f32_e32 v92, 0, v101
	v_add_f32_e32 v93, 0, v102
	;; [unrolled: 1-line block ×7, first 2 shown]
	s_waitcnt vmcnt(3) lgkmcnt(0)
	v_mul_f32_e32 v28, v27, v73
	v_mul_f32_e32 v110, v27, v72
	s_waitcnt vmcnt(2)
	v_mul_f32_e32 v29, v27, v71
	v_mul_f32_e32 v112, v27, v70
	s_waitcnt vmcnt(1)
	;; [unrolled: 3-line block ×3, first 2 shown]
	v_mul_f32_e32 v31, v27, v67
	v_mul_f32_e32 v116, v26, v67
	v_fma_f32 v109, v26, v72, -v28
	v_fma_f32 v111, v26, v70, -v29
	v_fmac_f32_e32 v110, v26, v73
	v_fmac_f32_e32 v112, v26, v71
	v_fma_f32 v113, v26, v68, -v30
	v_fma_f32 v115, v26, v66, -v31
	v_fmac_f32_e32 v114, v26, v69
	v_fmac_f32_e32 v116, v27, v66
	ds_read_b128 v[30:33], v78 offset:384
	ds_read_b128 v[26:29], v78 offset:400
	ds_write2_b64 v80, v[109:110], v[111:112] offset1:67
	ds_write2_b64 v80, v[113:114], v[115:116] offset0:134 offset1:201
	s_waitcnt lgkmcnt(0)
	s_barrier
	buffer_gl0_inv
	ds_read2_b64 v[109:112], v81 offset1:1
	ds_read2_b64 v[85:88], v81 offset0:2 offset1:3
	s_waitcnt lgkmcnt(0)
	s_barrier
	buffer_gl0_inv
	v_add_f32_e32 v94, 0, v109
	v_add_f32_e32 v95, 0, v110
	;; [unrolled: 1-line block ×10, first 2 shown]
	ds_write2_b64 v84, v[89:90], v[91:92] offset1:16
	ds_write2_b64 v84, v[85:86], v[87:88] offset0:32 offset1:48
	s_waitcnt lgkmcnt(0)
	s_barrier
	buffer_gl0_inv
	s_and_saveexec_b32 s43, s2
	s_cbranch_execz .LBB184_97
; %bb.101:                              ;   in Loop: Header=BB184_98 Depth=1
	ds_read_b64 v[97:98], v82
	ds_read2_b64 v[85:88], v82 offset0:1 offset1:2
	ds_read2_b64 v[89:92], v82 offset0:3 offset1:4
	ds_read2_b64 v[93:96], v82 offset0:5 offset1:6
	s_waitcnt lgkmcnt(2)
	v_add_f32_e32 v38, v85, v97
	v_add_f32_e32 v85, v86, v98
	v_add_f32_e32 v38, v87, v38
	v_add_f32_e32 v97, v88, v85
	ds_read2_b64 v[85:88], v82 offset0:7 offset1:8
	s_waitcnt lgkmcnt(2)
	v_add_f32_e32 v38, v38, v89
	v_add_f32_e32 v89, v97, v90
	v_add_f32_e32 v38, v38, v91
	v_add_f32_e32 v97, v89, v92
	ds_read2_b64 v[89:92], v82 offset0:9 offset1:10
	;; [unrolled: 6-line block ×4, first 2 shown]
	s_waitcnt lgkmcnt(2)
	v_add_f32_e32 v38, v38, v89
	v_add_f32_e32 v89, v97, v90
	;; [unrolled: 1-line block ×4, first 2 shown]
	ds_read_b64 v[89:90], v83
	s_waitcnt lgkmcnt(2)
	v_add_f32_e32 v38, v38, v93
	v_add_f32_e32 v91, v91, v94
	;; [unrolled: 1-line block ×4, first 2 shown]
	s_waitcnt lgkmcnt(1)
	v_add_f32_e32 v85, v38, v85
	v_add_f32_e32 v86, v91, v86
	v_add_nc_u32_e32 v38, s42, v0
	v_add_f32_e32 v87, v85, v87
	v_add_f32_e32 v88, v86, v88
	v_lshlrev_b64 v[85:86], 3, v[38:39]
	s_waitcnt lgkmcnt(0)
	v_add_f32_e32 v87, v87, v89
	v_add_f32_e32 v88, v88, v90
	v_add_co_u32 v85, s3, s7, v85
	v_add_co_ci_u32_e64 v86, null, s20, v86, s3
	global_store_dwordx2 v[85:86], v[87:88], off
	s_branch .LBB184_97
.LBB184_102:
	v_mad_u32_u24 v0, 0x218, v1, v74
	s_nor_b32 s0, s0, vcc_lo
	ds_write_b64 v0, v[36:37]
	s_waitcnt lgkmcnt(0)
	s_barrier
	buffer_gl0_inv
	s_and_saveexec_b32 s1, s0
	s_cbranch_execz .LBB184_104
; %bb.103:
	ds_read2_b64 v[0:3], v74 offset1:67
	ds_read2_b64 v[4:7], v74 offset0:134 offset1:201
	s_waitcnt lgkmcnt(1)
	v_add_f32_e32 v0, v2, v0
	v_add_f32_e32 v1, v3, v1
	s_waitcnt lgkmcnt(0)
	v_add_f32_e32 v2, v4, v0
	v_add_f32_e32 v3, v5, v1
	v_lshlrev_b64 v[0:1], 3, v[34:35]
	v_add_f32_e32 v2, v2, v6
	v_add_f32_e32 v3, v3, v7
	v_add_co_u32 v0, vcc_lo, s7, v0
	v_add_co_ci_u32_e64 v1, null, s20, v1, vcc_lo
	global_store_dwordx2 v[0:1], v[2:3], off
.LBB184_104:
	s_endpgm
	.section	.rodata,"a",@progbits
	.p2align	6, 0x0
	.amdhsa_kernel _ZL26rocblas_hemvn_kernel_lowerILb0ELi64ELi4ELi33ELi32ELi16ElPK19rocblas_complex_numIfEPKS3_PS1_EviT6_lT7_lT5_lS8_lS9_lS7_lT8_i
		.amdhsa_group_segment_fixed_size 9600
		.amdhsa_private_segment_fixed_size 0
		.amdhsa_kernarg_size 376
		.amdhsa_user_sgpr_count 6
		.amdhsa_user_sgpr_private_segment_buffer 1
		.amdhsa_user_sgpr_dispatch_ptr 0
		.amdhsa_user_sgpr_queue_ptr 0
		.amdhsa_user_sgpr_kernarg_segment_ptr 1
		.amdhsa_user_sgpr_dispatch_id 0
		.amdhsa_user_sgpr_flat_scratch_init 0
		.amdhsa_user_sgpr_private_segment_size 0
		.amdhsa_wavefront_size32 1
		.amdhsa_uses_dynamic_stack 0
		.amdhsa_system_sgpr_private_segment_wavefront_offset 0
		.amdhsa_system_sgpr_workgroup_id_x 1
		.amdhsa_system_sgpr_workgroup_id_y 0
		.amdhsa_system_sgpr_workgroup_id_z 1
		.amdhsa_system_sgpr_workgroup_info 0
		.amdhsa_system_vgpr_workitem_id 1
		.amdhsa_next_free_vgpr 117
		.amdhsa_next_free_sgpr 46
		.amdhsa_reserve_vcc 1
		.amdhsa_reserve_flat_scratch 1
		.amdhsa_float_round_mode_32 0
		.amdhsa_float_round_mode_16_64 0
		.amdhsa_float_denorm_mode_32 3
		.amdhsa_float_denorm_mode_16_64 3
		.amdhsa_dx10_clamp 1
		.amdhsa_ieee_mode 1
		.amdhsa_fp16_overflow 0
		.amdhsa_workgroup_processor_mode 1
		.amdhsa_memory_ordered 1
		.amdhsa_forward_progress 1
		.amdhsa_shared_vgpr_count 0
		.amdhsa_exception_fp_ieee_invalid_op 0
		.amdhsa_exception_fp_denorm_src 0
		.amdhsa_exception_fp_ieee_div_zero 0
		.amdhsa_exception_fp_ieee_overflow 0
		.amdhsa_exception_fp_ieee_underflow 0
		.amdhsa_exception_fp_ieee_inexact 0
		.amdhsa_exception_int_div_zero 0
	.end_amdhsa_kernel
	.section	.text._ZL26rocblas_hemvn_kernel_lowerILb0ELi64ELi4ELi33ELi32ELi16ElPK19rocblas_complex_numIfEPKS3_PS1_EviT6_lT7_lT5_lS8_lS9_lS7_lT8_i,"axG",@progbits,_ZL26rocblas_hemvn_kernel_lowerILb0ELi64ELi4ELi33ELi32ELi16ElPK19rocblas_complex_numIfEPKS3_PS1_EviT6_lT7_lT5_lS8_lS9_lS7_lT8_i,comdat
.Lfunc_end184:
	.size	_ZL26rocblas_hemvn_kernel_lowerILb0ELi64ELi4ELi33ELi32ELi16ElPK19rocblas_complex_numIfEPKS3_PS1_EviT6_lT7_lT5_lS8_lS9_lS7_lT8_i, .Lfunc_end184-_ZL26rocblas_hemvn_kernel_lowerILb0ELi64ELi4ELi33ELi32ELi16ElPK19rocblas_complex_numIfEPKS3_PS1_EviT6_lT7_lT5_lS8_lS9_lS7_lT8_i
                                        ; -- End function
	.set _ZL26rocblas_hemvn_kernel_lowerILb0ELi64ELi4ELi33ELi32ELi16ElPK19rocblas_complex_numIfEPKS3_PS1_EviT6_lT7_lT5_lS8_lS9_lS7_lT8_i.num_vgpr, 117
	.set _ZL26rocblas_hemvn_kernel_lowerILb0ELi64ELi4ELi33ELi32ELi16ElPK19rocblas_complex_numIfEPKS3_PS1_EviT6_lT7_lT5_lS8_lS9_lS7_lT8_i.num_agpr, 0
	.set _ZL26rocblas_hemvn_kernel_lowerILb0ELi64ELi4ELi33ELi32ELi16ElPK19rocblas_complex_numIfEPKS3_PS1_EviT6_lT7_lT5_lS8_lS9_lS7_lT8_i.numbered_sgpr, 46
	.set _ZL26rocblas_hemvn_kernel_lowerILb0ELi64ELi4ELi33ELi32ELi16ElPK19rocblas_complex_numIfEPKS3_PS1_EviT6_lT7_lT5_lS8_lS9_lS7_lT8_i.num_named_barrier, 0
	.set _ZL26rocblas_hemvn_kernel_lowerILb0ELi64ELi4ELi33ELi32ELi16ElPK19rocblas_complex_numIfEPKS3_PS1_EviT6_lT7_lT5_lS8_lS9_lS7_lT8_i.private_seg_size, 0
	.set _ZL26rocblas_hemvn_kernel_lowerILb0ELi64ELi4ELi33ELi32ELi16ElPK19rocblas_complex_numIfEPKS3_PS1_EviT6_lT7_lT5_lS8_lS9_lS7_lT8_i.uses_vcc, 1
	.set _ZL26rocblas_hemvn_kernel_lowerILb0ELi64ELi4ELi33ELi32ELi16ElPK19rocblas_complex_numIfEPKS3_PS1_EviT6_lT7_lT5_lS8_lS9_lS7_lT8_i.uses_flat_scratch, 1
	.set _ZL26rocblas_hemvn_kernel_lowerILb0ELi64ELi4ELi33ELi32ELi16ElPK19rocblas_complex_numIfEPKS3_PS1_EviT6_lT7_lT5_lS8_lS9_lS7_lT8_i.has_dyn_sized_stack, 0
	.set _ZL26rocblas_hemvn_kernel_lowerILb0ELi64ELi4ELi33ELi32ELi16ElPK19rocblas_complex_numIfEPKS3_PS1_EviT6_lT7_lT5_lS8_lS9_lS7_lT8_i.has_recursion, 0
	.set _ZL26rocblas_hemvn_kernel_lowerILb0ELi64ELi4ELi33ELi32ELi16ElPK19rocblas_complex_numIfEPKS3_PS1_EviT6_lT7_lT5_lS8_lS9_lS7_lT8_i.has_indirect_call, 0
	.section	.AMDGPU.csdata,"",@progbits
; Kernel info:
; codeLenInByte = 7952
; TotalNumSgprs: 48
; NumVgprs: 117
; ScratchSize: 0
; MemoryBound: 1
; FloatMode: 240
; IeeeMode: 1
; LDSByteSize: 9600 bytes/workgroup (compile time only)
; SGPRBlocks: 0
; VGPRBlocks: 14
; NumSGPRsForWavesPerEU: 48
; NumVGPRsForWavesPerEU: 117
; Occupancy: 8
; WaveLimiterHint : 1
; COMPUTE_PGM_RSRC2:SCRATCH_EN: 0
; COMPUTE_PGM_RSRC2:USER_SGPR: 6
; COMPUTE_PGM_RSRC2:TRAP_HANDLER: 0
; COMPUTE_PGM_RSRC2:TGID_X_EN: 1
; COMPUTE_PGM_RSRC2:TGID_Y_EN: 0
; COMPUTE_PGM_RSRC2:TGID_Z_EN: 1
; COMPUTE_PGM_RSRC2:TIDIG_COMP_CNT: 1
	.section	.text._ZL26rocblas_hemvn_kernel_lowerILb0ELi64ELi4ELi33ELi32ELi16EiPK19rocblas_complex_numIfEPKS3_PS1_EviT6_lT7_lT5_lS8_lS9_lS7_lT8_i,"axG",@progbits,_ZL26rocblas_hemvn_kernel_lowerILb0ELi64ELi4ELi33ELi32ELi16EiPK19rocblas_complex_numIfEPKS3_PS1_EviT6_lT7_lT5_lS8_lS9_lS7_lT8_i,comdat
	.globl	_ZL26rocblas_hemvn_kernel_lowerILb0ELi64ELi4ELi33ELi32ELi16EiPK19rocblas_complex_numIfEPKS3_PS1_EviT6_lT7_lT5_lS8_lS9_lS7_lT8_i ; -- Begin function _ZL26rocblas_hemvn_kernel_lowerILb0ELi64ELi4ELi33ELi32ELi16EiPK19rocblas_complex_numIfEPKS3_PS1_EviT6_lT7_lT5_lS8_lS9_lS7_lT8_i
	.p2align	8
	.type	_ZL26rocblas_hemvn_kernel_lowerILb0ELi64ELi4ELi33ELi32ELi16EiPK19rocblas_complex_numIfEPKS3_PS1_EviT6_lT7_lT5_lS8_lS9_lS7_lT8_i,@function
_ZL26rocblas_hemvn_kernel_lowerILb0ELi64ELi4ELi33ELi32ELi16EiPK19rocblas_complex_numIfEPKS3_PS1_EviT6_lT7_lT5_lS8_lS9_lS7_lT8_i: ; @_ZL26rocblas_hemvn_kernel_lowerILb0ELi64ELi4ELi33ELi32ELi16EiPK19rocblas_complex_numIfEPKS3_PS1_EviT6_lT7_lT5_lS8_lS9_lS7_lT8_i
; %bb.0:
	s_load_dwordx2 s[0:1], s[4:5], 0x84
	s_add_u32 s20, s4, 0x78
	s_addc_u32 s21, s5, 0
	s_waitcnt lgkmcnt(0)
	s_lshr_b32 s2, s0, 16
	s_and_b32 s0, s0, 0xffff
	s_and_b32 s1, s1, 0xffff
	s_mul_i32 s0, s2, s0
	s_mul_i32 s0, s0, s1
	s_cmpk_lg_i32 s0, 0x100
	s_cbranch_scc1 .LBB185_104
; %bb.1:
	s_load_dwordx8 s[8:15], s[4:5], 0x8
	s_mov_b32 s16, s7
	v_mov_b32_e32 v2, v1
	s_mov_b32 s17, 0
	s_waitcnt lgkmcnt(0)
	s_mul_i32 s0, s11, s7
	s_mul_hi_u32 s1, s10, s7
	s_add_i32 s1, s1, s0
	s_mul_i32 s0, s10, s7
	s_lshl_b64 s[0:1], s[0:1], 3
	s_add_u32 s0, s8, s0
	s_addc_u32 s1, s9, s1
	s_load_dwordx2 s[8:9], s[0:1], 0x0
	s_clause 0x1
	s_load_dwordx2 s[18:19], s[4:5], 0x68
	s_load_dwordx4 s[0:3], s[4:5], 0x58
	s_waitcnt lgkmcnt(0)
	s_or_b32 s7, s8, s9
	s_bitset0_b32 s7, 31
	s_cmp_lg_u32 s7, 0
	s_mov_b32 s7, -1
	s_cbranch_scc1 .LBB185_3
; %bb.2:
	s_mul_i32 s3, s3, s16
	s_mul_hi_u32 s7, s2, s16
	s_mul_i32 s2, s2, s16
	s_add_i32 s3, s7, s3
	s_mov_b32 s7, 0
	s_lshl_b64 s[2:3], s[2:3], 3
	s_add_u32 s0, s0, s2
	s_addc_u32 s1, s1, s3
	s_load_dwordx2 s[0:1], s[0:1], 0x0
	s_waitcnt lgkmcnt(0)
	v_cmp_eq_f32_e64 s0, s0, 1.0
	v_cmp_eq_f32_e64 s1, s1, 0
	s_and_b32 s0, s0, s1
	s_andn2_b32 vcc_lo, exec_lo, s0
.LBB185_3:
	s_andn2_b32 vcc_lo, exec_lo, s7
	s_cbranch_vccnz .LBB185_104
; %bb.4:
	s_load_dwordx4 s[0:3], s[4:5], 0x38
	s_lshl_b64 s[8:9], s[16:17], 3
	s_load_dword s17, s[4:5], 0x48
	s_add_u32 s10, s12, s8
	s_addc_u32 s11, s13, s9
	s_waitcnt lgkmcnt(0)
	s_add_u32 s0, s0, s8
	s_addc_u32 s1, s1, s9
	s_lshl_b64 s[2:3], s[2:3], 3
	s_load_dwordx2 s[0:1], s[0:1], 0x0
	s_load_dword s26, s[4:5], 0x0
	s_load_dword s27, s[20:21], 0x0
	s_waitcnt lgkmcnt(0)
	s_add_u32 s7, s0, s2
	s_addc_u32 s1, s1, s3
	s_lshl_b32 s12, s6, 6
	s_load_dwordx2 s[2:3], s[10:11], 0x0
	v_add_nc_u32_e32 v35, s12, v0
	s_ashr_i32 s28, s26, 31
	s_add_i32 s9, s27, -1
	s_lshr_b32 s0, s28, 26
	v_mul_lo_u32 v3, s17, v35
	s_add_i32 s8, s26, s0
	v_cmp_ne_u32_e64 s0, 0, v2
	s_andn2_b32 s8, s8, 63
	s_sub_i32 s8, s26, s8
	s_cmp_eq_u32 s6, s9
	v_ashrrev_i32_e32 v4, 31, v3
	s_cselect_b32 s20, s8, 0
	v_lshlrev_b64 v[3:4], 3, v[3:4]
	v_add_co_u32 v19, vcc_lo, s7, v3
	v_add_co_ci_u32_e64 v20, null, s1, v4, vcc_lo
	v_cmp_eq_u32_e64 s1, 0, v2
	s_mov_b32 s7, -1
	s_and_saveexec_b32 s8, s1
	s_cbranch_execz .LBB185_9
; %bb.5:
	v_cmp_le_i32_e32 vcc_lo, s20, v0
	s_cmp_lg_u32 s20, 0
	v_lshl_add_u32 v1, v0, 3, 0x2380
	s_cselect_b32 s9, -1, 0
	s_and_b32 s9, s9, vcc_lo
	s_and_saveexec_b32 s10, s9
	s_xor_b32 s9, exec_lo, s10
; %bb.6:
	v_mov_b32_e32 v3, 0
	v_mov_b32_e32 v4, v3
	ds_write_b64 v1, v[3:4]
                                        ; implicit-def: $vgpr1
; %bb.7:
	s_andn2_saveexec_b32 s9, s9
	s_cbranch_execz .LBB185_9
; %bb.8:
	flat_load_dwordx2 v[3:4], v[19:20]
	s_waitcnt vmcnt(0) lgkmcnt(0)
	ds_write_b64 v1, v[3:4]
.LBB185_9:
	s_or_b32 exec_lo, exec_lo, s8
	s_load_dword s10, s[4:5], 0x28
	v_lshl_add_u32 v25, v2, 6, v0
	v_and_b32_e32 v1, 31, v0
	s_lshl_b64 s[4:5], s[14:15], 3
	s_waitcnt lgkmcnt(0)
	s_add_u32 s4, s2, s4
	v_lshrrev_b32_e32 v7, 5, v25
	s_addc_u32 s5, s3, s5
	s_ashr_i32 s13, s12, 31
	s_lshl_b64 s[2:3], s[12:13], 3
	s_add_u32 s4, s4, s2
	s_addc_u32 s5, s5, s3
	v_mad_u64_u32 v[3:4], null, s10, v7, v[1:2]
	s_mul_i32 s2, s10, s12
	s_ashr_i32 s3, s2, 31
	s_lshl_b64 s[14:15], s[2:3], 3
	s_cmp_lg_u32 s20, 0
	v_ashrrev_i32_e32 v4, 31, v3
	s_cselect_b32 s13, -1, 0
	s_cmp_eq_u32 s20, 0
	s_cselect_b32 s8, -1, 0
	v_lshlrev_b64 v[21:22], 3, v[3:4]
	v_add_co_u32 v3, vcc_lo, s4, v21
	v_add_co_ci_u32_e64 v4, null, s5, v22, vcc_lo
	v_add_co_u32 v3, vcc_lo, v3, s14
	v_add_co_ci_u32_e64 v4, null, s15, v4, vcc_lo
	s_and_b32 vcc_lo, exec_lo, s13
	s_cbranch_vccnz .LBB185_11
; %bb.10:
	s_lshl_b32 s2, s10, 3
	s_ashr_i32 s11, s10, 31
	s_ashr_i32 s3, s2, 31
	v_mul_u32_u24_e32 v14, 0x108, v7
	s_lshl_b64 s[2:3], s[2:3], 3
	s_mov_b32 s7, 0
	v_add_co_u32 v5, vcc_lo, v3, s2
	v_add_co_ci_u32_e64 v6, null, s3, v4, vcc_lo
	s_lshl_b64 s[2:3], s[10:11], 6
	v_lshl_add_u32 v14, v1, 3, v14
	v_add_co_u32 v8, vcc_lo, v5, s2
	v_add_co_ci_u32_e64 v9, null, s3, v6, vcc_lo
	v_add_co_u32 v10, vcc_lo, v8, s2
	v_add_co_ci_u32_e64 v11, null, s3, v9, vcc_lo
	s_clause 0x3
	flat_load_dwordx2 v[12:13], v[3:4]
	flat_load_dwordx2 v[5:6], v[5:6]
	;; [unrolled: 1-line block ×4, first 2 shown]
	s_waitcnt vmcnt(3) lgkmcnt(3)
	ds_write_b64 v14, v[12:13]
	s_waitcnt vmcnt(2) lgkmcnt(3)
	ds_write_b64 v14, v[5:6] offset:2112
	s_waitcnt vmcnt(1) lgkmcnt(3)
	ds_write_b64 v14, v[8:9] offset:4224
	;; [unrolled: 2-line block ×3, first 2 shown]
.LBB185_11:
	v_lshlrev_b32_e32 v8, 3, v1
	s_andn2_b32 vcc_lo, exec_lo, s7
	s_cbranch_vccnz .LBB185_29
; %bb.12:
	v_sub_co_u32 v5, vcc_lo, v3, v8
	s_ashr_i32 s21, s20, 31
	v_subrev_co_ci_u32_e64 v6, null, 0, v4, vcc_lo
	s_lshl_b64 s[4:5], s[20:21], 3
	v_cmp_le_i32_e64 s2, s20, v7
	v_add_co_u32 v5, vcc_lo, v5, s4
	v_add_co_ci_u32_e64 v6, null, s5, v6, vcc_lo
	v_mul_u32_u24_e32 v9, 0x108, v7
	v_add_co_u32 v5, vcc_lo, v5, -8
	v_add_co_ci_u32_e64 v6, null, -1, v6, vcc_lo
	v_cmp_gt_i32_e32 vcc_lo, s20, v1
	v_cndmask_b32_e32 v6, v6, v4, vcc_lo
	v_cndmask_b32_e32 v5, v5, v3, vcc_lo
	s_and_saveexec_b32 s3, s2
	s_xor_b32 s2, exec_lo, s3
	s_cbranch_execz .LBB185_14
; %bb.13:
	v_mov_b32_e32 v10, 0
	v_add_nc_u32_e32 v12, v8, v9
	v_mov_b32_e32 v11, v10
	ds_write_b64 v12, v[10:11]
.LBB185_14:
	s_andn2_saveexec_b32 s2, s2
	s_cbranch_execz .LBB185_16
; %bb.15:
	flat_load_dwordx2 v[10:11], v[5:6]
	v_add_nc_u32_e32 v12, v8, v9
	s_waitcnt vmcnt(0) lgkmcnt(0)
	ds_write_b64 v12, v[10:11]
.LBB185_16:
	s_or_b32 exec_lo, exec_lo, s2
	v_add_nc_u32_e32 v10, 8, v7
	v_cmp_le_i32_e64 s2, s20, v10
	s_and_saveexec_b32 s3, s2
	s_xor_b32 s2, exec_lo, s3
	s_cbranch_execz .LBB185_18
; %bb.17:
	v_mov_b32_e32 v10, 0
	v_add_nc_u32_e32 v12, v9, v8
	v_mov_b32_e32 v11, v10
	ds_write_b64 v12, v[10:11] offset:2112
.LBB185_18:
	s_andn2_saveexec_b32 s3, s2
	s_cbranch_execz .LBB185_20
; %bb.19:
	s_lshl_b32 s22, s10, 3
	v_add_nc_u32_e32 v12, v9, v8
	s_ashr_i32 s23, s22, 31
	s_lshl_b64 s[22:23], s[22:23], 3
	v_add_co_u32 v10, s2, v5, s22
	v_add_co_ci_u32_e64 v11, null, s23, v6, s2
	flat_load_dwordx2 v[10:11], v[10:11]
	s_waitcnt vmcnt(0) lgkmcnt(0)
	ds_write_b64 v12, v[10:11] offset:2112
.LBB185_20:
	s_or_b32 exec_lo, exec_lo, s3
	v_add_nc_u32_e32 v10, 16, v7
	v_cmp_le_i32_e64 s2, s20, v10
	s_and_saveexec_b32 s3, s2
	s_xor_b32 s2, exec_lo, s3
	s_cbranch_execz .LBB185_22
; %bb.21:
	v_mov_b32_e32 v10, 0
	v_add_nc_u32_e32 v12, v9, v8
	v_mov_b32_e32 v11, v10
	ds_write_b64 v12, v[10:11] offset:4224
.LBB185_22:
	s_andn2_saveexec_b32 s3, s2
	s_cbranch_execz .LBB185_24
; %bb.23:
	s_lshl_b32 s22, s10, 4
	v_add_nc_u32_e32 v12, v9, v8
	s_ashr_i32 s23, s22, 31
	s_lshl_b64 s[22:23], s[22:23], 3
	v_add_co_u32 v10, s2, v5, s22
	v_add_co_ci_u32_e64 v11, null, s23, v6, s2
	flat_load_dwordx2 v[10:11], v[10:11]
	s_waitcnt vmcnt(0) lgkmcnt(0)
	ds_write_b64 v12, v[10:11] offset:4224
.LBB185_24:
	s_or_b32 exec_lo, exec_lo, s3
	v_add_nc_u32_e32 v10, 24, v7
	v_cmp_le_i32_e64 s2, s20, v10
	s_and_saveexec_b32 s3, s2
	s_xor_b32 s2, exec_lo, s3
	s_cbranch_execz .LBB185_26
; %bb.25:
	v_mov_b32_e32 v10, 0
	v_add_nc_u32_e32 v9, v9, v8
	v_mov_b32_e32 v11, v10
	ds_write_b64 v9, v[10:11] offset:6336
                                        ; implicit-def: $vgpr9
.LBB185_26:
	s_andn2_saveexec_b32 s3, s2
	s_cbranch_execz .LBB185_28
; %bb.27:
	s_mul_i32 s22, s10, 24
	v_add_nc_u32_e32 v9, v9, v8
	s_ashr_i32 s23, s22, 31
	s_lshl_b64 s[22:23], s[22:23], 3
	v_add_co_u32 v10, s2, v5, s22
	v_add_co_ci_u32_e64 v11, null, s23, v6, s2
	flat_load_dwordx2 v[10:11], v[10:11]
	s_waitcnt vmcnt(0) lgkmcnt(0)
	ds_write_b64 v9, v[10:11] offset:6336
.LBB185_28:
	s_or_b32 exec_lo, exec_lo, s3
	v_add_co_u32 v5, s2, v5, v8
	v_add_co_ci_u32_e64 v6, null, 0, v6, s2
	v_sub_co_u32 v5, s2, v5, s4
	v_subrev_co_ci_u32_e64 v6, null, s5, v6, s2
	v_add_co_u32 v5, s2, v5, 8
	v_add_co_ci_u32_e64 v6, null, 0, v6, s2
	v_cndmask_b32_e32 v3, v5, v3, vcc_lo
	v_cndmask_b32_e32 v4, v6, v4, vcc_lo
.LBB185_29:
	v_lshlrev_b32_e32 v5, 2, v7
	v_lshl_or_b32 v6, v1, 8, v8
	v_mad_u32_u24 v10, 0x420, v7, v8
	s_waitcnt lgkmcnt(0)
	s_barrier
	v_cmp_lt_u32_e64 s3, v5, v1
	buffer_gl0_inv
	s_and_saveexec_b32 s2, s3
	s_cbranch_execz .LBB185_31
; %bb.30:
	ds_read_b64 v[11:12], v10
	v_lshl_add_u32 v9, v5, 3, v6
	s_waitcnt lgkmcnt(0)
	ds_write_b64 v9, v[11:12]
.LBB185_31:
	s_or_b32 exec_lo, exec_lo, s2
	v_or_b32_e32 v9, 1, v5
	v_cmp_lt_u32_e64 s4, v9, v1
	v_mad_u32_u24 v11, 0x108, v9, v8
	s_and_saveexec_b32 s2, s4
	s_cbranch_execz .LBB185_33
; %bb.32:
	ds_read_b64 v[12:13], v11
	v_lshl_add_u32 v14, v5, 3, v6
	s_waitcnt lgkmcnt(0)
	ds_write_b64 v14, v[12:13] offset:8
.LBB185_33:
	s_or_b32 exec_lo, exec_lo, s2
	v_or_b32_e32 v12, 2, v5
	v_cmp_lt_u32_e64 s5, v12, v1
	s_and_saveexec_b32 s2, s5
	s_cbranch_execz .LBB185_35
; %bb.34:
	v_mad_u32_u24 v12, 0x108, v12, v8
	v_lshl_add_u32 v14, v5, 3, v6
	ds_read_b64 v[12:13], v12
	s_waitcnt lgkmcnt(0)
	ds_write_b64 v14, v[12:13] offset:16
.LBB185_35:
	s_or_b32 exec_lo, exec_lo, s2
	v_or_b32_e32 v13, 3, v5
	s_mov_b32 s2, exec_lo
                                        ; implicit-def: $vgpr12
	v_cmp_lt_u32_e64 s7, v13, v1
	v_cmpx_ge_u32_e64 v13, v1
	s_xor_b32 s2, exec_lo, s2
; %bb.36:
	v_mul_u32_u24_e32 v12, 0x108, v13
                                        ; implicit-def: $vgpr6
                                        ; implicit-def: $vgpr13
; %bb.37:
	s_andn2_saveexec_b32 s2, s2
	s_cbranch_execz .LBB185_39
; %bb.38:
	v_mad_u32_u24 v12, 0x108, v13, v8
	v_lshl_add_u32 v6, v5, 3, v6
	ds_read_b64 v[14:15], v12
	v_mul_u32_u24_e32 v12, 0x108, v13
	s_waitcnt lgkmcnt(0)
	ds_write_b64 v6, v[14:15] offset:24
.LBB185_39:
	s_or_b32 exec_lo, exec_lo, s2
	v_lshlrev_b32_e32 v6, 3, v5
	s_waitcnt lgkmcnt(0)
	s_barrier
	buffer_gl0_inv
	ds_read_b64 v[17:18], v10
	ds_read_b128 v[13:16], v6 offset:9088
	ds_read2_b64 v[26:29], v11 offset1:33
	v_add_nc_u32_e32 v10, v8, v12
	v_mul_u32_u24_e32 v23, 33, v1
	v_cmp_gt_u32_e64 s2, 32, v25
	ds_read_b128 v[30:33], v6 offset:9104
	ds_read_b64 v[11:12], v10
	v_mov_b32_e32 v37, 0
	s_waitcnt lgkmcnt(0)
	s_barrier
	buffer_gl0_inv
	v_mul_f32_e32 v24, v14, v18
	v_mul_f32_e32 v18, v13, v18
	;; [unrolled: 1-line block ×5, first 2 shown]
	v_fma_f32 v13, v13, v17, -v24
	v_fmac_f32_e32 v18, v14, v17
	v_mul_f32_e32 v29, v30, v29
	v_fma_f32 v15, v15, v26, -v34
	v_fmac_f32_e32 v27, v16, v26
	v_add_f32_e32 v13, 0, v13
	v_add_f32_e32 v16, 0, v18
	v_mul_f32_e32 v14, v33, v12
	v_mul_f32_e32 v12, v32, v12
	v_fma_f32 v17, v30, v28, -v36
	v_fmac_f32_e32 v29, v31, v28
	v_add_f32_e32 v13, v13, v15
	v_add_f32_e32 v15, v16, v27
	v_lshlrev_b32_e32 v26, 3, v23
	v_fma_f32 v14, v32, v11, -v14
	v_fmac_f32_e32 v12, v33, v11
	v_add_f32_e32 v11, v13, v17
	v_add_f32_e32 v13, v15, v29
	v_mov_b32_e32 v36, 0
	v_lshl_add_u32 v27, v7, 3, v26
	v_add_f32_e32 v11, v11, v14
	v_add_f32_e32 v12, v13, v12
	ds_write_b64 v27, v[11:12]
	s_waitcnt lgkmcnt(0)
	s_barrier
	buffer_gl0_inv
	s_and_saveexec_b32 s9, s2
	s_cbranch_execz .LBB185_41
; %bb.40:
	ds_read2_b64 v[11:14], v26 offset1:7
	ds_read2_b64 v[15:18], v26 offset0:1 offset1:2
	ds_read2_b64 v[28:31], v26 offset0:3 offset1:4
	;; [unrolled: 1-line block ×3, first 2 shown]
	s_waitcnt lgkmcnt(2)
	v_add_f32_e32 v11, v15, v11
	v_add_f32_e32 v12, v16, v12
	v_add_f32_e32 v11, v17, v11
	v_add_f32_e32 v12, v18, v12
	s_waitcnt lgkmcnt(1)
	v_add_f32_e32 v11, v11, v28
	v_add_f32_e32 v12, v12, v29
	v_add_f32_e32 v11, v11, v30
	v_add_f32_e32 v12, v12, v31
	s_waitcnt lgkmcnt(0)
	v_add_f32_e32 v11, v11, v36
	v_add_f32_e32 v12, v12, v37
	v_add_f32_e32 v11, v11, v38
	v_add_f32_e32 v12, v12, v39
	v_add_f32_e32 v36, v11, v13
	v_add_f32_e32 v37, v12, v14
.LBB185_41:
	s_or_b32 exec_lo, exec_lo, s9
	s_lshl_b32 s22, s10, 5
	v_cndmask_b32_e64 v11, 0, 1, s8
	s_ashr_i32 s23, s22, 31
	s_lshl_b64 s[22:23], s[22:23], 3
	s_barrier
	v_add_co_u32 v3, vcc_lo, v3, s22
	v_add_co_ci_u32_e64 v4, null, s23, v4, vcc_lo
	buffer_gl0_inv
	v_add_co_u32 v12, vcc_lo, 0x100, v3
	v_add_co_ci_u32_e64 v13, null, 0, v4, vcc_lo
	s_andn2_b32 vcc_lo, exec_lo, s8
	s_mov_b32 s8, -1
	s_cbranch_vccnz .LBB185_43
; %bb.42:
	s_lshl_b32 s8, s10, 3
	s_ashr_i32 s11, s10, 31
	s_ashr_i32 s9, s8, 31
	v_mad_u32_u24 v18, 0x108, v7, v8
	s_lshl_b64 s[8:9], s[8:9], 3
	v_add_co_u32 v14, vcc_lo, v3, s8
	v_add_co_ci_u32_e64 v15, null, s9, v4, vcc_lo
	s_lshl_b64 s[8:9], s[10:11], 6
	v_add_co_u32 v16, vcc_lo, v14, s8
	v_add_co_ci_u32_e64 v17, null, s9, v15, vcc_lo
	v_add_co_u32 v23, vcc_lo, v16, s8
	v_add_co_ci_u32_e64 v24, null, s9, v17, vcc_lo
	s_clause 0x3
	flat_load_dwordx2 v[28:29], v[3:4] offset:256
	flat_load_dwordx2 v[14:15], v[14:15] offset:256
	;; [unrolled: 1-line block ×4, first 2 shown]
	s_mov_b32 s8, 0
	s_waitcnt vmcnt(3) lgkmcnt(3)
	ds_write_b64 v18, v[28:29]
	s_waitcnt vmcnt(2) lgkmcnt(3)
	ds_write_b64 v18, v[14:15] offset:2112
	s_waitcnt vmcnt(1) lgkmcnt(3)
	ds_write_b64 v18, v[16:17] offset:4224
	;; [unrolled: 2-line block ×3, first 2 shown]
.LBB185_43:
	s_andn2_b32 vcc_lo, exec_lo, s8
	s_cbranch_vccnz .LBB185_61
; %bb.44:
	v_sub_co_u32 v3, vcc_lo, v3, v8
	s_ashr_i32 s21, s20, 31
	v_subrev_co_ci_u32_e64 v4, null, 0, v4, vcc_lo
	s_lshl_b64 s[24:25], s[20:21], 3
	v_or_b32_e32 v14, 32, v1
	v_add_co_u32 v3, vcc_lo, v3, s24
	v_add_co_ci_u32_e64 v4, null, s25, v4, vcc_lo
	s_sub_i32 s9, s20, 32
	v_add_co_u32 v3, vcc_lo, v3, -8
	v_add_co_ci_u32_e64 v4, null, -1, v4, vcc_lo
	v_cmp_gt_i32_e32 vcc_lo, s20, v14
	v_cmp_le_i32_e64 s8, s9, v7
	v_mul_u32_u24_e32 v14, 0x108, v7
	v_cndmask_b32_e32 v4, v4, v13, vcc_lo
	v_cndmask_b32_e32 v3, v3, v12, vcc_lo
	s_and_saveexec_b32 s11, s8
	s_xor_b32 s8, exec_lo, s11
	s_cbranch_execz .LBB185_46
; %bb.45:
	v_mov_b32_e32 v15, 0
	v_add_nc_u32_e32 v17, v8, v14
	v_mov_b32_e32 v16, v15
	ds_write_b64 v17, v[15:16]
.LBB185_46:
	s_andn2_saveexec_b32 s8, s8
	s_cbranch_execz .LBB185_48
; %bb.47:
	flat_load_dwordx2 v[15:16], v[3:4]
	v_add_nc_u32_e32 v17, v8, v14
	s_waitcnt vmcnt(0) lgkmcnt(0)
	ds_write_b64 v17, v[15:16]
.LBB185_48:
	s_or_b32 exec_lo, exec_lo, s8
	v_add_nc_u32_e32 v15, 8, v7
	v_cmp_le_i32_e64 s8, s9, v15
	s_and_saveexec_b32 s11, s8
	s_xor_b32 s8, exec_lo, s11
	s_cbranch_execz .LBB185_50
; %bb.49:
	v_mov_b32_e32 v15, 0
	v_add_nc_u32_e32 v17, v14, v8
	v_mov_b32_e32 v16, v15
	ds_write_b64 v17, v[15:16] offset:2112
.LBB185_50:
	s_andn2_saveexec_b32 s11, s8
	s_cbranch_execz .LBB185_52
; %bb.51:
	s_lshl_b32 s30, s10, 3
	v_add_nc_u32_e32 v17, v14, v8
	s_ashr_i32 s31, s30, 31
	s_lshl_b64 s[30:31], s[30:31], 3
	v_add_co_u32 v15, s8, v3, s30
	v_add_co_ci_u32_e64 v16, null, s31, v4, s8
	flat_load_dwordx2 v[15:16], v[15:16]
	s_waitcnt vmcnt(0) lgkmcnt(0)
	ds_write_b64 v17, v[15:16] offset:2112
.LBB185_52:
	s_or_b32 exec_lo, exec_lo, s11
	v_add_nc_u32_e32 v15, 16, v7
	v_cmp_le_i32_e64 s8, s9, v15
	s_and_saveexec_b32 s11, s8
	s_xor_b32 s8, exec_lo, s11
	s_cbranch_execz .LBB185_54
; %bb.53:
	v_mov_b32_e32 v15, 0
	v_add_nc_u32_e32 v17, v14, v8
	v_mov_b32_e32 v16, v15
	ds_write_b64 v17, v[15:16] offset:4224
.LBB185_54:
	s_andn2_saveexec_b32 s11, s8
	s_cbranch_execz .LBB185_56
; %bb.55:
	s_lshl_b32 s30, s10, 4
	v_add_nc_u32_e32 v17, v14, v8
	s_ashr_i32 s31, s30, 31
	s_lshl_b64 s[30:31], s[30:31], 3
	v_add_co_u32 v15, s8, v3, s30
	v_add_co_ci_u32_e64 v16, null, s31, v4, s8
	flat_load_dwordx2 v[15:16], v[15:16]
	s_waitcnt vmcnt(0) lgkmcnt(0)
	ds_write_b64 v17, v[15:16] offset:4224
.LBB185_56:
	s_or_b32 exec_lo, exec_lo, s11
	v_add_nc_u32_e32 v15, 24, v7
	v_cmp_le_i32_e64 s8, s9, v15
	s_and_saveexec_b32 s9, s8
	s_xor_b32 s8, exec_lo, s9
	s_cbranch_execz .LBB185_58
; %bb.57:
	v_mov_b32_e32 v15, 0
	v_add_nc_u32_e32 v14, v14, v8
	v_mov_b32_e32 v16, v15
	ds_write_b64 v14, v[15:16] offset:6336
                                        ; implicit-def: $vgpr14
.LBB185_58:
	s_andn2_saveexec_b32 s9, s8
	s_cbranch_execz .LBB185_60
; %bb.59:
	s_mul_i32 s30, s10, 24
	v_add_nc_u32_e32 v14, v14, v8
	s_ashr_i32 s31, s30, 31
	s_lshl_b64 s[30:31], s[30:31], 3
	v_add_co_u32 v15, s8, v3, s30
	v_add_co_ci_u32_e64 v16, null, s31, v4, s8
	flat_load_dwordx2 v[15:16], v[15:16]
	s_waitcnt vmcnt(0) lgkmcnt(0)
	ds_write_b64 v14, v[15:16] offset:6336
.LBB185_60:
	s_or_b32 exec_lo, exec_lo, s9
	v_add_co_u32 v3, s8, v3, v8
	v_add_co_ci_u32_e64 v4, null, 0, v4, s8
	v_sub_co_u32 v3, s8, v3, s24
	v_subrev_co_ci_u32_e64 v4, null, s25, v4, s8
	v_add_co_u32 v3, s8, 0x108, v3
	v_add_co_ci_u32_e64 v4, null, 0, v4, s8
	v_cndmask_b32_e32 v12, v3, v12, vcc_lo
	v_cndmask_b32_e32 v13, v4, v13, vcc_lo
.LBB185_61:
	v_mul_u32_u24_e32 v3, 0x420, v7
	v_add_nc_u32_e32 v6, 0x2380, v6
	v_mul_u32_u24_e32 v4, 0x108, v9
	s_waitcnt lgkmcnt(0)
	s_barrier
	v_add_nc_u32_e32 v3, v8, v3
	buffer_gl0_inv
	s_and_saveexec_b32 s8, s3
	s_cbranch_execnz .LBB185_70
; %bb.62:
	s_or_b32 exec_lo, exec_lo, s8
	v_add_nc_u32_e32 v4, v8, v4
	s_and_saveexec_b32 s3, s4
	s_cbranch_execnz .LBB185_71
.LBB185_63:
	s_or_b32 exec_lo, exec_lo, s3
	s_and_saveexec_b32 s3, s5
	s_cbranch_execnz .LBB185_72
.LBB185_64:
	s_or_b32 exec_lo, exec_lo, s3
	s_and_saveexec_b32 s3, s7
	s_cbranch_execz .LBB185_66
.LBB185_65:
	ds_read_b64 v[14:15], v10
	v_lshl_add_u32 v9, v5, 3, v26
	s_waitcnt lgkmcnt(0)
	ds_write_b64 v9, v[14:15] offset:24
.LBB185_66:
	s_or_b32 exec_lo, exec_lo, s3
	s_waitcnt lgkmcnt(0)
	s_barrier
	buffer_gl0_inv
	ds_read_b64 v[23:24], v3
	ds_read_b128 v[14:17], v6 offset:256
	ds_read2_b64 v[28:31], v4 offset1:33
	ds_read_b128 v[38:41], v6 offset:272
	ds_read_b64 v[3:4], v10
	v_cmp_eq_u32_e64 s3, 1, v7
	s_waitcnt lgkmcnt(0)
	s_barrier
	buffer_gl0_inv
	v_mul_f32_e32 v9, v15, v24
	v_mul_f32_e32 v10, v14, v24
	;; [unrolled: 1-line block ×5, first 2 shown]
	v_fma_f32 v9, v14, v23, -v9
	v_fmac_f32_e32 v10, v15, v23
	v_mul_f32_e32 v31, v38, v31
	v_fma_f32 v15, v16, v28, -v18
	v_fmac_f32_e32 v24, v17, v28
	v_add_f32_e32 v9, 0, v9
	v_add_f32_e32 v10, 0, v10
	v_mul_f32_e32 v14, v41, v4
	v_mul_f32_e32 v4, v40, v4
	v_fma_f32 v16, v38, v30, -v29
	v_fmac_f32_e32 v31, v39, v30
	v_add_f32_e32 v9, v9, v15
	v_add_f32_e32 v10, v10, v24
	v_fma_f32 v14, v40, v3, -v14
	v_fmac_f32_e32 v4, v41, v3
	v_add_f32_e32 v3, v9, v16
	v_add_f32_e32 v9, v10, v31
	;; [unrolled: 1-line block ×4, first 2 shown]
	ds_write_b64 v27, v[3:4]
	s_waitcnt lgkmcnt(0)
	s_barrier
	buffer_gl0_inv
	s_and_saveexec_b32 s4, s3
	s_cbranch_execz .LBB185_68
; %bb.67:
	ds_read2_b64 v[14:17], v26 offset1:7
	ds_read2_b64 v[28:31], v26 offset0:1 offset1:2
	ds_read2_b64 v[36:39], v26 offset0:3 offset1:4
	;; [unrolled: 1-line block ×3, first 2 shown]
	s_waitcnt lgkmcnt(2)
	v_add_f32_e32 v3, v28, v14
	v_add_f32_e32 v4, v29, v15
	v_add_f32_e32 v3, v30, v3
	v_add_f32_e32 v4, v31, v4
	s_waitcnt lgkmcnt(1)
	v_add_f32_e32 v3, v3, v36
	v_add_f32_e32 v4, v4, v37
	v_add_f32_e32 v3, v3, v38
	v_add_f32_e32 v4, v4, v39
	;; [unrolled: 5-line block ×3, first 2 shown]
	v_add_f32_e32 v36, v3, v16
	v_add_f32_e32 v37, v4, v17
.LBB185_68:
	s_or_b32 exec_lo, exec_lo, s4
	v_cmp_ne_u32_e32 vcc_lo, 1, v11
	v_sub_co_u32 v23, s4, v12, s22
	v_subrev_co_ci_u32_e64 v24, null, s23, v13, s4
	s_barrier
	buffer_gl0_inv
	s_cbranch_vccnz .LBB185_73
; %bb.69:
	s_lshl_b32 s4, s10, 3
	s_ashr_i32 s11, s10, 31
	s_ashr_i32 s5, s4, 31
	flat_load_dwordx2 v[10:11], v[23:24]
	s_lshl_b64 s[4:5], s[4:5], 3
	v_mul_u32_u24_e32 v9, 0x108, v7
	v_add_co_u32 v3, vcc_lo, v23, s4
	v_add_co_ci_u32_e64 v4, null, s5, v24, vcc_lo
	s_lshl_b64 s[4:5], s[10:11], 6
	v_add_co_u32 v12, vcc_lo, v3, s4
	v_add_co_ci_u32_e64 v13, null, s5, v4, vcc_lo
	v_add_co_u32 v14, vcc_lo, v12, s4
	v_add_co_ci_u32_e64 v15, null, s5, v13, vcc_lo
	s_clause 0x2
	flat_load_dwordx2 v[16:17], v[3:4]
	flat_load_dwordx2 v[28:29], v[12:13]
	;; [unrolled: 1-line block ×3, first 2 shown]
	s_movk_i32 s4, 0x840
	s_movk_i32 s5, 0x1080
	v_mad_u32_u24 v4, 0x108, v7, s4
	s_movk_i32 s4, 0x18c0
	v_mad_u32_u24 v12, 0x108, v7, v8
	v_mad_u32_u24 v13, 0x108, v7, s4
	;; [unrolled: 1-line block ×3, first 2 shown]
	v_add_nc_u32_e32 v18, v8, v4
	v_add_nc_u32_e32 v31, v8, v13
	;; [unrolled: 1-line block ×3, first 2 shown]
	s_waitcnt vmcnt(3) lgkmcnt(3)
	ds_write_b64 v12, v[10:11]
	v_add_nc_u32_e32 v10, 8, v7
	v_add_nc_u32_e32 v11, 16, v7
	;; [unrolled: 1-line block ×3, first 2 shown]
	s_waitcnt vmcnt(2) lgkmcnt(3)
	ds_write_b64 v18, v[16:17]
	s_waitcnt vmcnt(1) lgkmcnt(3)
	ds_write_b64 v30, v[28:29]
	;; [unrolled: 2-line block ×3, first 2 shown]
	s_cbranch_execz .LBB185_74
	s_branch .LBB185_91
.LBB185_70:
	ds_read_b64 v[14:15], v3
	v_lshl_add_u32 v9, v5, 3, v26
	s_waitcnt lgkmcnt(0)
	ds_write_b64 v9, v[14:15]
	s_or_b32 exec_lo, exec_lo, s8
	v_add_nc_u32_e32 v4, v8, v4
	s_and_saveexec_b32 s3, s4
	s_cbranch_execz .LBB185_63
.LBB185_71:
	ds_read_b64 v[14:15], v4
	v_lshl_add_u32 v9, v5, 3, v26
	s_waitcnt lgkmcnt(0)
	ds_write_b64 v9, v[14:15] offset:8
	s_or_b32 exec_lo, exec_lo, s3
	s_and_saveexec_b32 s3, s5
	s_cbranch_execz .LBB185_64
.LBB185_72:
	ds_read_b64 v[14:15], v4 offset:264
	v_lshl_add_u32 v9, v5, 3, v26
	s_waitcnt lgkmcnt(0)
	ds_write_b64 v9, v[14:15] offset:16
	s_or_b32 exec_lo, exec_lo, s3
	s_and_saveexec_b32 s3, s7
	s_cbranch_execnz .LBB185_65
	s_branch .LBB185_66
.LBB185_73:
                                        ; implicit-def: $vgpr9
                                        ; implicit-def: $vgpr10
                                        ; implicit-def: $vgpr4
                                        ; implicit-def: $vgpr11
                                        ; implicit-def: $vgpr3
                                        ; implicit-def: $vgpr12
                                        ; implicit-def: $vgpr13
.LBB185_74:
	v_or_b32_e32 v1, 32, v1
	s_ashr_i32 s21, s20, 31
	v_cmp_le_i32_e64 s4, s20, v7
	s_lshl_b64 s[8:9], s[20:21], 3
	v_mul_u32_u24_e32 v9, 0x108, v7
	v_lshlrev_b32_e32 v3, 3, v1
	v_sub_co_u32 v3, vcc_lo, v23, v3
	v_subrev_co_ci_u32_e64 v4, null, 0, v24, vcc_lo
	v_add_co_u32 v3, vcc_lo, v3, s8
	v_add_co_ci_u32_e64 v4, null, s9, v4, vcc_lo
	v_add_co_u32 v3, vcc_lo, v3, -8
	v_add_co_ci_u32_e64 v4, null, -1, v4, vcc_lo
	v_cmp_gt_i32_e32 vcc_lo, s20, v1
	v_cndmask_b32_e32 v4, v4, v24, vcc_lo
	v_cndmask_b32_e32 v3, v3, v23, vcc_lo
	s_and_saveexec_b32 s5, s4
	s_xor_b32 s4, exec_lo, s5
	s_cbranch_execz .LBB185_76
; %bb.75:
	v_mov_b32_e32 v10, 0
	v_add_nc_u32_e32 v1, v8, v9
	v_mov_b32_e32 v11, v10
	ds_write_b64 v1, v[10:11]
.LBB185_76:
	s_andn2_saveexec_b32 s4, s4
	s_cbranch_execz .LBB185_78
; %bb.77:
	flat_load_dwordx2 v[10:11], v[3:4]
	v_add_nc_u32_e32 v1, v8, v9
	s_waitcnt vmcnt(0) lgkmcnt(0)
	ds_write_b64 v1, v[10:11]
.LBB185_78:
	s_or_b32 exec_lo, exec_lo, s4
	v_add_nc_u32_e32 v10, 8, v7
	v_cmp_le_i32_e64 s4, s20, v10
	s_and_saveexec_b32 s5, s4
	s_xor_b32 s4, exec_lo, s5
	s_cbranch_execz .LBB185_80
; %bb.79:
	v_mov_b32_e32 v11, 0
	v_add_nc_u32_e32 v1, v9, v8
	v_mov_b32_e32 v12, v11
	ds_write_b64 v1, v[11:12] offset:2112
.LBB185_80:
	s_andn2_saveexec_b32 s5, s4
	s_cbranch_execz .LBB185_82
; %bb.81:
	s_lshl_b32 s22, s10, 3
	v_add_nc_u32_e32 v1, v9, v8
	s_ashr_i32 s23, s22, 31
	s_lshl_b64 s[22:23], s[22:23], 3
	v_add_co_u32 v11, s4, v3, s22
	v_add_co_ci_u32_e64 v12, null, s23, v4, s4
	flat_load_dwordx2 v[11:12], v[11:12]
	s_waitcnt vmcnt(0) lgkmcnt(0)
	ds_write_b64 v1, v[11:12] offset:2112
.LBB185_82:
	s_or_b32 exec_lo, exec_lo, s5
	v_add_nc_u32_e32 v11, 16, v7
	v_cmp_le_i32_e64 s4, s20, v11
	s_and_saveexec_b32 s5, s4
	s_xor_b32 s4, exec_lo, s5
	s_cbranch_execz .LBB185_84
; %bb.83:
	v_mov_b32_e32 v12, 0
	v_add_nc_u32_e32 v1, v9, v8
	v_mov_b32_e32 v13, v12
	ds_write_b64 v1, v[12:13] offset:4224
.LBB185_84:
	s_andn2_saveexec_b32 s5, s4
	s_cbranch_execz .LBB185_86
; %bb.85:
	s_lshl_b32 s22, s10, 4
	v_add_nc_u32_e32 v1, v9, v8
	s_ashr_i32 s23, s22, 31
	s_lshl_b64 s[22:23], s[22:23], 3
	v_add_co_u32 v12, s4, v3, s22
	v_add_co_ci_u32_e64 v13, null, s23, v4, s4
	flat_load_dwordx2 v[12:13], v[12:13]
	s_waitcnt vmcnt(0) lgkmcnt(0)
	ds_write_b64 v1, v[12:13] offset:4224
.LBB185_86:
	s_or_b32 exec_lo, exec_lo, s5
	v_add_nc_u32_e32 v12, 24, v7
                                        ; implicit-def: $vgpr13
	v_cmp_le_i32_e64 s4, s20, v12
	s_and_saveexec_b32 s5, s4
	s_xor_b32 s4, exec_lo, s5
	s_cbranch_execz .LBB185_88
; %bb.87:
	v_add_nc_u32_e32 v13, 0x18c0, v9
	v_mov_b32_e32 v14, 0
	v_add_nc_u32_e32 v1, v8, v13
	v_mov_b32_e32 v15, v14
	ds_write_b64 v1, v[14:15]
.LBB185_88:
	s_andn2_saveexec_b32 s5, s4
	s_cbranch_execz .LBB185_90
; %bb.89:
	s_mul_i32 s22, s10, 24
	s_ashr_i32 s23, s22, 31
	s_lshl_b64 s[22:23], s[22:23], 3
	v_add_co_u32 v13, s4, v3, s22
	v_add_co_ci_u32_e64 v14, null, s23, v4, s4
	flat_load_dwordx2 v[14:15], v[13:14]
	v_add_nc_u32_e32 v13, 0x18c0, v9
	v_add_nc_u32_e32 v1, v8, v13
	s_waitcnt vmcnt(0) lgkmcnt(0)
	ds_write_b64 v1, v[14:15]
.LBB185_90:
	s_or_b32 exec_lo, exec_lo, s5
	v_add_co_u32 v1, s4, v3, v8
	v_add_co_ci_u32_e64 v3, null, 0, v4, s4
	v_add_nc_u32_e32 v4, 0x840, v9
	v_sub_co_u32 v1, s4, v1, s8
	v_subrev_co_ci_u32_e64 v3, null, s9, v3, s4
	v_add_co_u32 v1, s4, 0x108, v1
	v_add_co_ci_u32_e64 v3, null, 0, v3, s4
	v_cndmask_b32_e32 v23, v1, v23, vcc_lo
	v_cndmask_b32_e32 v24, v3, v24, vcc_lo
	v_add_nc_u32_e32 v3, 0x1080, v9
.LBB185_91:
	v_add_nc_u32_e32 v1, v8, v9
	v_lshlrev_b32_e32 v7, 3, v7
	v_add_nc_u32_e32 v4, v8, v4
	v_lshlrev_b32_e32 v9, 3, v10
	v_add_nc_u32_e32 v3, v8, v3
	s_waitcnt lgkmcnt(0)
	s_barrier
	buffer_gl0_inv
	v_lshlrev_b32_e32 v10, 3, v11
	v_add_nc_u32_e32 v8, v8, v13
	v_lshlrev_b32_e32 v11, 3, v12
	ds_read_b64 v[28:29], v1
	ds_read_b64 v[30:31], v7 offset:9088
	ds_read_b64 v[32:33], v4
	ds_read_b64 v[38:39], v9 offset:9088
	;; [unrolled: 2-line block ×3, first 2 shown]
	ds_read2_b32 v[44:45], v8 offset1:1
	ds_read_b64 v[46:47], v11 offset:9088
	v_lshl_add_u32 v1, v5, 3, v26
	ds_read_b128 v[11:14], v6 offset:256
	ds_read_b128 v[3:6], v6 offset:272
	ds_read2_b64 v[15:18], v1 offset1:1
	ds_read2_b64 v[7:10], v1 offset0:2 offset1:3
	s_waitcnt lgkmcnt(0)
	s_barrier
	buffer_gl0_inv
	v_mul_f32_e32 v1, v31, v29
	v_mul_f32_e32 v29, v30, v29
	;; [unrolled: 1-line block ×5, first 2 shown]
	v_fma_f32 v1, v30, v28, -v1
	v_fmac_f32_e32 v29, v31, v28
	v_mul_f32_e32 v28, v42, v41
	v_fma_f32 v30, v38, v32, -v34
	v_fmac_f32_e32 v33, v39, v32
	v_add_f32_e32 v1, 0, v1
	v_add_f32_e32 v29, 0, v29
	v_mul_f32_e32 v49, v47, v45
	v_mul_f32_e32 v31, v46, v45
	v_fma_f32 v32, v42, v40, -v48
	v_fmac_f32_e32 v28, v43, v40
	v_add_f32_e32 v1, v1, v30
	v_add_f32_e32 v29, v29, v33
	v_fma_f32 v30, v46, v44, -v49
	v_fmac_f32_e32 v31, v47, v44
	v_add_f32_e32 v1, v1, v32
	v_add_f32_e32 v29, v29, v28
	;; [unrolled: 1-line block ×4, first 2 shown]
	ds_write_b64 v27, v[28:29]
	s_waitcnt lgkmcnt(0)
	s_barrier
	buffer_gl0_inv
	s_and_saveexec_b32 s4, s3
	s_cbranch_execz .LBB185_93
; %bb.92:
	ds_read2_b64 v[28:31], v26 offset1:1
	ds_read2_b64 v[38:41], v26 offset0:2 offset1:3
	ds_read2_b64 v[42:45], v26 offset0:4 offset1:5
	s_waitcnt lgkmcnt(2)
	v_add_f32_e32 v1, v36, v28
	v_add_f32_e32 v28, v37, v29
	;; [unrolled: 1-line block ×4, first 2 shown]
	ds_read2_b64 v[28:31], v26 offset0:6 offset1:7
	s_waitcnt lgkmcnt(2)
	v_add_f32_e32 v1, v1, v38
	v_add_f32_e32 v32, v32, v39
	v_add_f32_e32 v1, v1, v40
	v_add_f32_e32 v32, v32, v41
	s_waitcnt lgkmcnt(1)
	v_add_f32_e32 v1, v1, v42
	v_add_f32_e32 v32, v32, v43
	v_add_f32_e32 v1, v1, v44
	v_add_f32_e32 v32, v32, v45
	;; [unrolled: 5-line block ×3, first 2 shown]
.LBB185_93:
	s_or_b32 exec_lo, exec_lo, s4
	v_mul_f32_e32 v1, v12, v16
	v_mul_f32_e32 v16, v11, v16
	;; [unrolled: 1-line block ×5, first 2 shown]
	v_fma_f32 v1, v11, v15, -v1
	v_fmac_f32_e32 v16, v12, v15
	v_mul_f32_e32 v8, v3, v8
	v_fma_f32 v12, v13, v17, -v28
	v_fmac_f32_e32 v18, v14, v17
	v_add_f32_e32 v1, 0, v1
	v_add_f32_e32 v13, 0, v16
	v_mul_f32_e32 v11, v6, v10
	v_mul_f32_e32 v10, v5, v10
	v_fma_f32 v3, v3, v7, -v29
	v_add_f32_e32 v1, v1, v12
	v_fmac_f32_e32 v8, v4, v7
	v_add_f32_e32 v4, v13, v18
	v_fma_f32 v5, v5, v9, -v11
	v_fmac_f32_e32 v10, v6, v9
	v_add_f32_e32 v1, v1, v3
	v_add_f32_e32 v4, v4, v8
	s_barrier
	buffer_gl0_inv
	v_add_f32_e32 v3, v1, v5
	v_add_f32_e32 v4, v4, v10
	ds_write_b64 v27, v[3:4]
	s_waitcnt lgkmcnt(0)
	s_barrier
	buffer_gl0_inv
	s_and_saveexec_b32 s3, s2
	s_cbranch_execz .LBB185_95
; %bb.94:
	ds_read2_b64 v[3:6], v26 offset1:1
	ds_read2_b64 v[7:10], v26 offset0:2 offset1:3
	ds_read2_b64 v[11:14], v26 offset0:4 offset1:5
	s_waitcnt lgkmcnt(2)
	v_add_f32_e32 v1, v36, v3
	v_add_f32_e32 v3, v37, v4
	;; [unrolled: 1-line block ×4, first 2 shown]
	ds_read2_b64 v[3:6], v26 offset0:6 offset1:7
	s_waitcnt lgkmcnt(2)
	v_add_f32_e32 v1, v1, v7
	v_add_f32_e32 v7, v15, v8
	v_add_f32_e32 v1, v1, v9
	v_add_f32_e32 v7, v7, v10
	s_waitcnt lgkmcnt(1)
	v_add_f32_e32 v1, v1, v11
	v_add_f32_e32 v7, v7, v12
	v_add_f32_e32 v1, v1, v13
	v_add_f32_e32 v7, v7, v14
	;; [unrolled: 5-line block ×3, first 2 shown]
.LBB185_95:
	s_or_b32 exec_lo, exec_lo, s3
	s_mul_hi_u32 s2, s26, s16
	s_mul_i32 s28, s28, s16
	s_mul_i32 s3, s26, s16
	s_add_i32 s2, s2, s28
	s_mul_hi_u32 s5, s3, s27
	s_mul_i32 s4, s2, s27
	s_mul_i32 s2, s3, s27
	s_add_i32 s3, s5, s4
	s_mul_i32 s4, s26, s6
	s_lshl_b64 s[2:3], s[2:3], 3
	v_cmp_le_i32_e32 vcc_lo, s20, v0
	s_add_u32 s7, s18, s2
	s_addc_u32 s8, s19, s3
	s_ashr_i32 s5, s4, 31
	v_lshlrev_b32_e32 v72, 3, v0
	s_lshl_b64 s[2:3], s[4:5], 3
	s_add_u32 s7, s7, s2
	s_addc_u32 s18, s8, s3
	s_and_b32 vcc_lo, s13, vcc_lo
	s_cmp_lt_i32 s6, 1
	s_barrier
	buffer_gl0_inv
	s_cbranch_scc1 .LBB185_102
; %bb.96:
	v_mul_lo_u32 v1, v2, s10
	v_sub_co_u32 v7, s2, v23, s14
	v_subrev_co_ci_u32_e64 v8, null, s15, v24, s2
	s_ashr_i32 s21, s20, 31
	v_add_co_u32 v7, s2, 0xffffff00, v7
	v_lshl_add_u32 v3, v1, 2, v0
	v_add_co_ci_u32_e64 v8, null, -1, v8, s2
	v_sub_co_u32 v7, s2, v7, v21
	v_ashrrev_i32_e32 v4, 31, v3
	v_sub_co_ci_u32_e64 v8, null, v8, v22, s2
	v_lshrrev_b32_e32 v5, 4, v25
	v_and_b32_e32 v6, 15, v0
	v_lshlrev_b64 v[3:4], 3, v[3:4]
	s_mul_i32 s4, s17, s12
	v_mov_b32_e32 v1, 0
	s_ashr_i32 s5, s4, 31
	v_add_nc_u32_e32 v75, 0x2180, v72
	s_lshl_b64 s[4:5], s[4:5], 3
	v_add_co_u32 v3, s2, v7, v3
	v_add_co_ci_u32_e64 v4, null, v8, v4, s2
	v_lshl_add_u32 v76, v2, 5, 0x2180
	v_sub_co_u32 v7, s2, v3, v72
	v_subrev_co_ci_u32_e64 v8, null, 0, v4, s2
	s_lshl_b64 s[2:3], s[20:21], 3
	v_add_nc_u32_e32 v77, 0x2380, v72
	v_add_co_u32 v7, s2, v7, s2
	v_add_co_ci_u32_e64 v8, null, s3, v8, s2
	v_mad_u32_u24 v78, 0x860, v2, v72
	v_add_co_u32 v7, s2, v7, -8
	v_add_co_ci_u32_e64 v8, null, -1, v8, s2
	v_sub_co_u32 v73, s2, v19, s4
	v_cndmask_b32_e32 v38, v3, v7, vcc_lo
	v_cndmask_b32_e32 v39, v4, v8, vcc_lo
	v_and_b32_e32 v3, 48, v0
	v_lshlrev_b32_e32 v4, 5, v5
	v_mul_i32_i24_e32 v5, 0xffffffe8, v5
	v_subrev_co_ci_u32_e64 v74, null, s5, v20, s2
	v_lshlrev_b32_e32 v3, 3, v3
	v_mad_u32_u24 v79, 0x218, v6, v4
	v_or_b32_e32 v4, 0x78, v72
	v_cmp_gt_u32_e64 s2, 64, v25
	s_ashr_i32 s11, s10, 31
	v_mad_u32_u24 v80, 0x218, v6, v3
	v_add_nc_u32_e32 v82, v79, v5
	v_mad_u32_u24 v81, 0x218, v6, v4
	s_lshl_b32 s19, s17, 6
	s_lshl_b64 s[4:5], s[10:11], 3
	s_lshl_b64 s[8:9], s[10:11], 4
	;; [unrolled: 1-line block ×3, first 2 shown]
	s_mul_hi_i32 s20, s10, 24
	s_mul_i32 s21, s10, 24
	s_lshl_b64 s[14:15], s[10:11], 7
	s_mul_hi_i32 s22, s10, 0x90
	s_mul_i32 s23, s10, 0x90
	s_mul_hi_i32 s24, s10, 0x98
	s_mul_i32 s25, s10, 0x98
	s_lshl_b64 s[16:17], s[10:11], 8
	s_mul_hi_i32 s26, s10, 0x110
	s_mul_i32 s27, s10, 0x110
	s_mul_hi_i32 s28, s10, 0x118
	s_mul_i32 s29, s10, 0x118
	;; [unrolled: 2-line block ×8, first 2 shown]
	s_mov_b32 s10, 0
	s_branch .LBB185_98
.LBB185_97:                             ;   in Loop: Header=BB185_98 Depth=1
	s_or_b32 exec_lo, exec_lo, s11
	v_mul_f32_e32 v83, v8, v41
	v_mul_f32_e32 v8, v8, v40
	;; [unrolled: 1-line block ×5, first 2 shown]
	v_fma_f32 v40, v7, v40, -v83
	v_fmac_f32_e32 v8, v7, v41
	v_fma_f32 v46, v9, v46, -v84
	v_mul_f32_e32 v4, v4, v44
	v_mul_f32_e32 v83, v6, v43
	v_add_f32_e32 v36, v36, v40
	v_fma_f32 v7, v3, v44, -v85
	v_fmac_f32_e32 v10, v9, v47
	v_add_f32_e32 v8, v37, v8
	v_mul_f32_e32 v6, v6, v42
	v_add_f32_e32 v36, v36, v46
	v_mul_f32_e32 v40, v16, v55
	v_fma_f32 v9, v5, v42, -v83
	v_fmac_f32_e32 v4, v3, v45
	v_add_f32_e32 v3, v8, v10
	v_add_f32_e32 v7, v36, v7
	v_mul_f32_e32 v16, v16, v54
	v_mul_f32_e32 v41, v18, v53
	v_fma_f32 v8, v15, v54, -v40
	v_fmac_f32_e32 v6, v5, v43
	v_add_f32_e32 v7, v7, v9
	v_add_f32_e32 v3, v3, v4
	v_mul_f32_e32 v18, v18, v52
	v_mul_f32_e32 v9, v12, v51
	v_fma_f32 v4, v17, v52, -v41
	v_add_f32_e32 v5, v7, v8
	v_fmac_f32_e32 v16, v15, v55
	v_add_f32_e32 v3, v3, v6
	v_mul_f32_e32 v7, v14, v49
	v_fma_f32 v6, v11, v50, -v9
	v_add_f32_e32 v4, v5, v4
	v_mul_f32_e32 v5, v12, v50
	v_fmac_f32_e32 v18, v17, v53
	v_add_f32_e32 v3, v3, v16
	v_fma_f32 v7, v13, v48, -v7
	v_add_f32_e32 v4, v4, v6
	v_mul_f32_e32 v6, v24, v63
	v_fmac_f32_e32 v5, v11, v51
	v_add_f32_e32 v3, v3, v18
	v_mul_f32_e32 v8, v14, v48
	v_add_f32_e32 v4, v4, v7
	v_fma_f32 v6, v23, v62, -v6
	v_mul_f32_e32 v7, v26, v61
	v_add_f32_e32 v3, v3, v5
	v_fmac_f32_e32 v8, v13, v49
	v_mul_f32_e32 v5, v24, v62
	v_add_f32_e32 v4, v4, v6
	v_fma_f32 v6, v25, v60, -v7
	v_mul_f32_e32 v7, v20, v59
	v_add_f32_e32 v3, v3, v8
	v_fmac_f32_e32 v5, v23, v63
	;; [unrolled: 6-line block ×4, first 2 shown]
	v_mul_f32_e32 v8, v22, v56
	v_add_f32_e32 v4, v4, v6
	v_mul_f32_e32 v6, v34, v69
	v_mul_f32_e32 v9, v30, v64
	v_add_f32_e32 v3, v3, v5
	v_fma_f32 v5, v31, v70, -v7
	v_fmac_f32_e32 v8, v21, v57
	v_mul_f32_e32 v7, v32, v70
	v_fmac_f32_e32 v9, v29, v65
	v_add_co_u32 v38, s3, v38, s12
	v_add_f32_e32 v4, v4, v5
	v_fma_f32 v5, v33, v68, -v6
	v_add_f32_e32 v3, v3, v8
	v_mul_f32_e32 v6, v34, v68
	v_fmac_f32_e32 v7, v31, v71
	v_mul_f32_e32 v8, v28, v67
	v_add_f32_e32 v4, v4, v5
	v_mul_f32_e32 v5, v28, v66
	v_fmac_f32_e32 v6, v33, v69
	v_add_f32_e32 v3, v3, v7
	v_fma_f32 v7, v27, v66, -v8
	v_mul_f32_e32 v8, v30, v65
	v_fmac_f32_e32 v5, v27, v67
	v_add_co_ci_u32_e64 v39, null, s13, v39, s3
	v_add_f32_e32 v3, v3, v6
	v_add_f32_e32 v4, v4, v7
	v_fma_f32 v6, v29, v64, -v8
	v_add_nc_u32_e32 v0, 64, v0
	s_add_i32 s6, s6, -1
	v_add_f32_e32 v3, v3, v5
	s_add_i32 s10, s10, s19
	v_add_f32_e32 v36, v4, v6
	s_cmp_eq_u32 s6, 0
	s_waitcnt_vscnt null, 0x0
	v_add_f32_e32 v37, v3, v9
	s_barrier
	buffer_gl0_inv
	s_cbranch_scc1 .LBB185_102
.LBB185_98:                             ; =>This Inner Loop Header: Depth=1
	s_and_saveexec_b32 s43, s1
	s_cbranch_execz .LBB185_100
; %bb.99:                               ;   in Loop: Header=BB185_98 Depth=1
	s_ashr_i32 s11, s10, 31
	s_lshl_b64 s[44:45], s[10:11], 3
	v_add_co_u32 v3, s3, v73, s44
	v_add_co_ci_u32_e64 v4, null, s45, v74, s3
	flat_load_dwordx2 v[3:4], v[3:4]
	s_waitcnt vmcnt(0) lgkmcnt(0)
	ds_write_b64 v75, v[3:4]
.LBB185_100:                            ;   in Loop: Header=BB185_98 Depth=1
	s_or_b32 exec_lo, exec_lo, s43
	v_add_co_u32 v3, s3, v38, s4
	v_add_co_ci_u32_e64 v4, null, s5, v39, s3
	v_add_co_u32 v5, s3, v38, s8
	v_add_co_ci_u32_e64 v6, null, s9, v39, s3
	;; [unrolled: 2-line block ×3, first 2 shown]
	s_waitcnt lgkmcnt(0)
	s_barrier
	buffer_gl0_inv
	s_clause 0x3
	flat_load_dwordx2 v[40:41], v[38:39]
	flat_load_dwordx2 v[46:47], v[3:4]
	;; [unrolled: 1-line block ×4, first 2 shown]
	ds_read_b64 v[11:12], v77
	ds_read_b128 v[7:10], v76
	ds_read_b128 v[3:6], v76 offset:16
	v_add_co_u32 v13, s3, v38, s14
	v_add_co_ci_u32_e64 v14, null, s15, v39, s3
	v_add_co_u32 v17, s3, v38, s42
	v_add_co_ci_u32_e64 v18, null, s41, v39, s3
	s_waitcnt vmcnt(2) lgkmcnt(2)
	v_mul_f32_e32 v19, v12, v47
	v_mul_f32_e32 v15, v12, v41
	;; [unrolled: 1-line block ×4, first 2 shown]
	s_waitcnt vmcnt(1)
	v_mul_f32_e32 v21, v12, v45
	v_mul_f32_e32 v22, v12, v44
	s_waitcnt vmcnt(0)
	v_mul_f32_e32 v23, v12, v43
	v_mul_f32_e32 v24, v11, v43
	v_fma_f32 v15, v11, v40, -v15
	v_fmac_f32_e32 v16, v11, v41
	v_fma_f32 v19, v11, v46, -v19
	v_fmac_f32_e32 v20, v11, v47
	;; [unrolled: 2-line block ×4, first 2 shown]
	v_add_co_u32 v11, s3, v38, s23
	v_add_co_ci_u32_e64 v12, null, s22, v39, s3
	ds_write2_b64 v78, v[15:16], v[19:20] offset1:67
	ds_write2_b64 v78, v[21:22], v[23:24] offset0:134 offset1:201
	s_waitcnt lgkmcnt(0)
	s_barrier
	buffer_gl0_inv
	ds_read2_b64 v[83:86], v79 offset1:1
	ds_read2_b64 v[87:90], v79 offset0:2 offset1:3
	s_waitcnt lgkmcnt(0)
	s_barrier
	buffer_gl0_inv
	flat_load_dwordx2 v[54:55], v[13:14]
	v_add_co_u32 v13, s3, v38, s25
	v_add_co_ci_u32_e64 v14, null, s24, v39, s3
	s_clause 0x2
	flat_load_dwordx2 v[52:53], v[17:18]
	flat_load_dwordx2 v[50:51], v[11:12]
	;; [unrolled: 1-line block ×3, first 2 shown]
	ds_read_b64 v[11:12], v77
	v_add_co_u32 v19, s3, v38, s16
	v_add_co_ci_u32_e64 v20, null, s17, v39, s3
	v_add_co_u32 v21, s3, v38, s40
	v_add_co_ci_u32_e64 v22, null, s39, v39, s3
	;; [unrolled: 2-line block ×4, first 2 shown]
	v_add_f32_e32 v83, 0, v83
	v_add_f32_e32 v84, 0, v84
	;; [unrolled: 1-line block ×8, first 2 shown]
	s_waitcnt vmcnt(3) lgkmcnt(0)
	v_mul_f32_e32 v13, v12, v55
	v_mul_f32_e32 v26, v12, v54
	s_waitcnt vmcnt(2)
	v_mul_f32_e32 v14, v12, v53
	v_mul_f32_e32 v28, v12, v52
	s_waitcnt vmcnt(1)
	;; [unrolled: 3-line block ×3, first 2 shown]
	v_mul_f32_e32 v16, v12, v49
	v_mul_f32_e32 v32, v11, v49
	v_fma_f32 v25, v11, v54, -v13
	v_fmac_f32_e32 v26, v11, v55
	v_fma_f32 v27, v11, v52, -v14
	v_fmac_f32_e32 v28, v11, v53
	;; [unrolled: 2-line block ×4, first 2 shown]
	ds_read_b128 v[15:18], v76 offset:128
	ds_read_b128 v[11:14], v76 offset:144
	ds_write2_b64 v78, v[25:26], v[27:28] offset1:67
	ds_write2_b64 v78, v[29:30], v[31:32] offset0:134 offset1:201
	s_waitcnt lgkmcnt(0)
	s_barrier
	buffer_gl0_inv
	ds_read2_b64 v[91:94], v79 offset1:1
	ds_read2_b64 v[95:98], v79 offset0:2 offset1:3
	s_waitcnt lgkmcnt(0)
	s_barrier
	buffer_gl0_inv
	s_clause 0x3
	flat_load_dwordx2 v[62:63], v[19:20]
	flat_load_dwordx2 v[60:61], v[21:22]
	;; [unrolled: 1-line block ×4, first 2 shown]
	ds_read_b64 v[19:20], v77
	v_add_co_u32 v27, s3, v38, s31
	v_add_co_ci_u32_e64 v28, null, s30, v39, s3
	v_add_co_u32 v29, s3, v38, s38
	v_add_co_ci_u32_e64 v30, null, s37, v39, s3
	;; [unrolled: 2-line block ×3, first 2 shown]
	v_add_f32_e32 v91, 0, v91
	v_add_f32_e32 v92, 0, v92
	;; [unrolled: 1-line block ×8, first 2 shown]
	s_waitcnt vmcnt(3) lgkmcnt(0)
	v_mul_f32_e32 v21, v20, v63
	v_mul_f32_e32 v32, v20, v62
	s_waitcnt vmcnt(2)
	v_mul_f32_e32 v22, v20, v61
	v_mul_f32_e32 v34, v20, v60
	s_waitcnt vmcnt(1)
	v_mul_f32_e32 v23, v20, v59
	s_waitcnt vmcnt(0)
	v_mul_f32_e32 v24, v20, v57
	v_mul_f32_e32 v65, v20, v58
	;; [unrolled: 1-line block ×3, first 2 shown]
	v_fma_f32 v31, v19, v62, -v21
	v_fma_f32 v33, v19, v60, -v22
	v_fmac_f32_e32 v32, v19, v63
	v_fmac_f32_e32 v34, v19, v61
	v_fma_f32 v64, v19, v58, -v23
	v_fma_f32 v66, v19, v56, -v24
	v_fmac_f32_e32 v65, v19, v59
	v_fmac_f32_e32 v67, v20, v56
	ds_read_b128 v[23:26], v76 offset:256
	ds_read_b128 v[19:22], v76 offset:272
	ds_write2_b64 v78, v[31:32], v[33:34] offset1:67
	ds_write2_b64 v78, v[64:65], v[66:67] offset0:134 offset1:201
	s_waitcnt lgkmcnt(0)
	s_barrier
	buffer_gl0_inv
	ds_read2_b64 v[99:102], v79 offset1:1
	ds_read2_b64 v[103:106], v79 offset0:2 offset1:3
	s_waitcnt lgkmcnt(0)
	s_barrier
	buffer_gl0_inv
	flat_load_dwordx2 v[70:71], v[27:28]
	v_add_co_u32 v27, s3, v38, s36
	v_add_co_ci_u32_e64 v28, null, s35, v39, s3
	s_clause 0x2
	flat_load_dwordx2 v[68:69], v[29:30]
	flat_load_dwordx2 v[66:67], v[107:108]
	;; [unrolled: 1-line block ×3, first 2 shown]
	ds_read_b64 v[27:28], v77
	v_add_f32_e32 v91, 0, v99
	v_add_f32_e32 v92, 0, v100
	;; [unrolled: 1-line block ×6, first 2 shown]
	s_waitcnt vmcnt(3) lgkmcnt(0)
	v_mul_f32_e32 v29, v28, v71
	v_mul_f32_e32 v108, v28, v70
	s_waitcnt vmcnt(2)
	v_mul_f32_e32 v30, v28, v69
	v_mul_f32_e32 v110, v28, v68
	s_waitcnt vmcnt(1)
	;; [unrolled: 3-line block ×3, first 2 shown]
	v_mul_f32_e32 v32, v28, v65
	v_mul_f32_e32 v114, v27, v65
	v_fma_f32 v107, v27, v70, -v29
	v_fma_f32 v109, v27, v68, -v30
	v_fmac_f32_e32 v108, v27, v71
	v_fmac_f32_e32 v110, v27, v69
	v_fma_f32 v111, v27, v66, -v31
	v_fma_f32 v113, v27, v64, -v32
	v_fmac_f32_e32 v112, v27, v67
	v_fmac_f32_e32 v114, v28, v64
	ds_read_b128 v[31:34], v76 offset:384
	ds_read_b128 v[27:30], v76 offset:400
	ds_write2_b64 v78, v[107:108], v[109:110] offset1:67
	ds_write2_b64 v78, v[111:112], v[113:114] offset0:134 offset1:201
	s_waitcnt lgkmcnt(0)
	s_barrier
	buffer_gl0_inv
	ds_read2_b64 v[107:110], v79 offset1:1
	ds_read2_b64 v[83:86], v79 offset0:2 offset1:3
	s_waitcnt lgkmcnt(0)
	s_barrier
	buffer_gl0_inv
	v_add_f32_e32 v93, 0, v107
	v_add_f32_e32 v94, 0, v108
	;; [unrolled: 1-line block ×10, first 2 shown]
	ds_write2_b64 v82, v[87:88], v[89:90] offset1:16
	ds_write2_b64 v82, v[83:84], v[85:86] offset0:32 offset1:48
	s_waitcnt lgkmcnt(0)
	s_barrier
	buffer_gl0_inv
	s_and_saveexec_b32 s11, s2
	s_cbranch_execz .LBB185_97
; %bb.101:                              ;   in Loop: Header=BB185_98 Depth=1
	ds_read_b64 v[95:96], v80
	ds_read2_b64 v[83:86], v80 offset0:1 offset1:2
	ds_read2_b64 v[87:90], v80 offset0:3 offset1:4
	;; [unrolled: 1-line block ×3, first 2 shown]
	s_waitcnt lgkmcnt(2)
	v_add_f32_e32 v83, v83, v95
	v_add_f32_e32 v84, v84, v96
	v_add_f32_e32 v95, v85, v83
	v_add_f32_e32 v96, v86, v84
	ds_read2_b64 v[83:86], v80 offset0:7 offset1:8
	s_waitcnt lgkmcnt(2)
	v_add_f32_e32 v87, v95, v87
	v_add_f32_e32 v88, v96, v88
	v_add_f32_e32 v95, v87, v89
	v_add_f32_e32 v96, v88, v90
	ds_read2_b64 v[87:90], v80 offset0:9 offset1:10
	;; [unrolled: 6-line block ×4, first 2 shown]
	s_waitcnt lgkmcnt(2)
	v_add_f32_e32 v87, v95, v87
	v_add_f32_e32 v88, v96, v88
	;; [unrolled: 1-line block ×4, first 2 shown]
	ds_read_b64 v[87:88], v81
	s_waitcnt lgkmcnt(2)
	v_add_f32_e32 v89, v89, v91
	v_add_f32_e32 v90, v90, v92
	v_add_f32_e32 v89, v89, v93
	v_add_f32_e32 v90, v90, v94
	s_waitcnt lgkmcnt(1)
	v_add_f32_e32 v83, v89, v83
	v_add_f32_e32 v84, v90, v84
	;; [unrolled: 1-line block ×4, first 2 shown]
	v_lshlrev_b64 v[83:84], 3, v[0:1]
	s_waitcnt lgkmcnt(0)
	v_add_f32_e32 v85, v85, v87
	v_add_f32_e32 v86, v86, v88
	v_add_co_u32 v83, s3, s7, v83
	v_add_co_ci_u32_e64 v84, null, s18, v84, s3
	global_store_dwordx2 v[83:84], v[85:86], off
	s_branch .LBB185_97
.LBB185_102:
	v_mad_u32_u24 v0, 0x218, v2, v72
	s_nor_b32 s0, s0, vcc_lo
	ds_write_b64 v0, v[36:37]
	s_waitcnt lgkmcnt(0)
	s_barrier
	buffer_gl0_inv
	s_and_saveexec_b32 s1, s0
	s_cbranch_execz .LBB185_104
; %bb.103:
	ds_read2_b64 v[0:3], v72 offset1:67
	ds_read2_b64 v[4:7], v72 offset0:134 offset1:201
	v_ashrrev_i32_e32 v36, 31, v35
	s_waitcnt lgkmcnt(1)
	v_add_f32_e32 v0, v2, v0
	v_add_f32_e32 v1, v3, v1
	s_waitcnt lgkmcnt(0)
	v_add_f32_e32 v2, v4, v0
	v_add_f32_e32 v3, v5, v1
	v_lshlrev_b64 v[0:1], 3, v[35:36]
	v_add_f32_e32 v2, v2, v6
	v_add_f32_e32 v3, v3, v7
	v_add_co_u32 v0, vcc_lo, s7, v0
	v_add_co_ci_u32_e64 v1, null, s18, v1, vcc_lo
	global_store_dwordx2 v[0:1], v[2:3], off
.LBB185_104:
	s_endpgm
	.section	.rodata,"a",@progbits
	.p2align	6, 0x0
	.amdhsa_kernel _ZL26rocblas_hemvn_kernel_lowerILb0ELi64ELi4ELi33ELi32ELi16EiPK19rocblas_complex_numIfEPKS3_PS1_EviT6_lT7_lT5_lS8_lS9_lS7_lT8_i
		.amdhsa_group_segment_fixed_size 9600
		.amdhsa_private_segment_fixed_size 0
		.amdhsa_kernarg_size 376
		.amdhsa_user_sgpr_count 6
		.amdhsa_user_sgpr_private_segment_buffer 1
		.amdhsa_user_sgpr_dispatch_ptr 0
		.amdhsa_user_sgpr_queue_ptr 0
		.amdhsa_user_sgpr_kernarg_segment_ptr 1
		.amdhsa_user_sgpr_dispatch_id 0
		.amdhsa_user_sgpr_flat_scratch_init 0
		.amdhsa_user_sgpr_private_segment_size 0
		.amdhsa_wavefront_size32 1
		.amdhsa_uses_dynamic_stack 0
		.amdhsa_system_sgpr_private_segment_wavefront_offset 0
		.amdhsa_system_sgpr_workgroup_id_x 1
		.amdhsa_system_sgpr_workgroup_id_y 0
		.amdhsa_system_sgpr_workgroup_id_z 1
		.amdhsa_system_sgpr_workgroup_info 0
		.amdhsa_system_vgpr_workitem_id 1
		.amdhsa_next_free_vgpr 115
		.amdhsa_next_free_sgpr 46
		.amdhsa_reserve_vcc 1
		.amdhsa_reserve_flat_scratch 1
		.amdhsa_float_round_mode_32 0
		.amdhsa_float_round_mode_16_64 0
		.amdhsa_float_denorm_mode_32 3
		.amdhsa_float_denorm_mode_16_64 3
		.amdhsa_dx10_clamp 1
		.amdhsa_ieee_mode 1
		.amdhsa_fp16_overflow 0
		.amdhsa_workgroup_processor_mode 1
		.amdhsa_memory_ordered 1
		.amdhsa_forward_progress 1
		.amdhsa_shared_vgpr_count 0
		.amdhsa_exception_fp_ieee_invalid_op 0
		.amdhsa_exception_fp_denorm_src 0
		.amdhsa_exception_fp_ieee_div_zero 0
		.amdhsa_exception_fp_ieee_overflow 0
		.amdhsa_exception_fp_ieee_underflow 0
		.amdhsa_exception_fp_ieee_inexact 0
		.amdhsa_exception_int_div_zero 0
	.end_amdhsa_kernel
	.section	.text._ZL26rocblas_hemvn_kernel_lowerILb0ELi64ELi4ELi33ELi32ELi16EiPK19rocblas_complex_numIfEPKS3_PS1_EviT6_lT7_lT5_lS8_lS9_lS7_lT8_i,"axG",@progbits,_ZL26rocblas_hemvn_kernel_lowerILb0ELi64ELi4ELi33ELi32ELi16EiPK19rocblas_complex_numIfEPKS3_PS1_EviT6_lT7_lT5_lS8_lS9_lS7_lT8_i,comdat
.Lfunc_end185:
	.size	_ZL26rocblas_hemvn_kernel_lowerILb0ELi64ELi4ELi33ELi32ELi16EiPK19rocblas_complex_numIfEPKS3_PS1_EviT6_lT7_lT5_lS8_lS9_lS7_lT8_i, .Lfunc_end185-_ZL26rocblas_hemvn_kernel_lowerILb0ELi64ELi4ELi33ELi32ELi16EiPK19rocblas_complex_numIfEPKS3_PS1_EviT6_lT7_lT5_lS8_lS9_lS7_lT8_i
                                        ; -- End function
	.set _ZL26rocblas_hemvn_kernel_lowerILb0ELi64ELi4ELi33ELi32ELi16EiPK19rocblas_complex_numIfEPKS3_PS1_EviT6_lT7_lT5_lS8_lS9_lS7_lT8_i.num_vgpr, 115
	.set _ZL26rocblas_hemvn_kernel_lowerILb0ELi64ELi4ELi33ELi32ELi16EiPK19rocblas_complex_numIfEPKS3_PS1_EviT6_lT7_lT5_lS8_lS9_lS7_lT8_i.num_agpr, 0
	.set _ZL26rocblas_hemvn_kernel_lowerILb0ELi64ELi4ELi33ELi32ELi16EiPK19rocblas_complex_numIfEPKS3_PS1_EviT6_lT7_lT5_lS8_lS9_lS7_lT8_i.numbered_sgpr, 46
	.set _ZL26rocblas_hemvn_kernel_lowerILb0ELi64ELi4ELi33ELi32ELi16EiPK19rocblas_complex_numIfEPKS3_PS1_EviT6_lT7_lT5_lS8_lS9_lS7_lT8_i.num_named_barrier, 0
	.set _ZL26rocblas_hemvn_kernel_lowerILb0ELi64ELi4ELi33ELi32ELi16EiPK19rocblas_complex_numIfEPKS3_PS1_EviT6_lT7_lT5_lS8_lS9_lS7_lT8_i.private_seg_size, 0
	.set _ZL26rocblas_hemvn_kernel_lowerILb0ELi64ELi4ELi33ELi32ELi16EiPK19rocblas_complex_numIfEPKS3_PS1_EviT6_lT7_lT5_lS8_lS9_lS7_lT8_i.uses_vcc, 1
	.set _ZL26rocblas_hemvn_kernel_lowerILb0ELi64ELi4ELi33ELi32ELi16EiPK19rocblas_complex_numIfEPKS3_PS1_EviT6_lT7_lT5_lS8_lS9_lS7_lT8_i.uses_flat_scratch, 1
	.set _ZL26rocblas_hemvn_kernel_lowerILb0ELi64ELi4ELi33ELi32ELi16EiPK19rocblas_complex_numIfEPKS3_PS1_EviT6_lT7_lT5_lS8_lS9_lS7_lT8_i.has_dyn_sized_stack, 0
	.set _ZL26rocblas_hemvn_kernel_lowerILb0ELi64ELi4ELi33ELi32ELi16EiPK19rocblas_complex_numIfEPKS3_PS1_EviT6_lT7_lT5_lS8_lS9_lS7_lT8_i.has_recursion, 0
	.set _ZL26rocblas_hemvn_kernel_lowerILb0ELi64ELi4ELi33ELi32ELi16EiPK19rocblas_complex_numIfEPKS3_PS1_EviT6_lT7_lT5_lS8_lS9_lS7_lT8_i.has_indirect_call, 0
	.section	.AMDGPU.csdata,"",@progbits
; Kernel info:
; codeLenInByte = 7864
; TotalNumSgprs: 48
; NumVgprs: 115
; ScratchSize: 0
; MemoryBound: 1
; FloatMode: 240
; IeeeMode: 1
; LDSByteSize: 9600 bytes/workgroup (compile time only)
; SGPRBlocks: 0
; VGPRBlocks: 14
; NumSGPRsForWavesPerEU: 48
; NumVGPRsForWavesPerEU: 115
; Occupancy: 8
; WaveLimiterHint : 1
; COMPUTE_PGM_RSRC2:SCRATCH_EN: 0
; COMPUTE_PGM_RSRC2:USER_SGPR: 6
; COMPUTE_PGM_RSRC2:TRAP_HANDLER: 0
; COMPUTE_PGM_RSRC2:TGID_X_EN: 1
; COMPUTE_PGM_RSRC2:TGID_Y_EN: 0
; COMPUTE_PGM_RSRC2:TGID_Z_EN: 1
; COMPUTE_PGM_RSRC2:TIDIG_COMP_CNT: 1
	.section	.text._ZL26rocblas_hemvn_kernel_lowerILb0ELi64ELi4ELi33ELi32ELi16El19rocblas_complex_numIfEPKPKS1_PS1_EviT6_lT7_lT5_lS8_lS9_lS7_lT8_i,"axG",@progbits,_ZL26rocblas_hemvn_kernel_lowerILb0ELi64ELi4ELi33ELi32ELi16El19rocblas_complex_numIfEPKPKS1_PS1_EviT6_lT7_lT5_lS8_lS9_lS7_lT8_i,comdat
	.globl	_ZL26rocblas_hemvn_kernel_lowerILb0ELi64ELi4ELi33ELi32ELi16El19rocblas_complex_numIfEPKPKS1_PS1_EviT6_lT7_lT5_lS8_lS9_lS7_lT8_i ; -- Begin function _ZL26rocblas_hemvn_kernel_lowerILb0ELi64ELi4ELi33ELi32ELi16El19rocblas_complex_numIfEPKPKS1_PS1_EviT6_lT7_lT5_lS8_lS9_lS7_lT8_i
	.p2align	8
	.type	_ZL26rocblas_hemvn_kernel_lowerILb0ELi64ELi4ELi33ELi32ELi16El19rocblas_complex_numIfEPKPKS1_PS1_EviT6_lT7_lT5_lS8_lS9_lS7_lT8_i,@function
_ZL26rocblas_hemvn_kernel_lowerILb0ELi64ELi4ELi33ELi32ELi16El19rocblas_complex_numIfEPKPKS1_PS1_EviT6_lT7_lT5_lS8_lS9_lS7_lT8_i: ; @_ZL26rocblas_hemvn_kernel_lowerILb0ELi64ELi4ELi33ELi32ELi16El19rocblas_complex_numIfEPKPKS1_PS1_EviT6_lT7_lT5_lS8_lS9_lS7_lT8_i
; %bb.0:
	s_load_dwordx2 s[0:1], s[4:5], 0x84
	s_add_u32 s8, s4, 0x78
	s_addc_u32 s9, s5, 0
	s_waitcnt lgkmcnt(0)
	s_lshr_b32 s2, s0, 16
	s_and_b32 s0, s0, 0xffff
	s_and_b32 s1, s1, 0xffff
	s_mul_i32 s0, s2, s0
	s_mul_i32 s0, s0, s1
	s_cmpk_lg_i32 s0, 0x100
	s_cbranch_scc1 .LBB186_104
; %bb.1:
	s_load_dwordx2 s[0:1], s[4:5], 0x4
	s_mov_b32 s18, s7
	s_waitcnt lgkmcnt(0)
	s_or_b32 s0, s0, s1
	s_bitset0_b32 s0, 31
	s_cmp_lg_u32 s0, 0
	s_mov_b32 s0, -1
	s_cbranch_scc1 .LBB186_3
; %bb.2:
	s_load_dwordx2 s[0:1], s[4:5], 0x58
	s_waitcnt lgkmcnt(0)
	v_cmp_eq_f32_e64 s0, s0, 1.0
	v_cmp_eq_f32_e64 s1, s1, 0
	s_and_b32 s0, s0, s1
	s_andn2_b32 vcc_lo, exec_lo, s0
	s_mov_b32 s0, 0
.LBB186_3:
	s_andn2_b32 vcc_lo, exec_lo, s0
	s_cbranch_vccnz .LBB186_104
; %bb.4:
	s_clause 0x1
	s_load_dwordx4 s[0:3], s[4:5], 0x18
	s_load_dwordx4 s[12:15], s[4:5], 0x38
	s_mov_b32 s19, 0
	s_lshl_b64 s[10:11], s[18:19], 3
	s_waitcnt lgkmcnt(0)
	s_add_u32 s0, s0, s10
	s_addc_u32 s1, s1, s11
	s_add_u32 s10, s12, s10
	s_addc_u32 s11, s13, s11
	s_lshl_b64 s[14:15], s[14:15], 3
	s_load_dwordx2 s[10:11], s[10:11], 0x0
	s_clause 0x1
	s_load_dwordx2 s[12:13], s[4:5], 0x48
	s_load_dword s19, s[4:5], 0x0
	s_load_dword s28, s[8:9], 0x0
	s_load_dwordx2 s[16:17], s[4:5], 0x28
	s_load_dwordx2 s[8:9], s[0:1], 0x0
	s_waitcnt lgkmcnt(0)
	s_add_u32 s7, s10, s14
	s_addc_u32 s10, s11, s15
	s_lshl_b32 s20, s6, 6
	s_ashr_i32 s29, s19, 31
	v_add_nc_u32_e32 v34, s20, v0
	s_lshr_b32 s0, s29, 26
	s_add_i32 s11, s28, -1
	s_add_i32 s1, s19, s0
	v_cmp_ne_u32_e64 s0, 0, v1
	v_ashrrev_i32_e32 v35, 31, v34
	v_mul_lo_u32 v4, s13, v34
	v_mad_u64_u32 v[2:3], null, s12, v34, 0
	s_andn2_b32 s1, s1, 63
	v_mul_lo_u32 v5, s12, v35
	s_sub_i32 s14, s19, s1
	v_cmp_eq_u32_e64 s1, 0, v1
	s_cmp_eq_u32 s6, s11
	s_cselect_b32 s22, s14, 0
	v_add3_u32 v3, v3, v5, v4
	v_lshlrev_b64 v[2:3], 3, v[2:3]
	v_add_co_u32 v18, vcc_lo, s7, v2
	v_add_co_ci_u32_e64 v19, null, s10, v3, vcc_lo
	s_mov_b32 s7, -1
	s_and_saveexec_b32 s10, s1
	s_cbranch_execz .LBB186_9
; %bb.5:
	v_cmp_le_i32_e32 vcc_lo, s22, v0
	s_cmp_lg_u32 s22, 0
	v_lshl_add_u32 v2, v0, 3, 0x2380
	s_cselect_b32 s11, -1, 0
	s_and_b32 s11, s11, vcc_lo
	s_and_saveexec_b32 s14, s11
	s_xor_b32 s11, exec_lo, s14
; %bb.6:
	v_mov_b32_e32 v3, 0
	v_mov_b32_e32 v4, v3
	ds_write_b64 v2, v[3:4]
                                        ; implicit-def: $vgpr2
; %bb.7:
	s_andn2_saveexec_b32 s11, s11
	s_cbranch_execz .LBB186_9
; %bb.8:
	flat_load_dwordx2 v[3:4], v[18:19]
	s_waitcnt vmcnt(0) lgkmcnt(0)
	ds_write_b64 v2, v[3:4]
.LBB186_9:
	s_or_b32 exec_lo, exec_lo, s10
	v_lshl_add_u32 v24, v1, 6, v0
	v_and_b32_e32 v2, 31, v0
	v_mov_b32_e32 v3, 0
	s_lshl_b64 s[2:3], s[2:3], 3
	s_mul_hi_u32 s10, s16, s20
	v_lshrrev_b32_e32 v7, 5, v24
	s_add_u32 s8, s8, s2
	s_addc_u32 s9, s9, s3
	s_ashr_i32 s21, s20, 31
	s_mul_i32 s11, s17, s20
	v_mad_u64_u32 v[3:4], null, s16, v7, v[2:3]
	s_lshl_b64 s[2:3], s[20:21], 3
	s_mul_i32 s14, s16, s21
	s_add_u32 s8, s8, s2
	s_addc_u32 s9, s9, s3
	s_add_i32 s3, s10, s14
	s_mul_i32 s2, s16, s20
	v_mad_u64_u32 v[4:5], null, s17, v7, v[4:5]
	s_add_i32 s3, s3, s11
	s_lshl_b64 s[24:25], s[2:3], 3
	s_cmp_lg_u32 s22, 0
	s_cselect_b32 s30, -1, 0
	v_lshlrev_b64 v[20:21], 3, v[3:4]
	s_cmp_eq_u32 s22, 0
	s_cselect_b32 s10, -1, 0
	v_add_co_u32 v3, vcc_lo, s8, v20
	v_add_co_ci_u32_e64 v4, null, s9, v21, vcc_lo
	v_add_co_u32 v3, vcc_lo, v3, s24
	v_add_co_ci_u32_e64 v4, null, s25, v4, vcc_lo
	s_and_b32 vcc_lo, exec_lo, s30
	s_cbranch_vccnz .LBB186_11
; %bb.10:
	s_lshl_b64 s[2:3], s[16:17], 6
	v_mul_u32_u24_e32 v14, 0x108, v7
	v_add_co_u32 v5, vcc_lo, v3, s2
	v_add_co_ci_u32_e64 v6, null, s3, v4, vcc_lo
	v_lshl_add_u32 v14, v2, 3, v14
	v_add_co_u32 v8, vcc_lo, v5, s2
	v_add_co_ci_u32_e64 v9, null, s3, v6, vcc_lo
	s_mov_b32 s7, 0
	v_add_co_u32 v10, vcc_lo, v8, s2
	v_add_co_ci_u32_e64 v11, null, s3, v9, vcc_lo
	s_clause 0x3
	flat_load_dwordx2 v[12:13], v[3:4]
	flat_load_dwordx2 v[5:6], v[5:6]
	;; [unrolled: 1-line block ×4, first 2 shown]
	s_waitcnt vmcnt(3) lgkmcnt(3)
	ds_write_b64 v14, v[12:13]
	s_waitcnt vmcnt(2) lgkmcnt(3)
	ds_write_b64 v14, v[5:6] offset:2112
	s_waitcnt vmcnt(1) lgkmcnt(3)
	ds_write_b64 v14, v[8:9] offset:4224
	;; [unrolled: 2-line block ×3, first 2 shown]
.LBB186_11:
	v_lshlrev_b32_e32 v8, 3, v2
	s_andn2_b32 vcc_lo, exec_lo, s7
	s_cbranch_vccnz .LBB186_29
; %bb.12:
	v_lshlrev_b32_e32 v9, 3, v2
	s_ashr_i32 s23, s22, 31
	v_cmp_le_i32_e64 s2, s22, v7
	s_lshl_b64 s[8:9], s[22:23], 3
	v_mul_u32_u24_e32 v10, 0x108, v7
	v_sub_co_u32 v5, vcc_lo, v3, v9
	v_subrev_co_ci_u32_e64 v6, null, 0, v4, vcc_lo
	v_add_co_u32 v5, vcc_lo, v5, s8
	v_add_co_ci_u32_e64 v6, null, s9, v6, vcc_lo
	v_add_co_u32 v5, vcc_lo, v5, -8
	v_add_co_ci_u32_e64 v6, null, -1, v6, vcc_lo
	v_cmp_gt_i32_e32 vcc_lo, s22, v2
	v_cndmask_b32_e32 v6, v6, v4, vcc_lo
	v_cndmask_b32_e32 v5, v5, v3, vcc_lo
	s_and_saveexec_b32 s3, s2
	s_xor_b32 s2, exec_lo, s3
	s_cbranch_execz .LBB186_14
; %bb.13:
	v_mov_b32_e32 v11, 0
	v_add_nc_u32_e32 v13, v8, v10
	v_mov_b32_e32 v12, v11
	ds_write_b64 v13, v[11:12]
.LBB186_14:
	s_andn2_saveexec_b32 s2, s2
	s_cbranch_execz .LBB186_16
; %bb.15:
	flat_load_dwordx2 v[11:12], v[5:6]
	v_add_nc_u32_e32 v13, v8, v10
	s_waitcnt vmcnt(0) lgkmcnt(0)
	ds_write_b64 v13, v[11:12]
.LBB186_16:
	s_or_b32 exec_lo, exec_lo, s2
	v_add_nc_u32_e32 v11, 8, v7
	v_cmp_le_i32_e64 s2, s22, v11
	s_and_saveexec_b32 s3, s2
	s_xor_b32 s2, exec_lo, s3
	s_cbranch_execz .LBB186_18
; %bb.17:
	v_mov_b32_e32 v11, 0
	v_add_nc_u32_e32 v13, v10, v8
	v_mov_b32_e32 v12, v11
	ds_write_b64 v13, v[11:12] offset:2112
.LBB186_18:
	s_andn2_saveexec_b32 s3, s2
	s_cbranch_execz .LBB186_20
; %bb.19:
	s_lshl_b64 s[14:15], s[16:17], 6
	v_add_nc_u32_e32 v13, v10, v8
	v_add_co_u32 v11, s2, v5, s14
	v_add_co_ci_u32_e64 v12, null, s15, v6, s2
	flat_load_dwordx2 v[11:12], v[11:12]
	s_waitcnt vmcnt(0) lgkmcnt(0)
	ds_write_b64 v13, v[11:12] offset:2112
.LBB186_20:
	s_or_b32 exec_lo, exec_lo, s3
	v_add_nc_u32_e32 v11, 16, v7
	v_cmp_le_i32_e64 s2, s22, v11
	s_and_saveexec_b32 s3, s2
	s_xor_b32 s2, exec_lo, s3
	s_cbranch_execz .LBB186_22
; %bb.21:
	v_mov_b32_e32 v11, 0
	v_add_nc_u32_e32 v13, v10, v8
	v_mov_b32_e32 v12, v11
	ds_write_b64 v13, v[11:12] offset:4224
.LBB186_22:
	s_andn2_saveexec_b32 s3, s2
	s_cbranch_execz .LBB186_24
; %bb.23:
	s_lshl_b64 s[14:15], s[16:17], 7
	v_add_nc_u32_e32 v13, v10, v8
	v_add_co_u32 v11, s2, v5, s14
	v_add_co_ci_u32_e64 v12, null, s15, v6, s2
	flat_load_dwordx2 v[11:12], v[11:12]
	s_waitcnt vmcnt(0) lgkmcnt(0)
	ds_write_b64 v13, v[11:12] offset:4224
.LBB186_24:
	s_or_b32 exec_lo, exec_lo, s3
	v_add_nc_u32_e32 v11, 24, v7
	v_cmp_le_i32_e64 s2, s22, v11
	s_and_saveexec_b32 s3, s2
	s_xor_b32 s2, exec_lo, s3
	s_cbranch_execz .LBB186_26
; %bb.25:
	v_mov_b32_e32 v11, 0
	v_add_nc_u32_e32 v10, v10, v8
	v_mov_b32_e32 v12, v11
	ds_write_b64 v10, v[11:12] offset:6336
                                        ; implicit-def: $vgpr10
.LBB186_26:
	s_andn2_saveexec_b32 s2, s2
	s_cbranch_execz .LBB186_28
; %bb.27:
	v_mad_u64_u32 v[11:12], null, 0xc0, s16, v[5:6]
	v_add_nc_u32_e32 v10, v10, v8
	v_mad_u64_u32 v[12:13], null, 0xc0, s17, v[12:13]
	flat_load_dwordx2 v[11:12], v[11:12]
	s_waitcnt vmcnt(0) lgkmcnt(0)
	ds_write_b64 v10, v[11:12] offset:6336
.LBB186_28:
	s_or_b32 exec_lo, exec_lo, s2
	v_add_co_u32 v5, s2, v5, v9
	v_add_co_ci_u32_e64 v6, null, 0, v6, s2
	v_sub_co_u32 v5, s2, v5, s8
	v_subrev_co_ci_u32_e64 v6, null, s9, v6, s2
	v_add_co_u32 v5, s2, v5, 8
	v_add_co_ci_u32_e64 v6, null, 0, v6, s2
	v_cndmask_b32_e32 v3, v5, v3, vcc_lo
	v_cndmask_b32_e32 v4, v6, v4, vcc_lo
.LBB186_29:
	v_lshlrev_b32_e32 v5, 2, v7
	v_lshl_or_b32 v6, v2, 8, v8
	v_mad_u32_u24 v10, 0x420, v7, v8
	s_waitcnt lgkmcnt(0)
	s_barrier
	v_cmp_lt_u32_e64 s3, v5, v2
	buffer_gl0_inv
	s_and_saveexec_b32 s2, s3
	s_cbranch_execz .LBB186_31
; %bb.30:
	ds_read_b64 v[11:12], v10
	v_lshl_add_u32 v9, v5, 3, v6
	s_waitcnt lgkmcnt(0)
	ds_write_b64 v9, v[11:12]
.LBB186_31:
	s_or_b32 exec_lo, exec_lo, s2
	v_or_b32_e32 v9, 1, v5
	v_cmp_lt_u32_e64 s7, v9, v2
	v_mad_u32_u24 v11, 0x108, v9, v8
	s_and_saveexec_b32 s2, s7
	s_cbranch_execz .LBB186_33
; %bb.32:
	ds_read_b64 v[12:13], v11
	v_lshl_add_u32 v14, v5, 3, v6
	s_waitcnt lgkmcnt(0)
	ds_write_b64 v14, v[12:13] offset:8
.LBB186_33:
	s_or_b32 exec_lo, exec_lo, s2
	v_or_b32_e32 v12, 2, v5
	v_cmp_lt_u32_e64 s8, v12, v2
	s_and_saveexec_b32 s2, s8
	s_cbranch_execz .LBB186_35
; %bb.34:
	v_mad_u32_u24 v12, 0x108, v12, v8
	v_lshl_add_u32 v14, v5, 3, v6
	ds_read_b64 v[12:13], v12
	s_waitcnt lgkmcnt(0)
	ds_write_b64 v14, v[12:13] offset:16
.LBB186_35:
	s_or_b32 exec_lo, exec_lo, s2
	v_or_b32_e32 v13, 3, v5
	s_mov_b32 s2, exec_lo
                                        ; implicit-def: $vgpr12
	v_cmp_lt_u32_e64 s9, v13, v2
	v_cmpx_ge_u32_e64 v13, v2
	s_xor_b32 s2, exec_lo, s2
; %bb.36:
	v_mul_u32_u24_e32 v12, 0x108, v13
                                        ; implicit-def: $vgpr6
                                        ; implicit-def: $vgpr13
; %bb.37:
	s_andn2_saveexec_b32 s2, s2
	s_cbranch_execz .LBB186_39
; %bb.38:
	v_mad_u32_u24 v12, 0x108, v13, v8
	v_lshl_add_u32 v6, v5, 3, v6
	ds_read_b64 v[14:15], v12
	v_mul_u32_u24_e32 v12, 0x108, v13
	s_waitcnt lgkmcnt(0)
	ds_write_b64 v6, v[14:15] offset:24
.LBB186_39:
	s_or_b32 exec_lo, exec_lo, s2
	v_lshlrev_b32_e32 v6, 3, v5
	s_waitcnt lgkmcnt(0)
	s_barrier
	buffer_gl0_inv
	ds_read_b64 v[22:23], v10
	ds_read_b128 v[13:16], v6 offset:9088
	ds_read2_b64 v[25:28], v11 offset1:33
	v_add_nc_u32_e32 v10, v8, v12
	v_mul_u32_u24_e32 v17, 33, v2
	v_cmp_gt_u32_e64 s2, 32, v24
	ds_read_b128 v[29:32], v6 offset:9104
	ds_read_b64 v[11:12], v10
	s_waitcnt lgkmcnt(0)
	s_barrier
	buffer_gl0_inv
	v_mul_f32_e32 v33, v14, v23
	v_mul_f32_e32 v23, v13, v23
	v_mul_f32_e32 v36, v16, v26
	v_mul_f32_e32 v26, v15, v26
	v_mul_f32_e32 v37, v30, v28
	v_fma_f32 v13, v13, v22, -v33
	v_fmac_f32_e32 v23, v14, v22
	v_mul_f32_e32 v28, v29, v28
	v_fma_f32 v15, v15, v25, -v36
	v_fmac_f32_e32 v26, v16, v25
	v_add_f32_e32 v13, 0, v13
	v_add_f32_e32 v16, 0, v23
	v_mul_f32_e32 v14, v32, v12
	v_mul_f32_e32 v12, v31, v12
	v_fma_f32 v22, v29, v27, -v37
	v_fmac_f32_e32 v28, v30, v27
	v_add_f32_e32 v13, v13, v15
	v_add_f32_e32 v15, v16, v26
	v_lshlrev_b32_e32 v25, 3, v17
	v_fma_f32 v14, v31, v11, -v14
	v_fmac_f32_e32 v12, v32, v11
	v_add_f32_e32 v11, v13, v22
	v_add_f32_e32 v13, v15, v28
	v_mov_b32_e32 v36, 0
	v_lshl_add_u32 v26, v7, 3, v25
	v_mov_b32_e32 v37, 0
	v_add_f32_e32 v11, v11, v14
	v_add_f32_e32 v12, v13, v12
	ds_write_b64 v26, v[11:12]
	s_waitcnt lgkmcnt(0)
	s_barrier
	buffer_gl0_inv
	s_and_saveexec_b32 s11, s2
	s_cbranch_execz .LBB186_41
; %bb.40:
	ds_read2_b64 v[11:14], v25 offset1:7
	ds_read2_b64 v[27:30], v25 offset0:1 offset1:2
	ds_read2_b64 v[36:39], v25 offset0:3 offset1:4
	;; [unrolled: 1-line block ×3, first 2 shown]
	s_waitcnt lgkmcnt(2)
	v_add_f32_e32 v11, v27, v11
	v_add_f32_e32 v12, v28, v12
	v_add_f32_e32 v11, v29, v11
	v_add_f32_e32 v12, v30, v12
	s_waitcnt lgkmcnt(1)
	v_add_f32_e32 v11, v11, v36
	v_add_f32_e32 v12, v12, v37
	v_add_f32_e32 v11, v11, v38
	v_add_f32_e32 v12, v12, v39
	;; [unrolled: 5-line block ×3, first 2 shown]
	v_add_f32_e32 v36, v11, v13
	v_add_f32_e32 v37, v12, v14
.LBB186_41:
	s_or_b32 exec_lo, exec_lo, s11
	s_lshl_b64 s[14:15], s[16:17], 8
	v_cndmask_b32_e64 v11, 0, 1, s10
	v_add_co_u32 v3, vcc_lo, v3, s14
	v_add_co_ci_u32_e64 v4, null, s15, v4, vcc_lo
	v_add_co_u32 v12, vcc_lo, 0x100, v3
	v_add_co_ci_u32_e64 v13, null, 0, v4, vcc_lo
	s_andn2_b32 vcc_lo, exec_lo, s10
	s_mov_b32 s10, -1
	s_barrier
	buffer_gl0_inv
	s_cbranch_vccnz .LBB186_43
; %bb.42:
	s_lshl_b64 s[10:11], s[16:17], 6
	v_mad_u32_u24 v29, 0x108, v7, v8
	v_add_co_u32 v14, vcc_lo, v3, s10
	v_add_co_ci_u32_e64 v15, null, s11, v4, vcc_lo
	v_add_co_u32 v16, vcc_lo, v14, s10
	v_add_co_ci_u32_e64 v17, null, s11, v15, vcc_lo
	;; [unrolled: 2-line block ×3, first 2 shown]
	s_clause 0x3
	flat_load_dwordx2 v[27:28], v[3:4] offset:256
	flat_load_dwordx2 v[14:15], v[14:15] offset:256
	;; [unrolled: 1-line block ×4, first 2 shown]
	s_mov_b32 s10, 0
	s_waitcnt vmcnt(3) lgkmcnt(3)
	ds_write_b64 v29, v[27:28]
	s_waitcnt vmcnt(2) lgkmcnt(3)
	ds_write_b64 v29, v[14:15] offset:2112
	s_waitcnt vmcnt(1) lgkmcnt(3)
	ds_write_b64 v29, v[16:17] offset:4224
	;; [unrolled: 2-line block ×3, first 2 shown]
.LBB186_43:
	s_andn2_b32 vcc_lo, exec_lo, s10
	s_cbranch_vccnz .LBB186_61
; %bb.44:
	v_lshlrev_b32_e32 v14, 3, v2
	s_ashr_i32 s23, s22, 31
	v_or_b32_e32 v15, 32, v2
	s_lshl_b64 s[26:27], s[22:23], 3
	s_sub_i32 s11, s22, 32
	v_sub_co_u32 v3, vcc_lo, v3, v14
	v_subrev_co_ci_u32_e64 v4, null, 0, v4, vcc_lo
	v_cmp_le_i32_e64 s10, s11, v7
	v_add_co_u32 v3, vcc_lo, v3, s26
	v_add_co_ci_u32_e64 v4, null, s27, v4, vcc_lo
	v_add_co_u32 v3, vcc_lo, v3, -8
	v_add_co_ci_u32_e64 v4, null, -1, v4, vcc_lo
	v_cmp_gt_i32_e32 vcc_lo, s22, v15
	v_mul_u32_u24_e32 v15, 0x108, v7
	v_cndmask_b32_e32 v4, v4, v13, vcc_lo
	v_cndmask_b32_e32 v3, v3, v12, vcc_lo
	s_and_saveexec_b32 s23, s10
	s_xor_b32 s10, exec_lo, s23
	s_cbranch_execz .LBB186_46
; %bb.45:
	v_mov_b32_e32 v16, 0
	v_add_nc_u32_e32 v22, v8, v15
	v_mov_b32_e32 v17, v16
	ds_write_b64 v22, v[16:17]
.LBB186_46:
	s_andn2_saveexec_b32 s10, s10
	s_cbranch_execz .LBB186_48
; %bb.47:
	flat_load_dwordx2 v[16:17], v[3:4]
	v_add_nc_u32_e32 v22, v8, v15
	s_waitcnt vmcnt(0) lgkmcnt(0)
	ds_write_b64 v22, v[16:17]
.LBB186_48:
	s_or_b32 exec_lo, exec_lo, s10
	v_add_nc_u32_e32 v16, 8, v7
	v_cmp_le_i32_e64 s10, s11, v16
	s_and_saveexec_b32 s23, s10
	s_xor_b32 s10, exec_lo, s23
	s_cbranch_execz .LBB186_50
; %bb.49:
	v_mov_b32_e32 v16, 0
	v_add_nc_u32_e32 v22, v15, v8
	v_mov_b32_e32 v17, v16
	ds_write_b64 v22, v[16:17] offset:2112
.LBB186_50:
	s_andn2_saveexec_b32 s23, s10
	s_cbranch_execz .LBB186_52
; %bb.51:
	s_lshl_b64 s[34:35], s[16:17], 6
	v_add_nc_u32_e32 v22, v15, v8
	v_add_co_u32 v16, s10, v3, s34
	v_add_co_ci_u32_e64 v17, null, s35, v4, s10
	flat_load_dwordx2 v[16:17], v[16:17]
	s_waitcnt vmcnt(0) lgkmcnt(0)
	ds_write_b64 v22, v[16:17] offset:2112
.LBB186_52:
	s_or_b32 exec_lo, exec_lo, s23
	v_add_nc_u32_e32 v16, 16, v7
	v_cmp_le_i32_e64 s10, s11, v16
	s_and_saveexec_b32 s23, s10
	s_xor_b32 s10, exec_lo, s23
	s_cbranch_execz .LBB186_54
; %bb.53:
	v_mov_b32_e32 v16, 0
	v_add_nc_u32_e32 v22, v15, v8
	v_mov_b32_e32 v17, v16
	ds_write_b64 v22, v[16:17] offset:4224
.LBB186_54:
	s_andn2_saveexec_b32 s23, s10
	s_cbranch_execz .LBB186_56
; %bb.55:
	s_lshl_b64 s[34:35], s[16:17], 7
	v_add_nc_u32_e32 v22, v15, v8
	v_add_co_u32 v16, s10, v3, s34
	v_add_co_ci_u32_e64 v17, null, s35, v4, s10
	flat_load_dwordx2 v[16:17], v[16:17]
	s_waitcnt vmcnt(0) lgkmcnt(0)
	ds_write_b64 v22, v[16:17] offset:4224
.LBB186_56:
	s_or_b32 exec_lo, exec_lo, s23
	v_add_nc_u32_e32 v16, 24, v7
	v_cmp_le_i32_e64 s10, s11, v16
	s_and_saveexec_b32 s11, s10
	s_xor_b32 s10, exec_lo, s11
	s_cbranch_execz .LBB186_58
; %bb.57:
	v_mov_b32_e32 v16, 0
	v_add_nc_u32_e32 v15, v15, v8
	v_mov_b32_e32 v17, v16
	ds_write_b64 v15, v[16:17] offset:6336
                                        ; implicit-def: $vgpr15
.LBB186_58:
	s_andn2_saveexec_b32 s10, s10
	s_cbranch_execz .LBB186_60
; %bb.59:
	v_mad_u64_u32 v[16:17], null, 0xc0, s16, v[3:4]
	v_add_nc_u32_e32 v15, v15, v8
	v_mad_u64_u32 v[22:23], null, 0xc0, s17, v[17:18]
	v_mov_b32_e32 v17, v22
	flat_load_dwordx2 v[16:17], v[16:17]
	s_waitcnt vmcnt(0) lgkmcnt(0)
	ds_write_b64 v15, v[16:17] offset:6336
.LBB186_60:
	s_or_b32 exec_lo, exec_lo, s10
	v_add_co_u32 v3, s10, v3, v14
	v_add_co_ci_u32_e64 v4, null, 0, v4, s10
	v_sub_co_u32 v3, s10, v3, s26
	v_subrev_co_ci_u32_e64 v4, null, s27, v4, s10
	v_add_co_u32 v3, s10, 0x108, v3
	v_add_co_ci_u32_e64 v4, null, 0, v4, s10
	v_cndmask_b32_e32 v12, v3, v12, vcc_lo
	v_cndmask_b32_e32 v13, v4, v13, vcc_lo
.LBB186_61:
	v_mul_u32_u24_e32 v3, 0x420, v7
	v_add_nc_u32_e32 v6, 0x2380, v6
	v_mul_u32_u24_e32 v4, 0x108, v9
	s_lshl_b64 s[10:11], s[16:17], 5
	s_waitcnt lgkmcnt(0)
	v_add_nc_u32_e32 v3, v8, v3
	s_barrier
	buffer_gl0_inv
	s_and_saveexec_b32 s23, s3
	s_cbranch_execnz .LBB186_70
; %bb.62:
	s_or_b32 exec_lo, exec_lo, s23
	v_add_nc_u32_e32 v4, v8, v4
	s_and_saveexec_b32 s3, s7
	s_cbranch_execnz .LBB186_71
.LBB186_63:
	s_or_b32 exec_lo, exec_lo, s3
	s_and_saveexec_b32 s3, s8
	s_cbranch_execnz .LBB186_72
.LBB186_64:
	s_or_b32 exec_lo, exec_lo, s3
	s_and_saveexec_b32 s3, s9
	s_cbranch_execz .LBB186_66
.LBB186_65:
	ds_read_b64 v[14:15], v10
	v_lshl_add_u32 v9, v5, 3, v25
	s_waitcnt lgkmcnt(0)
	ds_write_b64 v9, v[14:15] offset:24
.LBB186_66:
	s_or_b32 exec_lo, exec_lo, s3
	s_waitcnt lgkmcnt(0)
	s_barrier
	buffer_gl0_inv
	ds_read_b64 v[22:23], v3
	ds_read_b128 v[14:17], v6 offset:256
	ds_read2_b64 v[27:30], v4 offset1:33
	ds_read_b128 v[38:41], v6 offset:272
	ds_read_b64 v[3:4], v10
	v_cmp_eq_u32_e64 s3, 1, v7
	s_waitcnt lgkmcnt(0)
	s_barrier
	buffer_gl0_inv
	v_mul_f32_e32 v9, v15, v23
	v_mul_f32_e32 v10, v14, v23
	;; [unrolled: 1-line block ×5, first 2 shown]
	v_fma_f32 v9, v14, v22, -v9
	v_fmac_f32_e32 v10, v15, v22
	v_mul_f32_e32 v30, v38, v30
	v_fma_f32 v15, v16, v27, -v23
	v_fmac_f32_e32 v28, v17, v27
	v_add_f32_e32 v9, 0, v9
	v_add_f32_e32 v10, 0, v10
	v_mul_f32_e32 v14, v41, v4
	v_mul_f32_e32 v4, v40, v4
	v_fma_f32 v16, v38, v29, -v31
	v_fmac_f32_e32 v30, v39, v29
	v_add_f32_e32 v9, v9, v15
	v_add_f32_e32 v10, v10, v28
	v_fma_f32 v14, v40, v3, -v14
	v_fmac_f32_e32 v4, v41, v3
	v_add_f32_e32 v3, v9, v16
	v_add_f32_e32 v9, v10, v30
	;; [unrolled: 1-line block ×4, first 2 shown]
	ds_write_b64 v26, v[3:4]
	s_waitcnt lgkmcnt(0)
	s_barrier
	buffer_gl0_inv
	s_and_saveexec_b32 s7, s3
	s_cbranch_execz .LBB186_68
; %bb.67:
	ds_read2_b64 v[14:17], v25 offset1:7
	ds_read2_b64 v[27:30], v25 offset0:1 offset1:2
	ds_read2_b64 v[36:39], v25 offset0:3 offset1:4
	;; [unrolled: 1-line block ×3, first 2 shown]
	s_waitcnt lgkmcnt(2)
	v_add_f32_e32 v3, v27, v14
	v_add_f32_e32 v4, v28, v15
	v_add_f32_e32 v3, v29, v3
	v_add_f32_e32 v4, v30, v4
	s_waitcnt lgkmcnt(1)
	v_add_f32_e32 v3, v3, v36
	v_add_f32_e32 v4, v4, v37
	v_add_f32_e32 v3, v3, v38
	v_add_f32_e32 v4, v4, v39
	;; [unrolled: 5-line block ×3, first 2 shown]
	v_add_f32_e32 v36, v3, v16
	v_add_f32_e32 v37, v4, v17
.LBB186_68:
	s_or_b32 exec_lo, exec_lo, s7
	s_lshl_b64 s[8:9], s[10:11], 3
	v_cmp_ne_u32_e32 vcc_lo, 1, v11
	v_sub_co_u32 v22, s7, v12, s8
	v_subrev_co_ci_u32_e64 v23, null, s9, v13, s7
	s_barrier
	buffer_gl0_inv
	s_cbranch_vccnz .LBB186_73
; %bb.69:
	s_lshl_b64 s[8:9], s[16:17], 6
	flat_load_dwordx2 v[10:11], v[22:23]
	v_add_co_u32 v3, vcc_lo, v22, s8
	v_add_co_ci_u32_e64 v4, null, s9, v23, vcc_lo
	s_movk_i32 s7, 0x840
	v_add_co_u32 v12, vcc_lo, v3, s8
	v_add_co_ci_u32_e64 v13, null, s9, v4, vcc_lo
	v_mul_u32_u24_e32 v9, 0x108, v7
	v_add_co_u32 v14, vcc_lo, v12, s8
	v_add_co_ci_u32_e64 v15, null, s9, v13, vcc_lo
	s_movk_i32 s8, 0x1080
	s_clause 0x2
	flat_load_dwordx2 v[16:17], v[3:4]
	flat_load_dwordx2 v[27:28], v[12:13]
	flat_load_dwordx2 v[14:15], v[14:15]
	v_mad_u32_u24 v4, 0x108, v7, s7
	s_movk_i32 s7, 0x18c0
	v_mad_u32_u24 v12, 0x108, v7, v8
	v_mad_u32_u24 v13, 0x108, v7, s7
	;; [unrolled: 1-line block ×3, first 2 shown]
	v_add_nc_u32_e32 v29, v8, v4
	v_add_nc_u32_e32 v31, v8, v13
	;; [unrolled: 1-line block ×3, first 2 shown]
	s_waitcnt vmcnt(3) lgkmcnt(3)
	ds_write_b64 v12, v[10:11]
	v_add_nc_u32_e32 v10, 8, v7
	v_add_nc_u32_e32 v11, 16, v7
	;; [unrolled: 1-line block ×3, first 2 shown]
	s_waitcnt vmcnt(2) lgkmcnt(3)
	ds_write_b64 v29, v[16:17]
	s_waitcnt vmcnt(1) lgkmcnt(3)
	ds_write_b64 v30, v[27:28]
	;; [unrolled: 2-line block ×3, first 2 shown]
	s_cbranch_execz .LBB186_74
	s_branch .LBB186_91
.LBB186_70:
	ds_read_b64 v[14:15], v3
	v_lshl_add_u32 v9, v5, 3, v25
	s_waitcnt lgkmcnt(0)
	ds_write_b64 v9, v[14:15]
	s_or_b32 exec_lo, exec_lo, s23
	v_add_nc_u32_e32 v4, v8, v4
	s_and_saveexec_b32 s3, s7
	s_cbranch_execz .LBB186_63
.LBB186_71:
	ds_read_b64 v[14:15], v4
	v_lshl_add_u32 v9, v5, 3, v25
	s_waitcnt lgkmcnt(0)
	ds_write_b64 v9, v[14:15] offset:8
	s_or_b32 exec_lo, exec_lo, s3
	s_and_saveexec_b32 s3, s8
	s_cbranch_execz .LBB186_64
.LBB186_72:
	ds_read_b64 v[14:15], v4 offset:264
	v_lshl_add_u32 v9, v5, 3, v25
	s_waitcnt lgkmcnt(0)
	ds_write_b64 v9, v[14:15] offset:16
	s_or_b32 exec_lo, exec_lo, s3
	s_and_saveexec_b32 s3, s9
	s_cbranch_execnz .LBB186_65
	s_branch .LBB186_66
.LBB186_73:
                                        ; implicit-def: $vgpr9
                                        ; implicit-def: $vgpr10
                                        ; implicit-def: $vgpr4
                                        ; implicit-def: $vgpr11
                                        ; implicit-def: $vgpr3
                                        ; implicit-def: $vgpr12
                                        ; implicit-def: $vgpr13
.LBB186_74:
	v_or_b32_e32 v3, 32, v2
	s_ashr_i32 s23, s22, 31
	v_cmp_le_i32_e64 s7, s22, v7
	s_lshl_b64 s[8:9], s[22:23], 3
	v_lshlrev_b32_e32 v4, 3, v3
	v_sub_co_u32 v4, vcc_lo, v22, v4
	v_subrev_co_ci_u32_e64 v9, null, 0, v23, vcc_lo
	v_add_co_u32 v4, vcc_lo, v4, s8
	v_add_co_ci_u32_e64 v9, null, s9, v9, vcc_lo
	v_add_co_u32 v10, vcc_lo, v4, -8
	v_add_co_ci_u32_e64 v4, null, -1, v9, vcc_lo
	v_cmp_gt_i32_e32 vcc_lo, s22, v3
	v_mul_u32_u24_e32 v9, 0x108, v7
	v_cndmask_b32_e32 v4, v4, v23, vcc_lo
	v_cndmask_b32_e32 v3, v10, v22, vcc_lo
	s_and_saveexec_b32 s10, s7
	s_xor_b32 s7, exec_lo, s10
	s_cbranch_execz .LBB186_76
; %bb.75:
	v_mov_b32_e32 v10, 0
	v_add_nc_u32_e32 v12, v8, v9
	v_mov_b32_e32 v11, v10
	ds_write_b64 v12, v[10:11]
.LBB186_76:
	s_andn2_saveexec_b32 s7, s7
	s_cbranch_execz .LBB186_78
; %bb.77:
	flat_load_dwordx2 v[10:11], v[3:4]
	v_add_nc_u32_e32 v12, v8, v9
	s_waitcnt vmcnt(0) lgkmcnt(0)
	ds_write_b64 v12, v[10:11]
.LBB186_78:
	s_or_b32 exec_lo, exec_lo, s7
	v_add_nc_u32_e32 v10, 8, v7
	v_cmp_le_i32_e64 s7, s22, v10
	s_and_saveexec_b32 s10, s7
	s_xor_b32 s7, exec_lo, s10
	s_cbranch_execz .LBB186_80
; %bb.79:
	v_mov_b32_e32 v11, 0
	v_add_nc_u32_e32 v13, v9, v8
	v_mov_b32_e32 v12, v11
	ds_write_b64 v13, v[11:12] offset:2112
.LBB186_80:
	s_andn2_saveexec_b32 s10, s7
	s_cbranch_execz .LBB186_82
; %bb.81:
	s_lshl_b64 s[26:27], s[16:17], 6
	v_add_nc_u32_e32 v13, v9, v8
	v_add_co_u32 v11, s7, v3, s26
	v_add_co_ci_u32_e64 v12, null, s27, v4, s7
	flat_load_dwordx2 v[11:12], v[11:12]
	s_waitcnt vmcnt(0) lgkmcnt(0)
	ds_write_b64 v13, v[11:12] offset:2112
.LBB186_82:
	s_or_b32 exec_lo, exec_lo, s10
	v_add_nc_u32_e32 v11, 16, v7
	v_cmp_le_i32_e64 s7, s22, v11
	s_and_saveexec_b32 s10, s7
	s_xor_b32 s7, exec_lo, s10
	s_cbranch_execz .LBB186_84
; %bb.83:
	v_mov_b32_e32 v12, 0
	v_add_nc_u32_e32 v14, v9, v8
	v_mov_b32_e32 v13, v12
	ds_write_b64 v14, v[12:13] offset:4224
.LBB186_84:
	s_andn2_saveexec_b32 s10, s7
	s_cbranch_execz .LBB186_86
; %bb.85:
	s_lshl_b64 s[26:27], s[16:17], 7
	v_add_nc_u32_e32 v14, v9, v8
	v_add_co_u32 v12, s7, v3, s26
	v_add_co_ci_u32_e64 v13, null, s27, v4, s7
	flat_load_dwordx2 v[12:13], v[12:13]
	s_waitcnt vmcnt(0) lgkmcnt(0)
	ds_write_b64 v14, v[12:13] offset:4224
.LBB186_86:
	s_or_b32 exec_lo, exec_lo, s10
	v_add_nc_u32_e32 v12, 24, v7
                                        ; implicit-def: $vgpr13
	v_cmp_le_i32_e64 s7, s22, v12
	s_and_saveexec_b32 s10, s7
	s_xor_b32 s7, exec_lo, s10
	s_cbranch_execz .LBB186_88
; %bb.87:
	v_add_nc_u32_e32 v13, 0x18c0, v9
	v_mov_b32_e32 v14, 0
	v_add_nc_u32_e32 v16, v8, v13
	v_mov_b32_e32 v15, v14
	ds_write_b64 v16, v[14:15]
.LBB186_88:
	s_andn2_saveexec_b32 s7, s7
	s_cbranch_execz .LBB186_90
; %bb.89:
	v_mad_u64_u32 v[13:14], null, 0xc0, s16, v[3:4]
	v_mad_u64_u32 v[14:15], null, 0xc0, s17, v[14:15]
	flat_load_dwordx2 v[14:15], v[13:14]
	v_add_nc_u32_e32 v13, 0x18c0, v9
	v_add_nc_u32_e32 v16, v8, v13
	s_waitcnt vmcnt(0) lgkmcnt(0)
	ds_write_b64 v16, v[14:15]
.LBB186_90:
	s_or_b32 exec_lo, exec_lo, s7
	v_lshlrev_b32_e32 v2, 3, v2
	v_add_co_u32 v2, s7, v3, v2
	v_add_co_ci_u32_e64 v3, null, 0, v4, s7
	v_add_nc_u32_e32 v4, 0x840, v9
	v_sub_co_u32 v2, s7, v2, s8
	v_subrev_co_ci_u32_e64 v3, null, s9, v3, s7
	v_add_co_u32 v2, s7, 0x108, v2
	v_add_co_ci_u32_e64 v3, null, 0, v3, s7
	v_cndmask_b32_e32 v22, v2, v22, vcc_lo
	v_cndmask_b32_e32 v23, v3, v23, vcc_lo
	v_add_nc_u32_e32 v3, 0x1080, v9
.LBB186_91:
	v_add_nc_u32_e32 v2, v8, v9
	v_lshlrev_b32_e32 v7, 3, v7
	v_add_nc_u32_e32 v4, v8, v4
	v_lshlrev_b32_e32 v9, 3, v10
	v_add_nc_u32_e32 v3, v8, v3
	s_waitcnt lgkmcnt(0)
	s_barrier
	buffer_gl0_inv
	v_lshlrev_b32_e32 v10, 3, v11
	v_add_nc_u32_e32 v8, v8, v13
	v_lshlrev_b32_e32 v11, 3, v12
	ds_read_b64 v[27:28], v2
	ds_read_b64 v[29:30], v7 offset:9088
	ds_read_b64 v[31:32], v4
	ds_read_b64 v[38:39], v9 offset:9088
	;; [unrolled: 2-line block ×3, first 2 shown]
	ds_read2_b32 v[44:45], v8 offset1:1
	ds_read_b64 v[46:47], v11 offset:9088
	v_lshl_add_u32 v7, v5, 3, v25
	ds_read_b128 v[10:13], v6 offset:256
	ds_read_b128 v[2:5], v6 offset:272
	ds_read2_b64 v[14:17], v7 offset1:1
	ds_read2_b64 v[6:9], v7 offset0:2 offset1:3
	s_waitcnt lgkmcnt(0)
	s_barrier
	buffer_gl0_inv
	v_mul_f32_e32 v33, v30, v28
	v_mul_f32_e32 v28, v29, v28
	;; [unrolled: 1-line block ×5, first 2 shown]
	v_fma_f32 v29, v29, v27, -v33
	v_fmac_f32_e32 v28, v30, v27
	v_mul_f32_e32 v27, v42, v41
	v_fma_f32 v30, v38, v31, -v48
	v_fmac_f32_e32 v32, v39, v31
	v_add_f32_e32 v29, 0, v29
	v_add_f32_e32 v28, 0, v28
	v_mul_f32_e32 v50, v47, v45
	v_mul_f32_e32 v31, v46, v45
	v_fma_f32 v33, v42, v40, -v49
	v_fmac_f32_e32 v27, v43, v40
	v_add_f32_e32 v29, v29, v30
	v_add_f32_e32 v28, v28, v32
	v_fma_f32 v30, v46, v44, -v50
	v_fmac_f32_e32 v31, v47, v44
	v_add_f32_e32 v29, v29, v33
	v_add_f32_e32 v28, v28, v27
	;; [unrolled: 1-line block ×4, first 2 shown]
	ds_write_b64 v26, v[27:28]
	s_waitcnt lgkmcnt(0)
	s_barrier
	buffer_gl0_inv
	s_and_saveexec_b32 s7, s3
	s_cbranch_execz .LBB186_93
; %bb.92:
	ds_read2_b64 v[27:30], v25 offset1:1
	ds_read2_b64 v[38:41], v25 offset0:2 offset1:3
	ds_read2_b64 v[42:45], v25 offset0:4 offset1:5
	s_waitcnt lgkmcnt(2)
	v_add_f32_e32 v27, v36, v27
	v_add_f32_e32 v28, v37, v28
	;; [unrolled: 1-line block ×4, first 2 shown]
	ds_read2_b64 v[27:30], v25 offset0:6 offset1:7
	s_waitcnt lgkmcnt(2)
	v_add_f32_e32 v31, v31, v38
	v_add_f32_e32 v32, v32, v39
	v_add_f32_e32 v31, v31, v40
	v_add_f32_e32 v32, v32, v41
	s_waitcnt lgkmcnt(1)
	v_add_f32_e32 v31, v31, v42
	v_add_f32_e32 v32, v32, v43
	v_add_f32_e32 v31, v31, v44
	v_add_f32_e32 v32, v32, v45
	;; [unrolled: 5-line block ×3, first 2 shown]
.LBB186_93:
	s_or_b32 exec_lo, exec_lo, s7
	v_mul_f32_e32 v27, v11, v15
	v_mul_f32_e32 v15, v10, v15
	;; [unrolled: 1-line block ×5, first 2 shown]
	v_fma_f32 v10, v10, v14, -v27
	v_fmac_f32_e32 v15, v11, v14
	v_mul_f32_e32 v7, v2, v7
	v_fma_f32 v12, v12, v16, -v28
	v_fmac_f32_e32 v17, v13, v16
	v_add_f32_e32 v10, 0, v10
	v_add_f32_e32 v13, 0, v15
	v_mul_f32_e32 v11, v5, v9
	v_mul_f32_e32 v9, v4, v9
	v_fma_f32 v2, v2, v6, -v29
	v_add_f32_e32 v10, v10, v12
	v_fmac_f32_e32 v7, v3, v6
	v_add_f32_e32 v3, v13, v17
	v_fma_f32 v4, v4, v8, -v11
	v_fmac_f32_e32 v9, v5, v8
	v_add_f32_e32 v2, v10, v2
	v_add_f32_e32 v3, v3, v7
	s_barrier
	buffer_gl0_inv
	v_add_f32_e32 v2, v2, v4
	v_add_f32_e32 v3, v3, v9
	ds_write_b64 v26, v[2:3]
	s_waitcnt lgkmcnt(0)
	s_barrier
	buffer_gl0_inv
	s_and_saveexec_b32 s3, s2
	s_cbranch_execz .LBB186_95
; %bb.94:
	ds_read2_b64 v[2:5], v25 offset1:1
	ds_read2_b64 v[6:9], v25 offset0:2 offset1:3
	ds_read2_b64 v[10:13], v25 offset0:4 offset1:5
	s_waitcnt lgkmcnt(2)
	v_add_f32_e32 v2, v36, v2
	v_add_f32_e32 v3, v37, v3
	;; [unrolled: 1-line block ×4, first 2 shown]
	ds_read2_b64 v[2:5], v25 offset0:6 offset1:7
	s_waitcnt lgkmcnt(2)
	v_add_f32_e32 v6, v14, v6
	v_add_f32_e32 v7, v15, v7
	v_add_f32_e32 v6, v6, v8
	v_add_f32_e32 v7, v7, v9
	s_waitcnt lgkmcnt(1)
	v_add_f32_e32 v6, v6, v10
	v_add_f32_e32 v7, v7, v11
	v_add_f32_e32 v6, v6, v12
	v_add_f32_e32 v7, v7, v13
	;; [unrolled: 5-line block ×3, first 2 shown]
.LBB186_95:
	s_or_b32 exec_lo, exec_lo, s3
	s_load_dwordx2 s[2:3], s[4:5], 0x68
	s_mul_hi_u32 s4, s19, s18
	s_mul_i32 s29, s29, s18
	s_mul_i32 s5, s19, s18
	s_add_i32 s4, s4, s29
	s_mul_hi_u32 s7, s5, s28
	s_mul_i32 s8, s4, s28
	s_mul_i32 s4, s5, s28
	s_add_i32 s5, s7, s8
	s_mul_i32 s8, s19, s6
	s_lshl_b64 s[4:5], s[4:5], 3
	v_cmp_le_i32_e32 vcc_lo, s22, v0
	v_lshlrev_b32_e32 v74, 3, v0
	s_waitcnt lgkmcnt(0)
	s_barrier
	buffer_gl0_inv
	s_add_u32 s4, s2, s4
	s_addc_u32 s5, s3, s5
	s_ashr_i32 s9, s8, 31
	s_lshl_b64 s[2:3], s[8:9], 3
	s_add_u32 s7, s4, s2
	s_addc_u32 s26, s5, s3
	s_and_b32 vcc_lo, s30, vcc_lo
	s_cmp_lt_i32 s6, 1
	s_cbranch_scc1 .LBB186_102
; %bb.96:
	v_lshlrev_b32_e32 v4, 2, v1
	s_ashr_i32 s23, s22, 31
	s_mul_i32 s3, s12, s21
	s_lshl_b64 s[8:9], s[22:23], 3
	s_mul_hi_u32 s5, s12, s20
	v_mad_u64_u32 v[2:3], null, s16, v4, 0
	s_mul_i32 s10, s13, s20
	s_add_i32 s3, s5, s3
	s_mul_hi_u32 s18, s16, 24
	s_add_i32 s5, s3, s10
	s_mul_i32 s3, s17, 24
	s_mul_i32 s4, s12, s20
	v_mad_u64_u32 v[3:4], null, s17, v4, v[3:4]
	v_sub_co_u32 v4, s2, v22, s24
	v_subrev_co_ci_u32_e64 v7, null, s25, v23, s2
	s_add_i32 s20, s18, s3
	v_add_co_u32 v4, s2, 0xffffff00, v4
	v_add_co_ci_u32_e64 v7, null, -1, v7, s2
	v_lshlrev_b64 v[2:3], 3, v[2:3]
	v_sub_co_u32 v4, s2, v4, v20
	v_sub_co_ci_u32_e64 v7, null, v7, v21, s2
	s_mul_i32 s3, s17, 0x90
	v_add_co_u32 v2, s2, v4, v2
	v_add_co_ci_u32_e64 v3, null, v7, v3, s2
	s_mul_hi_u32 s22, s16, 0x90
	v_add_co_u32 v4, s2, v2, s8
	v_add_co_ci_u32_e64 v7, null, s9, v3, s2
	v_add_co_u32 v2, s2, v2, v74
	v_add_co_ci_u32_e64 v3, null, 0, v3, s2
	v_add_co_u32 v4, s2, v4, -8
	v_lshrrev_b32_e32 v5, 4, v24
	v_add_co_ci_u32_e64 v7, null, -1, v7, s2
	s_add_i32 s22, s22, s3
	s_mul_i32 s3, s17, 0x98
	s_mul_hi_u32 s24, s16, 0x98
	s_mul_hi_u32 s27, s16, 0x110
	s_add_i32 s24, s24, s3
	s_mul_i32 s3, s17, 0x110
	s_mul_hi_u32 s29, s16, 0x118
	s_add_i32 s27, s27, s3
	s_mul_i32 s3, s17, 0x118
	v_and_b32_e32 v6, 15, v0
	v_cndmask_b32_e32 v41, v3, v7, vcc_lo
	v_cndmask_b32_e32 v40, v2, v4, vcc_lo
	v_and_b32_e32 v2, 48, v0
	v_lshlrev_b32_e32 v3, 5, v5
	s_add_i32 s29, s29, s3
	s_mul_i32 s3, s17, 0x180
	s_mul_hi_u32 s31, s16, 0x180
	s_mul_hi_u32 s34, s16, 0x190
	s_add_i32 s31, s31, s3
	s_mul_i32 s3, s17, 0x190
	v_lshlrev_b32_e32 v2, 3, v2
	v_or_b32_e32 v4, 0x78, v74
	v_mad_u32_u24 v81, 0x218, v6, v3
	v_mul_i32_i24_e32 v3, 0xffffffe8, v5
	s_add_i32 s34, s34, s3
	s_mul_i32 s3, s17, 0x198
	s_mul_hi_u32 s36, s16, 0x198
	s_lshl_b64 s[4:5], s[4:5], 3
	s_add_i32 s36, s36, s3
	s_mul_i32 s3, s17, 0x188
	s_mul_hi_u32 s38, s16, 0x188
	v_sub_co_u32 v75, s2, v18, s4
	s_add_i32 s38, s38, s3
	s_mul_i32 s3, s17, 0x108
	s_mul_hi_u32 s40, s16, 0x108
	v_mov_b32_e32 v39, 0
	v_subrev_co_ci_u32_e64 v76, null, s5, v19, s2
	v_add_nc_u32_e32 v77, 0x2180, v74
	v_lshl_add_u32 v78, v1, 5, 0x2180
	v_add_nc_u32_e32 v79, 0x2380, v74
	v_mad_u32_u24 v80, 0x860, v1, v74
	v_cmp_gt_u32_e64 s2, 64, v24
	v_mad_u32_u24 v82, 0x218, v6, v2
	v_mad_u32_u24 v83, 0x218, v6, v4
	v_add_nc_u32_e32 v84, v81, v3
	s_lshl_b64 s[4:5], s[16:17], 3
	s_lshl_b64 s[8:9], s[16:17], 4
	;; [unrolled: 1-line block ×4, first 2 shown]
	s_add_i32 s40, s40, s3
	s_mul_i32 s3, s17, 0x88
	s_mul_hi_u32 s17, s16, 0x88
	s_mul_i32 s21, s16, 24
	s_mul_i32 s23, s16, 0x90
	;; [unrolled: 1-line block ×10, first 2 shown]
	s_add_i32 s17, s17, s3
	s_mulk_i32 s16, 0x88
	s_mov_b32 s42, 0
	s_branch .LBB186_98
.LBB186_97:                             ;   in Loop: Header=BB186_98 Depth=1
	s_or_b32 exec_lo, exec_lo, s43
	v_mul_f32_e32 v38, v7, v43
	v_mul_f32_e32 v7, v7, v42
	v_mul_f32_e32 v85, v9, v49
	v_mul_f32_e32 v9, v9, v48
	v_mul_f32_e32 v86, v3, v47
	v_fma_f32 v38, v6, v42, -v38
	v_fmac_f32_e32 v7, v6, v43
	v_fma_f32 v48, v8, v48, -v85
	v_mul_f32_e32 v3, v3, v46
	v_mul_f32_e32 v42, v5, v45
	v_add_f32_e32 v36, v36, v38
	v_fma_f32 v6, v2, v46, -v86
	v_fmac_f32_e32 v9, v8, v49
	v_add_f32_e32 v7, v37, v7
	v_mul_f32_e32 v5, v5, v44
	v_add_f32_e32 v36, v36, v48
	v_mul_f32_e32 v38, v15, v57
	v_fma_f32 v8, v4, v44, -v42
	v_fmac_f32_e32 v3, v2, v47
	v_add_f32_e32 v2, v7, v9
	v_add_f32_e32 v6, v36, v6
	v_mul_f32_e32 v15, v15, v56
	v_mul_f32_e32 v43, v17, v55
	v_fma_f32 v7, v14, v56, -v38
	v_fmac_f32_e32 v5, v4, v45
	v_add_f32_e32 v6, v6, v8
	v_add_f32_e32 v2, v2, v3
	v_mul_f32_e32 v17, v17, v54
	v_mul_f32_e32 v8, v11, v53
	v_fma_f32 v3, v16, v54, -v43
	v_add_f32_e32 v4, v6, v7
	v_fmac_f32_e32 v15, v14, v57
	v_add_f32_e32 v2, v2, v5
	v_mul_f32_e32 v6, v13, v51
	v_fma_f32 v5, v10, v52, -v8
	v_add_f32_e32 v3, v4, v3
	v_mul_f32_e32 v4, v11, v52
	v_fmac_f32_e32 v17, v16, v55
	v_add_f32_e32 v2, v2, v15
	v_fma_f32 v6, v12, v50, -v6
	v_add_f32_e32 v3, v3, v5
	v_mul_f32_e32 v5, v23, v65
	v_fmac_f32_e32 v4, v10, v53
	v_add_f32_e32 v2, v2, v17
	v_mul_f32_e32 v7, v13, v50
	v_add_f32_e32 v3, v3, v6
	v_fma_f32 v5, v22, v64, -v5
	v_mul_f32_e32 v6, v25, v63
	v_add_f32_e32 v2, v2, v4
	v_fmac_f32_e32 v7, v12, v51
	v_mul_f32_e32 v4, v23, v64
	v_add_f32_e32 v3, v3, v5
	v_fma_f32 v5, v24, v62, -v6
	v_mul_f32_e32 v6, v19, v61
	v_add_f32_e32 v2, v2, v7
	v_fmac_f32_e32 v4, v22, v65
	;; [unrolled: 6-line block ×4, first 2 shown]
	v_mul_f32_e32 v7, v21, v58
	v_add_f32_e32 v3, v3, v5
	v_mul_f32_e32 v5, v33, v71
	v_mul_f32_e32 v8, v29, v66
	v_add_f32_e32 v2, v2, v4
	v_fma_f32 v4, v30, v72, -v6
	v_fmac_f32_e32 v7, v20, v59
	v_mul_f32_e32 v6, v31, v72
	v_fmac_f32_e32 v8, v28, v67
	v_add_co_u32 v40, s3, v40, s10
	v_add_f32_e32 v3, v3, v4
	v_fma_f32 v4, v32, v70, -v5
	v_add_f32_e32 v2, v2, v7
	v_mul_f32_e32 v5, v33, v70
	v_fmac_f32_e32 v6, v30, v73
	v_mul_f32_e32 v7, v27, v69
	v_add_f32_e32 v3, v3, v4
	v_mul_f32_e32 v4, v27, v68
	v_fmac_f32_e32 v5, v32, v71
	v_add_f32_e32 v2, v2, v6
	v_fma_f32 v6, v26, v68, -v7
	v_mul_f32_e32 v7, v29, v67
	v_fmac_f32_e32 v4, v26, v69
	v_add_co_ci_u32_e64 v41, null, s11, v41, s3
	v_add_f32_e32 v2, v2, v5
	v_add_f32_e32 v3, v3, v6
	v_fma_f32 v5, v28, v66, -v7
	s_add_i32 s6, s6, -1
	s_add_i32 s42, s42, 64
	v_add_f32_e32 v2, v2, v4
	s_cmp_eq_u32 s6, 0
	v_add_f32_e32 v36, v3, v5
	s_waitcnt_vscnt null, 0x0
	s_barrier
	v_add_f32_e32 v37, v2, v8
	buffer_gl0_inv
	s_cbranch_scc1 .LBB186_102
.LBB186_98:                             ; =>This Inner Loop Header: Depth=1
	s_and_saveexec_b32 s43, s1
	s_cbranch_execz .LBB186_100
; %bb.99:                               ;   in Loop: Header=BB186_98 Depth=1
	s_mul_i32 s3, s13, s42
	s_mul_hi_u32 s45, s12, s42
	s_mul_i32 s44, s12, s42
	s_add_i32 s45, s45, s3
	s_lshl_b64 s[44:45], s[44:45], 3
	v_add_co_u32 v2, s3, v75, s44
	v_add_co_ci_u32_e64 v3, null, s45, v76, s3
	flat_load_dwordx2 v[2:3], v[2:3]
	s_waitcnt vmcnt(0) lgkmcnt(0)
	ds_write_b64 v77, v[2:3]
.LBB186_100:                            ;   in Loop: Header=BB186_98 Depth=1
	s_or_b32 exec_lo, exec_lo, s43
	v_add_co_u32 v2, s3, v40, s4
	v_add_co_ci_u32_e64 v3, null, s5, v41, s3
	v_add_co_u32 v4, s3, v40, s8
	v_add_co_ci_u32_e64 v5, null, s9, v41, s3
	v_add_co_u32 v6, s3, v40, s21
	v_add_co_ci_u32_e64 v7, null, s20, v41, s3
	s_waitcnt lgkmcnt(0)
	s_barrier
	buffer_gl0_inv
	s_clause 0x3
	flat_load_dwordx2 v[42:43], v[40:41]
	flat_load_dwordx2 v[48:49], v[2:3]
	flat_load_dwordx2 v[46:47], v[4:5]
	flat_load_dwordx2 v[44:45], v[6:7]
	ds_read_b64 v[10:11], v79
	ds_read_b128 v[6:9], v78
	ds_read_b128 v[2:5], v78 offset:16
	v_add_co_u32 v12, s3, v40, s18
	v_add_co_ci_u32_e64 v13, null, s19, v41, s3
	v_add_co_u32 v16, s3, v40, s16
	v_add_co_ci_u32_e64 v17, null, s17, v41, s3
	s_waitcnt vmcnt(2) lgkmcnt(2)
	v_mul_f32_e32 v18, v11, v49
	v_mul_f32_e32 v14, v11, v43
	;; [unrolled: 1-line block ×4, first 2 shown]
	s_waitcnt vmcnt(1)
	v_mul_f32_e32 v20, v11, v47
	v_mul_f32_e32 v21, v11, v46
	s_waitcnt vmcnt(0)
	v_mul_f32_e32 v22, v11, v45
	v_mul_f32_e32 v23, v10, v45
	v_fma_f32 v14, v10, v42, -v14
	v_fmac_f32_e32 v15, v10, v43
	v_fma_f32 v18, v10, v48, -v18
	v_fmac_f32_e32 v19, v10, v49
	;; [unrolled: 2-line block ×4, first 2 shown]
	v_add_co_u32 v10, s3, v40, s23
	v_add_co_ci_u32_e64 v11, null, s22, v41, s3
	ds_write2_b64 v80, v[14:15], v[18:19] offset1:67
	ds_write2_b64 v80, v[20:21], v[22:23] offset0:134 offset1:201
	s_waitcnt lgkmcnt(0)
	s_barrier
	buffer_gl0_inv
	ds_read2_b64 v[85:88], v81 offset1:1
	ds_read2_b64 v[89:92], v81 offset0:2 offset1:3
	s_waitcnt lgkmcnt(0)
	s_barrier
	buffer_gl0_inv
	flat_load_dwordx2 v[56:57], v[12:13]
	v_add_co_u32 v12, s3, v40, s25
	v_add_co_ci_u32_e64 v13, null, s24, v41, s3
	s_clause 0x2
	flat_load_dwordx2 v[54:55], v[16:17]
	flat_load_dwordx2 v[52:53], v[10:11]
	;; [unrolled: 1-line block ×3, first 2 shown]
	ds_read_b64 v[10:11], v79
	v_add_co_u32 v18, s3, v40, s14
	v_add_co_ci_u32_e64 v19, null, s15, v41, s3
	v_add_co_u32 v20, s3, v40, s41
	v_add_co_ci_u32_e64 v21, null, s40, v41, s3
	;; [unrolled: 2-line block ×4, first 2 shown]
	v_add_f32_e32 v38, 0, v85
	v_add_f32_e32 v85, 0, v86
	;; [unrolled: 1-line block ×8, first 2 shown]
	s_waitcnt vmcnt(3) lgkmcnt(0)
	v_mul_f32_e32 v12, v11, v57
	v_mul_f32_e32 v25, v11, v56
	s_waitcnt vmcnt(2)
	v_mul_f32_e32 v13, v11, v55
	v_mul_f32_e32 v27, v11, v54
	s_waitcnt vmcnt(1)
	;; [unrolled: 3-line block ×3, first 2 shown]
	v_mul_f32_e32 v15, v11, v51
	v_mul_f32_e32 v31, v10, v51
	v_fma_f32 v24, v10, v56, -v12
	v_fmac_f32_e32 v25, v10, v57
	v_fma_f32 v26, v10, v54, -v13
	v_fmac_f32_e32 v27, v10, v55
	;; [unrolled: 2-line block ×4, first 2 shown]
	ds_read_b128 v[14:17], v78 offset:128
	ds_read_b128 v[10:13], v78 offset:144
	ds_write2_b64 v80, v[24:25], v[26:27] offset1:67
	ds_write2_b64 v80, v[28:29], v[30:31] offset0:134 offset1:201
	s_waitcnt lgkmcnt(0)
	s_barrier
	buffer_gl0_inv
	ds_read2_b64 v[93:96], v81 offset1:1
	ds_read2_b64 v[97:100], v81 offset0:2 offset1:3
	s_waitcnt lgkmcnt(0)
	s_barrier
	buffer_gl0_inv
	s_clause 0x3
	flat_load_dwordx2 v[64:65], v[18:19]
	flat_load_dwordx2 v[62:63], v[20:21]
	;; [unrolled: 1-line block ×4, first 2 shown]
	ds_read_b64 v[18:19], v79
	v_add_co_u32 v26, s3, v40, s33
	v_add_co_ci_u32_e64 v27, null, s31, v41, s3
	v_add_co_u32 v28, s3, v40, s39
	v_add_co_ci_u32_e64 v29, null, s38, v41, s3
	v_add_co_u32 v109, s3, v40, s35
	v_add_co_ci_u32_e64 v110, null, s34, v41, s3
	v_add_f32_e32 v93, 0, v93
	v_add_f32_e32 v94, 0, v94
	;; [unrolled: 1-line block ×7, first 2 shown]
	s_waitcnt vmcnt(3) lgkmcnt(0)
	v_mul_f32_e32 v20, v19, v65
	v_mul_f32_e32 v31, v19, v64
	s_waitcnt vmcnt(2)
	v_mul_f32_e32 v21, v19, v63
	v_mul_f32_e32 v33, v19, v62
	s_waitcnt vmcnt(1)
	v_mul_f32_e32 v22, v19, v61
	s_waitcnt vmcnt(0)
	v_mul_f32_e32 v23, v19, v59
	v_mul_f32_e32 v67, v19, v60
	v_mul_f32_e32 v69, v18, v59
	v_fma_f32 v30, v18, v64, -v20
	v_fma_f32 v32, v18, v62, -v21
	v_fmac_f32_e32 v31, v18, v65
	v_fmac_f32_e32 v33, v18, v63
	v_fma_f32 v66, v18, v60, -v22
	v_fma_f32 v68, v18, v58, -v23
	v_fmac_f32_e32 v67, v18, v61
	v_fmac_f32_e32 v69, v19, v58
	ds_read_b128 v[22:25], v78 offset:256
	ds_read_b128 v[18:21], v78 offset:272
	ds_write2_b64 v80, v[30:31], v[32:33] offset1:67
	ds_write2_b64 v80, v[66:67], v[68:69] offset0:134 offset1:201
	s_waitcnt lgkmcnt(0)
	s_barrier
	buffer_gl0_inv
	ds_read2_b64 v[101:104], v81 offset1:1
	ds_read2_b64 v[105:108], v81 offset0:2 offset1:3
	s_waitcnt lgkmcnt(0)
	s_barrier
	buffer_gl0_inv
	flat_load_dwordx2 v[72:73], v[26:27]
	v_add_co_u32 v26, s3, v40, s37
	v_add_co_ci_u32_e64 v27, null, s36, v41, s3
	s_clause 0x2
	flat_load_dwordx2 v[70:71], v[28:29]
	flat_load_dwordx2 v[68:69], v[109:110]
	;; [unrolled: 1-line block ×3, first 2 shown]
	ds_read_b64 v[26:27], v79
	v_add_f32_e32 v92, 0, v101
	v_add_f32_e32 v93, 0, v102
	;; [unrolled: 1-line block ×7, first 2 shown]
	s_waitcnt vmcnt(3) lgkmcnt(0)
	v_mul_f32_e32 v28, v27, v73
	v_mul_f32_e32 v110, v27, v72
	s_waitcnt vmcnt(2)
	v_mul_f32_e32 v29, v27, v71
	v_mul_f32_e32 v112, v27, v70
	s_waitcnt vmcnt(1)
	;; [unrolled: 3-line block ×3, first 2 shown]
	v_mul_f32_e32 v31, v27, v67
	v_mul_f32_e32 v116, v26, v67
	v_fma_f32 v109, v26, v72, -v28
	v_fma_f32 v111, v26, v70, -v29
	v_fmac_f32_e32 v110, v26, v73
	v_fmac_f32_e32 v112, v26, v71
	v_fma_f32 v113, v26, v68, -v30
	v_fma_f32 v115, v26, v66, -v31
	v_fmac_f32_e32 v114, v26, v69
	v_fmac_f32_e32 v116, v27, v66
	ds_read_b128 v[30:33], v78 offset:384
	ds_read_b128 v[26:29], v78 offset:400
	ds_write2_b64 v80, v[109:110], v[111:112] offset1:67
	ds_write2_b64 v80, v[113:114], v[115:116] offset0:134 offset1:201
	s_waitcnt lgkmcnt(0)
	s_barrier
	buffer_gl0_inv
	ds_read2_b64 v[109:112], v81 offset1:1
	ds_read2_b64 v[85:88], v81 offset0:2 offset1:3
	s_waitcnt lgkmcnt(0)
	s_barrier
	buffer_gl0_inv
	v_add_f32_e32 v94, 0, v109
	v_add_f32_e32 v95, 0, v110
	;; [unrolled: 1-line block ×10, first 2 shown]
	ds_write2_b64 v84, v[89:90], v[91:92] offset1:16
	ds_write2_b64 v84, v[85:86], v[87:88] offset0:32 offset1:48
	s_waitcnt lgkmcnt(0)
	s_barrier
	buffer_gl0_inv
	s_and_saveexec_b32 s43, s2
	s_cbranch_execz .LBB186_97
; %bb.101:                              ;   in Loop: Header=BB186_98 Depth=1
	ds_read_b64 v[97:98], v82
	ds_read2_b64 v[85:88], v82 offset0:1 offset1:2
	ds_read2_b64 v[89:92], v82 offset0:3 offset1:4
	;; [unrolled: 1-line block ×3, first 2 shown]
	s_waitcnt lgkmcnt(2)
	v_add_f32_e32 v38, v85, v97
	v_add_f32_e32 v85, v86, v98
	v_add_f32_e32 v38, v87, v38
	v_add_f32_e32 v97, v88, v85
	ds_read2_b64 v[85:88], v82 offset0:7 offset1:8
	s_waitcnt lgkmcnt(2)
	v_add_f32_e32 v38, v38, v89
	v_add_f32_e32 v89, v97, v90
	v_add_f32_e32 v38, v38, v91
	v_add_f32_e32 v97, v89, v92
	ds_read2_b64 v[89:92], v82 offset0:9 offset1:10
	;; [unrolled: 6-line block ×4, first 2 shown]
	s_waitcnt lgkmcnt(2)
	v_add_f32_e32 v38, v38, v89
	v_add_f32_e32 v89, v97, v90
	;; [unrolled: 1-line block ×4, first 2 shown]
	ds_read_b64 v[89:90], v83
	s_waitcnt lgkmcnt(2)
	v_add_f32_e32 v38, v38, v93
	v_add_f32_e32 v91, v91, v94
	;; [unrolled: 1-line block ×4, first 2 shown]
	s_waitcnt lgkmcnt(1)
	v_add_f32_e32 v85, v38, v85
	v_add_f32_e32 v86, v91, v86
	v_add_nc_u32_e32 v38, s42, v0
	v_add_f32_e32 v87, v85, v87
	v_add_f32_e32 v88, v86, v88
	v_lshlrev_b64 v[85:86], 3, v[38:39]
	s_waitcnt lgkmcnt(0)
	v_add_f32_e32 v87, v87, v89
	v_add_f32_e32 v88, v88, v90
	v_add_co_u32 v85, s3, s7, v85
	v_add_co_ci_u32_e64 v86, null, s26, v86, s3
	global_store_dwordx2 v[85:86], v[87:88], off
	s_branch .LBB186_97
.LBB186_102:
	v_mad_u32_u24 v0, 0x218, v1, v74
	s_nor_b32 s0, s0, vcc_lo
	ds_write_b64 v0, v[36:37]
	s_waitcnt lgkmcnt(0)
	s_barrier
	buffer_gl0_inv
	s_and_saveexec_b32 s1, s0
	s_cbranch_execz .LBB186_104
; %bb.103:
	ds_read2_b64 v[0:3], v74 offset1:67
	ds_read2_b64 v[4:7], v74 offset0:134 offset1:201
	s_waitcnt lgkmcnt(1)
	v_add_f32_e32 v0, v2, v0
	v_add_f32_e32 v1, v3, v1
	s_waitcnt lgkmcnt(0)
	v_add_f32_e32 v2, v4, v0
	v_add_f32_e32 v3, v5, v1
	v_lshlrev_b64 v[0:1], 3, v[34:35]
	v_add_f32_e32 v2, v2, v6
	v_add_f32_e32 v3, v3, v7
	v_add_co_u32 v0, vcc_lo, s7, v0
	v_add_co_ci_u32_e64 v1, null, s26, v1, vcc_lo
	global_store_dwordx2 v[0:1], v[2:3], off
.LBB186_104:
	s_endpgm
	.section	.rodata,"a",@progbits
	.p2align	6, 0x0
	.amdhsa_kernel _ZL26rocblas_hemvn_kernel_lowerILb0ELi64ELi4ELi33ELi32ELi16El19rocblas_complex_numIfEPKPKS1_PS1_EviT6_lT7_lT5_lS8_lS9_lS7_lT8_i
		.amdhsa_group_segment_fixed_size 9600
		.amdhsa_private_segment_fixed_size 0
		.amdhsa_kernarg_size 376
		.amdhsa_user_sgpr_count 6
		.amdhsa_user_sgpr_private_segment_buffer 1
		.amdhsa_user_sgpr_dispatch_ptr 0
		.amdhsa_user_sgpr_queue_ptr 0
		.amdhsa_user_sgpr_kernarg_segment_ptr 1
		.amdhsa_user_sgpr_dispatch_id 0
		.amdhsa_user_sgpr_flat_scratch_init 0
		.amdhsa_user_sgpr_private_segment_size 0
		.amdhsa_wavefront_size32 1
		.amdhsa_uses_dynamic_stack 0
		.amdhsa_system_sgpr_private_segment_wavefront_offset 0
		.amdhsa_system_sgpr_workgroup_id_x 1
		.amdhsa_system_sgpr_workgroup_id_y 0
		.amdhsa_system_sgpr_workgroup_id_z 1
		.amdhsa_system_sgpr_workgroup_info 0
		.amdhsa_system_vgpr_workitem_id 1
		.amdhsa_next_free_vgpr 117
		.amdhsa_next_free_sgpr 46
		.amdhsa_reserve_vcc 1
		.amdhsa_reserve_flat_scratch 1
		.amdhsa_float_round_mode_32 0
		.amdhsa_float_round_mode_16_64 0
		.amdhsa_float_denorm_mode_32 3
		.amdhsa_float_denorm_mode_16_64 3
		.amdhsa_dx10_clamp 1
		.amdhsa_ieee_mode 1
		.amdhsa_fp16_overflow 0
		.amdhsa_workgroup_processor_mode 1
		.amdhsa_memory_ordered 1
		.amdhsa_forward_progress 1
		.amdhsa_shared_vgpr_count 0
		.amdhsa_exception_fp_ieee_invalid_op 0
		.amdhsa_exception_fp_denorm_src 0
		.amdhsa_exception_fp_ieee_div_zero 0
		.amdhsa_exception_fp_ieee_overflow 0
		.amdhsa_exception_fp_ieee_underflow 0
		.amdhsa_exception_fp_ieee_inexact 0
		.amdhsa_exception_int_div_zero 0
	.end_amdhsa_kernel
	.section	.text._ZL26rocblas_hemvn_kernel_lowerILb0ELi64ELi4ELi33ELi32ELi16El19rocblas_complex_numIfEPKPKS1_PS1_EviT6_lT7_lT5_lS8_lS9_lS7_lT8_i,"axG",@progbits,_ZL26rocblas_hemvn_kernel_lowerILb0ELi64ELi4ELi33ELi32ELi16El19rocblas_complex_numIfEPKPKS1_PS1_EviT6_lT7_lT5_lS8_lS9_lS7_lT8_i,comdat
.Lfunc_end186:
	.size	_ZL26rocblas_hemvn_kernel_lowerILb0ELi64ELi4ELi33ELi32ELi16El19rocblas_complex_numIfEPKPKS1_PS1_EviT6_lT7_lT5_lS8_lS9_lS7_lT8_i, .Lfunc_end186-_ZL26rocblas_hemvn_kernel_lowerILb0ELi64ELi4ELi33ELi32ELi16El19rocblas_complex_numIfEPKPKS1_PS1_EviT6_lT7_lT5_lS8_lS9_lS7_lT8_i
                                        ; -- End function
	.set _ZL26rocblas_hemvn_kernel_lowerILb0ELi64ELi4ELi33ELi32ELi16El19rocblas_complex_numIfEPKPKS1_PS1_EviT6_lT7_lT5_lS8_lS9_lS7_lT8_i.num_vgpr, 117
	.set _ZL26rocblas_hemvn_kernel_lowerILb0ELi64ELi4ELi33ELi32ELi16El19rocblas_complex_numIfEPKPKS1_PS1_EviT6_lT7_lT5_lS8_lS9_lS7_lT8_i.num_agpr, 0
	.set _ZL26rocblas_hemvn_kernel_lowerILb0ELi64ELi4ELi33ELi32ELi16El19rocblas_complex_numIfEPKPKS1_PS1_EviT6_lT7_lT5_lS8_lS9_lS7_lT8_i.numbered_sgpr, 46
	.set _ZL26rocblas_hemvn_kernel_lowerILb0ELi64ELi4ELi33ELi32ELi16El19rocblas_complex_numIfEPKPKS1_PS1_EviT6_lT7_lT5_lS8_lS9_lS7_lT8_i.num_named_barrier, 0
	.set _ZL26rocblas_hemvn_kernel_lowerILb0ELi64ELi4ELi33ELi32ELi16El19rocblas_complex_numIfEPKPKS1_PS1_EviT6_lT7_lT5_lS8_lS9_lS7_lT8_i.private_seg_size, 0
	.set _ZL26rocblas_hemvn_kernel_lowerILb0ELi64ELi4ELi33ELi32ELi16El19rocblas_complex_numIfEPKPKS1_PS1_EviT6_lT7_lT5_lS8_lS9_lS7_lT8_i.uses_vcc, 1
	.set _ZL26rocblas_hemvn_kernel_lowerILb0ELi64ELi4ELi33ELi32ELi16El19rocblas_complex_numIfEPKPKS1_PS1_EviT6_lT7_lT5_lS8_lS9_lS7_lT8_i.uses_flat_scratch, 1
	.set _ZL26rocblas_hemvn_kernel_lowerILb0ELi64ELi4ELi33ELi32ELi16El19rocblas_complex_numIfEPKPKS1_PS1_EviT6_lT7_lT5_lS8_lS9_lS7_lT8_i.has_dyn_sized_stack, 0
	.set _ZL26rocblas_hemvn_kernel_lowerILb0ELi64ELi4ELi33ELi32ELi16El19rocblas_complex_numIfEPKPKS1_PS1_EviT6_lT7_lT5_lS8_lS9_lS7_lT8_i.has_recursion, 0
	.set _ZL26rocblas_hemvn_kernel_lowerILb0ELi64ELi4ELi33ELi32ELi16El19rocblas_complex_numIfEPKPKS1_PS1_EviT6_lT7_lT5_lS8_lS9_lS7_lT8_i.has_indirect_call, 0
	.section	.AMDGPU.csdata,"",@progbits
; Kernel info:
; codeLenInByte = 7888
; TotalNumSgprs: 48
; NumVgprs: 117
; ScratchSize: 0
; MemoryBound: 1
; FloatMode: 240
; IeeeMode: 1
; LDSByteSize: 9600 bytes/workgroup (compile time only)
; SGPRBlocks: 0
; VGPRBlocks: 14
; NumSGPRsForWavesPerEU: 48
; NumVGPRsForWavesPerEU: 117
; Occupancy: 8
; WaveLimiterHint : 1
; COMPUTE_PGM_RSRC2:SCRATCH_EN: 0
; COMPUTE_PGM_RSRC2:USER_SGPR: 6
; COMPUTE_PGM_RSRC2:TRAP_HANDLER: 0
; COMPUTE_PGM_RSRC2:TGID_X_EN: 1
; COMPUTE_PGM_RSRC2:TGID_Y_EN: 0
; COMPUTE_PGM_RSRC2:TGID_Z_EN: 1
; COMPUTE_PGM_RSRC2:TIDIG_COMP_CNT: 1
	.section	.text._ZL26rocblas_hemvn_kernel_lowerILb0ELi64ELi4ELi33ELi32ELi16Ei19rocblas_complex_numIfEPKPKS1_PS1_EviT6_lT7_lT5_lS8_lS9_lS7_lT8_i,"axG",@progbits,_ZL26rocblas_hemvn_kernel_lowerILb0ELi64ELi4ELi33ELi32ELi16Ei19rocblas_complex_numIfEPKPKS1_PS1_EviT6_lT7_lT5_lS8_lS9_lS7_lT8_i,comdat
	.globl	_ZL26rocblas_hemvn_kernel_lowerILb0ELi64ELi4ELi33ELi32ELi16Ei19rocblas_complex_numIfEPKPKS1_PS1_EviT6_lT7_lT5_lS8_lS9_lS7_lT8_i ; -- Begin function _ZL26rocblas_hemvn_kernel_lowerILb0ELi64ELi4ELi33ELi32ELi16Ei19rocblas_complex_numIfEPKPKS1_PS1_EviT6_lT7_lT5_lS8_lS9_lS7_lT8_i
	.p2align	8
	.type	_ZL26rocblas_hemvn_kernel_lowerILb0ELi64ELi4ELi33ELi32ELi16Ei19rocblas_complex_numIfEPKPKS1_PS1_EviT6_lT7_lT5_lS8_lS9_lS7_lT8_i,@function
_ZL26rocblas_hemvn_kernel_lowerILb0ELi64ELi4ELi33ELi32ELi16Ei19rocblas_complex_numIfEPKPKS1_PS1_EviT6_lT7_lT5_lS8_lS9_lS7_lT8_i: ; @_ZL26rocblas_hemvn_kernel_lowerILb0ELi64ELi4ELi33ELi32ELi16Ei19rocblas_complex_numIfEPKPKS1_PS1_EviT6_lT7_lT5_lS8_lS9_lS7_lT8_i
; %bb.0:
	s_load_dwordx2 s[0:1], s[4:5], 0x84
	s_add_u32 s8, s4, 0x78
	s_addc_u32 s9, s5, 0
	s_waitcnt lgkmcnt(0)
	s_lshr_b32 s2, s0, 16
	s_and_b32 s0, s0, 0xffff
	s_and_b32 s1, s1, 0xffff
	s_mul_i32 s0, s2, s0
	s_mul_i32 s0, s0, s1
	s_cmpk_lg_i32 s0, 0x100
	s_cbranch_scc1 .LBB187_104
; %bb.1:
	s_load_dwordx2 s[0:1], s[4:5], 0x4
	v_mov_b32_e32 v2, v1
	s_mov_b32 s14, s7
	s_waitcnt lgkmcnt(0)
	s_or_b32 s0, s0, s1
	s_bitset0_b32 s0, 31
	s_cmp_lg_u32 s0, 0
	s_mov_b32 s0, -1
	s_cbranch_scc1 .LBB187_3
; %bb.2:
	s_load_dwordx2 s[0:1], s[4:5], 0x58
	s_waitcnt lgkmcnt(0)
	v_cmp_eq_f32_e64 s0, s0, 1.0
	v_cmp_eq_f32_e64 s1, s1, 0
	s_and_b32 s0, s0, s1
	s_andn2_b32 vcc_lo, exec_lo, s0
	s_mov_b32 s0, 0
.LBB187_3:
	s_andn2_b32 vcc_lo, exec_lo, s0
	s_cbranch_vccnz .LBB187_104
; %bb.4:
	s_clause 0x1
	s_load_dwordx4 s[0:3], s[4:5], 0x18
	s_load_dwordx4 s[16:19], s[4:5], 0x38
	s_mov_b32 s15, 0
	s_load_dword s11, s[4:5], 0x48
	s_lshl_b64 s[12:13], s[14:15], 3
	s_waitcnt lgkmcnt(0)
	s_add_u32 s0, s0, s12
	s_addc_u32 s1, s1, s13
	s_add_u32 s12, s16, s12
	s_addc_u32 s13, s17, s13
	s_lshl_b64 s[16:17], s[18:19], 3
	s_load_dwordx2 s[12:13], s[12:13], 0x0
	s_load_dword s15, s[4:5], 0x0
	s_load_dword s26, s[8:9], 0x0
	s_load_dwordx2 s[8:9], s[0:1], 0x0
	s_waitcnt lgkmcnt(0)
	s_add_u32 s7, s12, s16
	s_addc_u32 s10, s13, s17
	s_lshl_b32 s16, s6, 6
	s_ashr_i32 s27, s15, 31
	v_add_nc_u32_e32 v35, s16, v0
	s_lshr_b32 s0, s27, 26
	s_add_i32 s12, s26, -1
	s_add_i32 s1, s15, s0
	v_cmp_ne_u32_e64 s0, 0, v2
	v_mul_lo_u32 v3, s11, v35
	s_andn2_b32 s1, s1, 63
	s_sub_i32 s13, s15, s1
	v_cmp_eq_u32_e64 s1, 0, v2
	s_cmp_eq_u32 s6, s12
	s_cselect_b32 s18, s13, 0
	v_ashrrev_i32_e32 v4, 31, v3
	v_lshlrev_b64 v[3:4], 3, v[3:4]
	v_add_co_u32 v19, vcc_lo, s7, v3
	v_add_co_ci_u32_e64 v20, null, s10, v4, vcc_lo
	s_mov_b32 s7, -1
	s_and_saveexec_b32 s10, s1
	s_cbranch_execz .LBB187_9
; %bb.5:
	v_cmp_le_i32_e32 vcc_lo, s18, v0
	s_cmp_lg_u32 s18, 0
	v_lshl_add_u32 v1, v0, 3, 0x2380
	s_cselect_b32 s12, -1, 0
	s_and_b32 s12, s12, vcc_lo
	s_and_saveexec_b32 s13, s12
	s_xor_b32 s12, exec_lo, s13
; %bb.6:
	v_mov_b32_e32 v3, 0
	v_mov_b32_e32 v4, v3
	ds_write_b64 v1, v[3:4]
                                        ; implicit-def: $vgpr1
; %bb.7:
	s_andn2_saveexec_b32 s12, s12
	s_cbranch_execz .LBB187_9
; %bb.8:
	flat_load_dwordx2 v[3:4], v[19:20]
	s_waitcnt vmcnt(0) lgkmcnt(0)
	ds_write_b64 v1, v[3:4]
.LBB187_9:
	s_or_b32 exec_lo, exec_lo, s10
	s_load_dword s12, s[4:5], 0x28
	v_lshl_add_u32 v25, v2, 6, v0
	v_and_b32_e32 v1, 31, v0
	s_lshl_b64 s[2:3], s[2:3], 3
	s_add_u32 s8, s8, s2
	v_lshrrev_b32_e32 v7, 5, v25
	s_addc_u32 s9, s9, s3
	s_ashr_i32 s17, s16, 31
	s_lshl_b64 s[2:3], s[16:17], 3
	s_add_u32 s8, s8, s2
	s_addc_u32 s9, s9, s3
	s_waitcnt lgkmcnt(0)
	v_mad_u64_u32 v[3:4], null, s12, v7, v[1:2]
	s_mul_i32 s2, s12, s16
	s_ashr_i32 s3, s2, 31
	s_lshl_b64 s[20:21], s[2:3], 3
	s_cmp_lg_u32 s18, 0
	v_ashrrev_i32_e32 v4, 31, v3
	s_cselect_b32 s17, -1, 0
	s_cmp_eq_u32 s18, 0
	s_cselect_b32 s10, -1, 0
	v_lshlrev_b64 v[21:22], 3, v[3:4]
	v_add_co_u32 v3, vcc_lo, s8, v21
	v_add_co_ci_u32_e64 v4, null, s9, v22, vcc_lo
	v_add_co_u32 v3, vcc_lo, v3, s20
	v_add_co_ci_u32_e64 v4, null, s21, v4, vcc_lo
	s_and_b32 vcc_lo, exec_lo, s17
	s_cbranch_vccnz .LBB187_11
; %bb.10:
	s_lshl_b32 s2, s12, 3
	s_ashr_i32 s13, s12, 31
	s_ashr_i32 s3, s2, 31
	v_mul_u32_u24_e32 v14, 0x108, v7
	s_lshl_b64 s[2:3], s[2:3], 3
	s_mov_b32 s7, 0
	v_add_co_u32 v5, vcc_lo, v3, s2
	v_add_co_ci_u32_e64 v6, null, s3, v4, vcc_lo
	s_lshl_b64 s[2:3], s[12:13], 6
	v_lshl_add_u32 v14, v1, 3, v14
	v_add_co_u32 v8, vcc_lo, v5, s2
	v_add_co_ci_u32_e64 v9, null, s3, v6, vcc_lo
	v_add_co_u32 v10, vcc_lo, v8, s2
	v_add_co_ci_u32_e64 v11, null, s3, v9, vcc_lo
	s_clause 0x3
	flat_load_dwordx2 v[12:13], v[3:4]
	flat_load_dwordx2 v[5:6], v[5:6]
	;; [unrolled: 1-line block ×4, first 2 shown]
	s_waitcnt vmcnt(3) lgkmcnt(3)
	ds_write_b64 v14, v[12:13]
	s_waitcnt vmcnt(2) lgkmcnt(3)
	ds_write_b64 v14, v[5:6] offset:2112
	s_waitcnt vmcnt(1) lgkmcnt(3)
	ds_write_b64 v14, v[8:9] offset:4224
	;; [unrolled: 2-line block ×3, first 2 shown]
.LBB187_11:
	v_lshlrev_b32_e32 v8, 3, v1
	s_andn2_b32 vcc_lo, exec_lo, s7
	s_cbranch_vccnz .LBB187_29
; %bb.12:
	v_sub_co_u32 v5, vcc_lo, v3, v8
	s_ashr_i32 s19, s18, 31
	v_subrev_co_ci_u32_e64 v6, null, 0, v4, vcc_lo
	s_lshl_b64 s[8:9], s[18:19], 3
	v_cmp_le_i32_e64 s2, s18, v7
	v_add_co_u32 v5, vcc_lo, v5, s8
	v_add_co_ci_u32_e64 v6, null, s9, v6, vcc_lo
	v_mul_u32_u24_e32 v9, 0x108, v7
	v_add_co_u32 v5, vcc_lo, v5, -8
	v_add_co_ci_u32_e64 v6, null, -1, v6, vcc_lo
	v_cmp_gt_i32_e32 vcc_lo, s18, v1
	v_cndmask_b32_e32 v6, v6, v4, vcc_lo
	v_cndmask_b32_e32 v5, v5, v3, vcc_lo
	s_and_saveexec_b32 s3, s2
	s_xor_b32 s2, exec_lo, s3
	s_cbranch_execz .LBB187_14
; %bb.13:
	v_mov_b32_e32 v10, 0
	v_add_nc_u32_e32 v12, v8, v9
	v_mov_b32_e32 v11, v10
	ds_write_b64 v12, v[10:11]
.LBB187_14:
	s_andn2_saveexec_b32 s2, s2
	s_cbranch_execz .LBB187_16
; %bb.15:
	flat_load_dwordx2 v[10:11], v[5:6]
	v_add_nc_u32_e32 v12, v8, v9
	s_waitcnt vmcnt(0) lgkmcnt(0)
	ds_write_b64 v12, v[10:11]
.LBB187_16:
	s_or_b32 exec_lo, exec_lo, s2
	v_add_nc_u32_e32 v10, 8, v7
	v_cmp_le_i32_e64 s2, s18, v10
	s_and_saveexec_b32 s3, s2
	s_xor_b32 s2, exec_lo, s3
	s_cbranch_execz .LBB187_18
; %bb.17:
	v_mov_b32_e32 v10, 0
	v_add_nc_u32_e32 v12, v9, v8
	v_mov_b32_e32 v11, v10
	ds_write_b64 v12, v[10:11] offset:2112
.LBB187_18:
	s_andn2_saveexec_b32 s3, s2
	s_cbranch_execz .LBB187_20
; %bb.19:
	s_lshl_b32 s22, s12, 3
	v_add_nc_u32_e32 v12, v9, v8
	s_ashr_i32 s23, s22, 31
	s_lshl_b64 s[22:23], s[22:23], 3
	v_add_co_u32 v10, s2, v5, s22
	v_add_co_ci_u32_e64 v11, null, s23, v6, s2
	flat_load_dwordx2 v[10:11], v[10:11]
	s_waitcnt vmcnt(0) lgkmcnt(0)
	ds_write_b64 v12, v[10:11] offset:2112
.LBB187_20:
	s_or_b32 exec_lo, exec_lo, s3
	v_add_nc_u32_e32 v10, 16, v7
	v_cmp_le_i32_e64 s2, s18, v10
	s_and_saveexec_b32 s3, s2
	s_xor_b32 s2, exec_lo, s3
	s_cbranch_execz .LBB187_22
; %bb.21:
	v_mov_b32_e32 v10, 0
	v_add_nc_u32_e32 v12, v9, v8
	v_mov_b32_e32 v11, v10
	ds_write_b64 v12, v[10:11] offset:4224
.LBB187_22:
	s_andn2_saveexec_b32 s3, s2
	s_cbranch_execz .LBB187_24
; %bb.23:
	s_lshl_b32 s22, s12, 4
	v_add_nc_u32_e32 v12, v9, v8
	s_ashr_i32 s23, s22, 31
	s_lshl_b64 s[22:23], s[22:23], 3
	v_add_co_u32 v10, s2, v5, s22
	v_add_co_ci_u32_e64 v11, null, s23, v6, s2
	flat_load_dwordx2 v[10:11], v[10:11]
	s_waitcnt vmcnt(0) lgkmcnt(0)
	ds_write_b64 v12, v[10:11] offset:4224
.LBB187_24:
	s_or_b32 exec_lo, exec_lo, s3
	v_add_nc_u32_e32 v10, 24, v7
	v_cmp_le_i32_e64 s2, s18, v10
	s_and_saveexec_b32 s3, s2
	s_xor_b32 s2, exec_lo, s3
	s_cbranch_execz .LBB187_26
; %bb.25:
	v_mov_b32_e32 v10, 0
	v_add_nc_u32_e32 v9, v9, v8
	v_mov_b32_e32 v11, v10
	ds_write_b64 v9, v[10:11] offset:6336
                                        ; implicit-def: $vgpr9
.LBB187_26:
	s_andn2_saveexec_b32 s3, s2
	s_cbranch_execz .LBB187_28
; %bb.27:
	s_mul_i32 s22, s12, 24
	v_add_nc_u32_e32 v9, v9, v8
	s_ashr_i32 s23, s22, 31
	s_lshl_b64 s[22:23], s[22:23], 3
	v_add_co_u32 v10, s2, v5, s22
	v_add_co_ci_u32_e64 v11, null, s23, v6, s2
	flat_load_dwordx2 v[10:11], v[10:11]
	s_waitcnt vmcnt(0) lgkmcnt(0)
	ds_write_b64 v9, v[10:11] offset:6336
.LBB187_28:
	s_or_b32 exec_lo, exec_lo, s3
	v_add_co_u32 v5, s2, v5, v8
	v_add_co_ci_u32_e64 v6, null, 0, v6, s2
	v_sub_co_u32 v5, s2, v5, s8
	v_subrev_co_ci_u32_e64 v6, null, s9, v6, s2
	v_add_co_u32 v5, s2, v5, 8
	v_add_co_ci_u32_e64 v6, null, 0, v6, s2
	v_cndmask_b32_e32 v3, v5, v3, vcc_lo
	v_cndmask_b32_e32 v4, v6, v4, vcc_lo
.LBB187_29:
	v_lshlrev_b32_e32 v5, 2, v7
	v_lshl_or_b32 v6, v1, 8, v8
	v_mad_u32_u24 v10, 0x420, v7, v8
	s_waitcnt lgkmcnt(0)
	s_barrier
	v_cmp_lt_u32_e64 s3, v5, v1
	buffer_gl0_inv
	s_and_saveexec_b32 s2, s3
	s_cbranch_execz .LBB187_31
; %bb.30:
	ds_read_b64 v[11:12], v10
	v_lshl_add_u32 v9, v5, 3, v6
	s_waitcnt lgkmcnt(0)
	ds_write_b64 v9, v[11:12]
.LBB187_31:
	s_or_b32 exec_lo, exec_lo, s2
	v_or_b32_e32 v9, 1, v5
	v_cmp_lt_u32_e64 s7, v9, v1
	v_mad_u32_u24 v11, 0x108, v9, v8
	s_and_saveexec_b32 s2, s7
	s_cbranch_execz .LBB187_33
; %bb.32:
	ds_read_b64 v[12:13], v11
	v_lshl_add_u32 v14, v5, 3, v6
	s_waitcnt lgkmcnt(0)
	ds_write_b64 v14, v[12:13] offset:8
.LBB187_33:
	s_or_b32 exec_lo, exec_lo, s2
	v_or_b32_e32 v12, 2, v5
	v_cmp_lt_u32_e64 s8, v12, v1
	s_and_saveexec_b32 s2, s8
	s_cbranch_execz .LBB187_35
; %bb.34:
	v_mad_u32_u24 v12, 0x108, v12, v8
	v_lshl_add_u32 v14, v5, 3, v6
	ds_read_b64 v[12:13], v12
	s_waitcnt lgkmcnt(0)
	ds_write_b64 v14, v[12:13] offset:16
.LBB187_35:
	s_or_b32 exec_lo, exec_lo, s2
	v_or_b32_e32 v13, 3, v5
	s_mov_b32 s2, exec_lo
                                        ; implicit-def: $vgpr12
	v_cmp_lt_u32_e64 s9, v13, v1
	v_cmpx_ge_u32_e64 v13, v1
	s_xor_b32 s2, exec_lo, s2
; %bb.36:
	v_mul_u32_u24_e32 v12, 0x108, v13
                                        ; implicit-def: $vgpr6
                                        ; implicit-def: $vgpr13
; %bb.37:
	s_andn2_saveexec_b32 s2, s2
	s_cbranch_execz .LBB187_39
; %bb.38:
	v_mad_u32_u24 v12, 0x108, v13, v8
	v_lshl_add_u32 v6, v5, 3, v6
	ds_read_b64 v[14:15], v12
	v_mul_u32_u24_e32 v12, 0x108, v13
	s_waitcnt lgkmcnt(0)
	ds_write_b64 v6, v[14:15] offset:24
.LBB187_39:
	s_or_b32 exec_lo, exec_lo, s2
	v_lshlrev_b32_e32 v6, 3, v5
	s_waitcnt lgkmcnt(0)
	s_barrier
	buffer_gl0_inv
	ds_read_b64 v[17:18], v10
	ds_read_b128 v[13:16], v6 offset:9088
	ds_read2_b64 v[26:29], v11 offset1:33
	v_add_nc_u32_e32 v10, v8, v12
	v_mul_u32_u24_e32 v23, 33, v1
	v_cmp_gt_u32_e64 s2, 32, v25
	ds_read_b128 v[30:33], v6 offset:9104
	ds_read_b64 v[11:12], v10
	v_mov_b32_e32 v37, 0
	s_waitcnt lgkmcnt(0)
	s_barrier
	buffer_gl0_inv
	v_mul_f32_e32 v24, v14, v18
	v_mul_f32_e32 v18, v13, v18
	;; [unrolled: 1-line block ×5, first 2 shown]
	v_fma_f32 v13, v13, v17, -v24
	v_fmac_f32_e32 v18, v14, v17
	v_mul_f32_e32 v29, v30, v29
	v_fma_f32 v15, v15, v26, -v34
	v_fmac_f32_e32 v27, v16, v26
	v_add_f32_e32 v13, 0, v13
	v_add_f32_e32 v16, 0, v18
	v_mul_f32_e32 v14, v33, v12
	v_mul_f32_e32 v12, v32, v12
	v_fma_f32 v17, v30, v28, -v36
	v_fmac_f32_e32 v29, v31, v28
	v_add_f32_e32 v13, v13, v15
	v_add_f32_e32 v15, v16, v27
	v_lshlrev_b32_e32 v26, 3, v23
	v_fma_f32 v14, v32, v11, -v14
	v_fmac_f32_e32 v12, v33, v11
	v_add_f32_e32 v11, v13, v17
	v_add_f32_e32 v13, v15, v29
	v_mov_b32_e32 v36, 0
	v_lshl_add_u32 v27, v7, 3, v26
	v_add_f32_e32 v11, v11, v14
	v_add_f32_e32 v12, v13, v12
	ds_write_b64 v27, v[11:12]
	s_waitcnt lgkmcnt(0)
	s_barrier
	buffer_gl0_inv
	s_and_saveexec_b32 s13, s2
	s_cbranch_execz .LBB187_41
; %bb.40:
	ds_read2_b64 v[11:14], v26 offset1:7
	ds_read2_b64 v[15:18], v26 offset0:1 offset1:2
	ds_read2_b64 v[28:31], v26 offset0:3 offset1:4
	;; [unrolled: 1-line block ×3, first 2 shown]
	s_waitcnt lgkmcnt(2)
	v_add_f32_e32 v11, v15, v11
	v_add_f32_e32 v12, v16, v12
	v_add_f32_e32 v11, v17, v11
	v_add_f32_e32 v12, v18, v12
	s_waitcnt lgkmcnt(1)
	v_add_f32_e32 v11, v11, v28
	v_add_f32_e32 v12, v12, v29
	v_add_f32_e32 v11, v11, v30
	v_add_f32_e32 v12, v12, v31
	;; [unrolled: 5-line block ×3, first 2 shown]
	v_add_f32_e32 v36, v11, v13
	v_add_f32_e32 v37, v12, v14
.LBB187_41:
	s_or_b32 exec_lo, exec_lo, s13
	s_lshl_b32 s22, s12, 5
	v_cndmask_b32_e64 v11, 0, 1, s10
	s_ashr_i32 s23, s22, 31
	s_lshl_b64 s[22:23], s[22:23], 3
	s_barrier
	v_add_co_u32 v3, vcc_lo, v3, s22
	v_add_co_ci_u32_e64 v4, null, s23, v4, vcc_lo
	buffer_gl0_inv
	v_add_co_u32 v12, vcc_lo, 0x100, v3
	v_add_co_ci_u32_e64 v13, null, 0, v4, vcc_lo
	s_andn2_b32 vcc_lo, exec_lo, s10
	s_mov_b32 s10, -1
	s_cbranch_vccnz .LBB187_43
; %bb.42:
	s_lshl_b32 s24, s12, 3
	s_ashr_i32 s13, s12, 31
	s_ashr_i32 s25, s24, 31
	v_mad_u32_u24 v18, 0x108, v7, v8
	s_lshl_b64 s[24:25], s[24:25], 3
	s_mov_b32 s10, 0
	v_add_co_u32 v14, vcc_lo, v3, s24
	v_add_co_ci_u32_e64 v15, null, s25, v4, vcc_lo
	s_lshl_b64 s[24:25], s[12:13], 6
	v_add_co_u32 v16, vcc_lo, v14, s24
	v_add_co_ci_u32_e64 v17, null, s25, v15, vcc_lo
	v_add_co_u32 v23, vcc_lo, v16, s24
	v_add_co_ci_u32_e64 v24, null, s25, v17, vcc_lo
	s_clause 0x3
	flat_load_dwordx2 v[28:29], v[3:4] offset:256
	flat_load_dwordx2 v[14:15], v[14:15] offset:256
	;; [unrolled: 1-line block ×4, first 2 shown]
	s_waitcnt vmcnt(3) lgkmcnt(3)
	ds_write_b64 v18, v[28:29]
	s_waitcnt vmcnt(2) lgkmcnt(3)
	ds_write_b64 v18, v[14:15] offset:2112
	s_waitcnt vmcnt(1) lgkmcnt(3)
	ds_write_b64 v18, v[16:17] offset:4224
	;; [unrolled: 2-line block ×3, first 2 shown]
.LBB187_43:
	s_andn2_b32 vcc_lo, exec_lo, s10
	s_cbranch_vccnz .LBB187_61
; %bb.44:
	v_sub_co_u32 v3, vcc_lo, v3, v8
	s_ashr_i32 s19, s18, 31
	v_subrev_co_ci_u32_e64 v4, null, 0, v4, vcc_lo
	s_lshl_b64 s[24:25], s[18:19], 3
	v_or_b32_e32 v14, 32, v1
	v_add_co_u32 v3, vcc_lo, v3, s24
	v_add_co_ci_u32_e64 v4, null, s25, v4, vcc_lo
	s_sub_i32 s13, s18, 32
	v_add_co_u32 v3, vcc_lo, v3, -8
	v_add_co_ci_u32_e64 v4, null, -1, v4, vcc_lo
	v_cmp_gt_i32_e32 vcc_lo, s18, v14
	v_cmp_le_i32_e64 s10, s13, v7
	v_mul_u32_u24_e32 v14, 0x108, v7
	v_cndmask_b32_e32 v4, v4, v13, vcc_lo
	v_cndmask_b32_e32 v3, v3, v12, vcc_lo
	s_and_saveexec_b32 s19, s10
	s_xor_b32 s10, exec_lo, s19
	s_cbranch_execz .LBB187_46
; %bb.45:
	v_mov_b32_e32 v15, 0
	v_add_nc_u32_e32 v17, v8, v14
	v_mov_b32_e32 v16, v15
	ds_write_b64 v17, v[15:16]
.LBB187_46:
	s_andn2_saveexec_b32 s10, s10
	s_cbranch_execz .LBB187_48
; %bb.47:
	flat_load_dwordx2 v[15:16], v[3:4]
	v_add_nc_u32_e32 v17, v8, v14
	s_waitcnt vmcnt(0) lgkmcnt(0)
	ds_write_b64 v17, v[15:16]
.LBB187_48:
	s_or_b32 exec_lo, exec_lo, s10
	v_add_nc_u32_e32 v15, 8, v7
	v_cmp_le_i32_e64 s10, s13, v15
	s_and_saveexec_b32 s19, s10
	s_xor_b32 s10, exec_lo, s19
	s_cbranch_execz .LBB187_50
; %bb.49:
	v_mov_b32_e32 v15, 0
	v_add_nc_u32_e32 v17, v14, v8
	v_mov_b32_e32 v16, v15
	ds_write_b64 v17, v[15:16] offset:2112
.LBB187_50:
	s_andn2_saveexec_b32 s19, s10
	s_cbranch_execz .LBB187_52
; %bb.51:
	s_lshl_b32 s28, s12, 3
	v_add_nc_u32_e32 v17, v14, v8
	s_ashr_i32 s29, s28, 31
	s_lshl_b64 s[28:29], s[28:29], 3
	v_add_co_u32 v15, s10, v3, s28
	v_add_co_ci_u32_e64 v16, null, s29, v4, s10
	flat_load_dwordx2 v[15:16], v[15:16]
	s_waitcnt vmcnt(0) lgkmcnt(0)
	ds_write_b64 v17, v[15:16] offset:2112
.LBB187_52:
	s_or_b32 exec_lo, exec_lo, s19
	v_add_nc_u32_e32 v15, 16, v7
	v_cmp_le_i32_e64 s10, s13, v15
	s_and_saveexec_b32 s19, s10
	s_xor_b32 s10, exec_lo, s19
	s_cbranch_execz .LBB187_54
; %bb.53:
	v_mov_b32_e32 v15, 0
	v_add_nc_u32_e32 v17, v14, v8
	v_mov_b32_e32 v16, v15
	ds_write_b64 v17, v[15:16] offset:4224
.LBB187_54:
	s_andn2_saveexec_b32 s19, s10
	s_cbranch_execz .LBB187_56
; %bb.55:
	s_lshl_b32 s28, s12, 4
	v_add_nc_u32_e32 v17, v14, v8
	s_ashr_i32 s29, s28, 31
	s_lshl_b64 s[28:29], s[28:29], 3
	v_add_co_u32 v15, s10, v3, s28
	v_add_co_ci_u32_e64 v16, null, s29, v4, s10
	flat_load_dwordx2 v[15:16], v[15:16]
	s_waitcnt vmcnt(0) lgkmcnt(0)
	ds_write_b64 v17, v[15:16] offset:4224
.LBB187_56:
	s_or_b32 exec_lo, exec_lo, s19
	v_add_nc_u32_e32 v15, 24, v7
	v_cmp_le_i32_e64 s10, s13, v15
	s_and_saveexec_b32 s13, s10
	s_xor_b32 s10, exec_lo, s13
	s_cbranch_execz .LBB187_58
; %bb.57:
	v_mov_b32_e32 v15, 0
	v_add_nc_u32_e32 v14, v14, v8
	v_mov_b32_e32 v16, v15
	ds_write_b64 v14, v[15:16] offset:6336
                                        ; implicit-def: $vgpr14
.LBB187_58:
	s_andn2_saveexec_b32 s13, s10
	s_cbranch_execz .LBB187_60
; %bb.59:
	s_mul_i32 s28, s12, 24
	v_add_nc_u32_e32 v14, v14, v8
	s_ashr_i32 s29, s28, 31
	s_lshl_b64 s[28:29], s[28:29], 3
	v_add_co_u32 v15, s10, v3, s28
	v_add_co_ci_u32_e64 v16, null, s29, v4, s10
	flat_load_dwordx2 v[15:16], v[15:16]
	s_waitcnt vmcnt(0) lgkmcnt(0)
	ds_write_b64 v14, v[15:16] offset:6336
.LBB187_60:
	s_or_b32 exec_lo, exec_lo, s13
	v_add_co_u32 v3, s10, v3, v8
	v_add_co_ci_u32_e64 v4, null, 0, v4, s10
	v_sub_co_u32 v3, s10, v3, s24
	v_subrev_co_ci_u32_e64 v4, null, s25, v4, s10
	v_add_co_u32 v3, s10, 0x108, v3
	v_add_co_ci_u32_e64 v4, null, 0, v4, s10
	v_cndmask_b32_e32 v12, v3, v12, vcc_lo
	v_cndmask_b32_e32 v13, v4, v13, vcc_lo
.LBB187_61:
	v_mul_u32_u24_e32 v3, 0x420, v7
	v_add_nc_u32_e32 v6, 0x2380, v6
	v_mul_u32_u24_e32 v4, 0x108, v9
	s_waitcnt lgkmcnt(0)
	s_barrier
	v_add_nc_u32_e32 v3, v8, v3
	buffer_gl0_inv
	s_and_saveexec_b32 s10, s3
	s_cbranch_execnz .LBB187_70
; %bb.62:
	s_or_b32 exec_lo, exec_lo, s10
	v_add_nc_u32_e32 v4, v8, v4
	s_and_saveexec_b32 s3, s7
	s_cbranch_execnz .LBB187_71
.LBB187_63:
	s_or_b32 exec_lo, exec_lo, s3
	s_and_saveexec_b32 s3, s8
	s_cbranch_execnz .LBB187_72
.LBB187_64:
	s_or_b32 exec_lo, exec_lo, s3
	s_and_saveexec_b32 s3, s9
	s_cbranch_execz .LBB187_66
.LBB187_65:
	ds_read_b64 v[14:15], v10
	v_lshl_add_u32 v9, v5, 3, v26
	s_waitcnt lgkmcnt(0)
	ds_write_b64 v9, v[14:15] offset:24
.LBB187_66:
	s_or_b32 exec_lo, exec_lo, s3
	s_waitcnt lgkmcnt(0)
	s_barrier
	buffer_gl0_inv
	ds_read_b64 v[23:24], v3
	ds_read_b128 v[14:17], v6 offset:256
	ds_read2_b64 v[28:31], v4 offset1:33
	ds_read_b128 v[38:41], v6 offset:272
	ds_read_b64 v[3:4], v10
	v_cmp_eq_u32_e64 s3, 1, v7
	s_waitcnt lgkmcnt(0)
	s_barrier
	buffer_gl0_inv
	v_mul_f32_e32 v9, v15, v24
	v_mul_f32_e32 v10, v14, v24
	;; [unrolled: 1-line block ×5, first 2 shown]
	v_fma_f32 v9, v14, v23, -v9
	v_fmac_f32_e32 v10, v15, v23
	v_mul_f32_e32 v31, v38, v31
	v_fma_f32 v15, v16, v28, -v18
	v_fmac_f32_e32 v24, v17, v28
	v_add_f32_e32 v9, 0, v9
	v_add_f32_e32 v10, 0, v10
	v_mul_f32_e32 v14, v41, v4
	v_mul_f32_e32 v4, v40, v4
	v_fma_f32 v16, v38, v30, -v29
	v_fmac_f32_e32 v31, v39, v30
	v_add_f32_e32 v9, v9, v15
	v_add_f32_e32 v10, v10, v24
	v_fma_f32 v14, v40, v3, -v14
	v_fmac_f32_e32 v4, v41, v3
	v_add_f32_e32 v3, v9, v16
	v_add_f32_e32 v9, v10, v31
	;; [unrolled: 1-line block ×4, first 2 shown]
	ds_write_b64 v27, v[3:4]
	s_waitcnt lgkmcnt(0)
	s_barrier
	buffer_gl0_inv
	s_and_saveexec_b32 s7, s3
	s_cbranch_execz .LBB187_68
; %bb.67:
	ds_read2_b64 v[14:17], v26 offset1:7
	ds_read2_b64 v[28:31], v26 offset0:1 offset1:2
	ds_read2_b64 v[36:39], v26 offset0:3 offset1:4
	;; [unrolled: 1-line block ×3, first 2 shown]
	s_waitcnt lgkmcnt(2)
	v_add_f32_e32 v3, v28, v14
	v_add_f32_e32 v4, v29, v15
	v_add_f32_e32 v3, v30, v3
	v_add_f32_e32 v4, v31, v4
	s_waitcnt lgkmcnt(1)
	v_add_f32_e32 v3, v3, v36
	v_add_f32_e32 v4, v4, v37
	v_add_f32_e32 v3, v3, v38
	v_add_f32_e32 v4, v4, v39
	;; [unrolled: 5-line block ×3, first 2 shown]
	v_add_f32_e32 v36, v3, v16
	v_add_f32_e32 v37, v4, v17
.LBB187_68:
	s_or_b32 exec_lo, exec_lo, s7
	v_cmp_ne_u32_e32 vcc_lo, 1, v11
	v_sub_co_u32 v23, s7, v12, s22
	v_subrev_co_ci_u32_e64 v24, null, s23, v13, s7
	s_barrier
	buffer_gl0_inv
	s_cbranch_vccnz .LBB187_73
; %bb.69:
	s_lshl_b32 s8, s12, 3
	s_ashr_i32 s13, s12, 31
	s_ashr_i32 s9, s8, 31
	flat_load_dwordx2 v[10:11], v[23:24]
	s_lshl_b64 s[8:9], s[8:9], 3
	s_movk_i32 s7, 0x840
	v_add_co_u32 v3, vcc_lo, v23, s8
	v_add_co_ci_u32_e64 v4, null, s9, v24, vcc_lo
	s_lshl_b64 s[8:9], s[12:13], 6
	v_mul_u32_u24_e32 v9, 0x108, v7
	v_add_co_u32 v12, vcc_lo, v3, s8
	v_add_co_ci_u32_e64 v13, null, s9, v4, vcc_lo
	v_add_co_u32 v14, vcc_lo, v12, s8
	v_add_co_ci_u32_e64 v15, null, s9, v13, vcc_lo
	s_clause 0x2
	flat_load_dwordx2 v[16:17], v[3:4]
	flat_load_dwordx2 v[28:29], v[12:13]
	;; [unrolled: 1-line block ×3, first 2 shown]
	v_mad_u32_u24 v4, 0x108, v7, s7
	s_movk_i32 s7, 0x18c0
	s_movk_i32 s8, 0x1080
	v_mad_u32_u24 v12, 0x108, v7, v8
	v_mad_u32_u24 v13, 0x108, v7, s7
	;; [unrolled: 1-line block ×3, first 2 shown]
	v_add_nc_u32_e32 v18, v8, v4
	v_add_nc_u32_e32 v31, v8, v13
	;; [unrolled: 1-line block ×3, first 2 shown]
	s_waitcnt vmcnt(3) lgkmcnt(3)
	ds_write_b64 v12, v[10:11]
	v_add_nc_u32_e32 v10, 8, v7
	v_add_nc_u32_e32 v11, 16, v7
	;; [unrolled: 1-line block ×3, first 2 shown]
	s_waitcnt vmcnt(2) lgkmcnt(3)
	ds_write_b64 v18, v[16:17]
	s_waitcnt vmcnt(1) lgkmcnt(3)
	ds_write_b64 v30, v[28:29]
	;; [unrolled: 2-line block ×3, first 2 shown]
	s_cbranch_execz .LBB187_74
	s_branch .LBB187_91
.LBB187_70:
	ds_read_b64 v[14:15], v3
	v_lshl_add_u32 v9, v5, 3, v26
	s_waitcnt lgkmcnt(0)
	ds_write_b64 v9, v[14:15]
	s_or_b32 exec_lo, exec_lo, s10
	v_add_nc_u32_e32 v4, v8, v4
	s_and_saveexec_b32 s3, s7
	s_cbranch_execz .LBB187_63
.LBB187_71:
	ds_read_b64 v[14:15], v4
	v_lshl_add_u32 v9, v5, 3, v26
	s_waitcnt lgkmcnt(0)
	ds_write_b64 v9, v[14:15] offset:8
	s_or_b32 exec_lo, exec_lo, s3
	s_and_saveexec_b32 s3, s8
	s_cbranch_execz .LBB187_64
.LBB187_72:
	ds_read_b64 v[14:15], v4 offset:264
	v_lshl_add_u32 v9, v5, 3, v26
	s_waitcnt lgkmcnt(0)
	ds_write_b64 v9, v[14:15] offset:16
	s_or_b32 exec_lo, exec_lo, s3
	s_and_saveexec_b32 s3, s9
	s_cbranch_execnz .LBB187_65
	s_branch .LBB187_66
.LBB187_73:
                                        ; implicit-def: $vgpr9
                                        ; implicit-def: $vgpr10
                                        ; implicit-def: $vgpr4
                                        ; implicit-def: $vgpr11
                                        ; implicit-def: $vgpr3
                                        ; implicit-def: $vgpr12
                                        ; implicit-def: $vgpr13
.LBB187_74:
	v_or_b32_e32 v1, 32, v1
	s_ashr_i32 s19, s18, 31
	v_cmp_le_i32_e64 s7, s18, v7
	s_lshl_b64 s[8:9], s[18:19], 3
	v_mul_u32_u24_e32 v9, 0x108, v7
	v_lshlrev_b32_e32 v3, 3, v1
	v_sub_co_u32 v3, vcc_lo, v23, v3
	v_subrev_co_ci_u32_e64 v4, null, 0, v24, vcc_lo
	v_add_co_u32 v3, vcc_lo, v3, s8
	v_add_co_ci_u32_e64 v4, null, s9, v4, vcc_lo
	v_add_co_u32 v3, vcc_lo, v3, -8
	v_add_co_ci_u32_e64 v4, null, -1, v4, vcc_lo
	v_cmp_gt_i32_e32 vcc_lo, s18, v1
	v_cndmask_b32_e32 v4, v4, v24, vcc_lo
	v_cndmask_b32_e32 v3, v3, v23, vcc_lo
	s_and_saveexec_b32 s10, s7
	s_xor_b32 s7, exec_lo, s10
	s_cbranch_execz .LBB187_76
; %bb.75:
	v_mov_b32_e32 v10, 0
	v_add_nc_u32_e32 v1, v8, v9
	v_mov_b32_e32 v11, v10
	ds_write_b64 v1, v[10:11]
.LBB187_76:
	s_andn2_saveexec_b32 s7, s7
	s_cbranch_execz .LBB187_78
; %bb.77:
	flat_load_dwordx2 v[10:11], v[3:4]
	v_add_nc_u32_e32 v1, v8, v9
	s_waitcnt vmcnt(0) lgkmcnt(0)
	ds_write_b64 v1, v[10:11]
.LBB187_78:
	s_or_b32 exec_lo, exec_lo, s7
	v_add_nc_u32_e32 v10, 8, v7
	v_cmp_le_i32_e64 s7, s18, v10
	s_and_saveexec_b32 s10, s7
	s_xor_b32 s7, exec_lo, s10
	s_cbranch_execz .LBB187_80
; %bb.79:
	v_mov_b32_e32 v11, 0
	v_add_nc_u32_e32 v1, v9, v8
	v_mov_b32_e32 v12, v11
	ds_write_b64 v1, v[11:12] offset:2112
.LBB187_80:
	s_andn2_saveexec_b32 s10, s7
	s_cbranch_execz .LBB187_82
; %bb.81:
	s_lshl_b32 s22, s12, 3
	v_add_nc_u32_e32 v1, v9, v8
	s_ashr_i32 s23, s22, 31
	s_lshl_b64 s[22:23], s[22:23], 3
	v_add_co_u32 v11, s7, v3, s22
	v_add_co_ci_u32_e64 v12, null, s23, v4, s7
	flat_load_dwordx2 v[11:12], v[11:12]
	s_waitcnt vmcnt(0) lgkmcnt(0)
	ds_write_b64 v1, v[11:12] offset:2112
.LBB187_82:
	s_or_b32 exec_lo, exec_lo, s10
	v_add_nc_u32_e32 v11, 16, v7
	v_cmp_le_i32_e64 s7, s18, v11
	s_and_saveexec_b32 s10, s7
	s_xor_b32 s7, exec_lo, s10
	s_cbranch_execz .LBB187_84
; %bb.83:
	v_mov_b32_e32 v12, 0
	v_add_nc_u32_e32 v1, v9, v8
	v_mov_b32_e32 v13, v12
	ds_write_b64 v1, v[12:13] offset:4224
.LBB187_84:
	s_andn2_saveexec_b32 s10, s7
	s_cbranch_execz .LBB187_86
; %bb.85:
	s_lshl_b32 s22, s12, 4
	v_add_nc_u32_e32 v1, v9, v8
	s_ashr_i32 s23, s22, 31
	s_lshl_b64 s[22:23], s[22:23], 3
	v_add_co_u32 v12, s7, v3, s22
	v_add_co_ci_u32_e64 v13, null, s23, v4, s7
	flat_load_dwordx2 v[12:13], v[12:13]
	s_waitcnt vmcnt(0) lgkmcnt(0)
	ds_write_b64 v1, v[12:13] offset:4224
.LBB187_86:
	s_or_b32 exec_lo, exec_lo, s10
	v_add_nc_u32_e32 v12, 24, v7
                                        ; implicit-def: $vgpr13
	v_cmp_le_i32_e64 s7, s18, v12
	s_and_saveexec_b32 s10, s7
	s_xor_b32 s7, exec_lo, s10
	s_cbranch_execz .LBB187_88
; %bb.87:
	v_add_nc_u32_e32 v13, 0x18c0, v9
	v_mov_b32_e32 v14, 0
	v_add_nc_u32_e32 v1, v8, v13
	v_mov_b32_e32 v15, v14
	ds_write_b64 v1, v[14:15]
.LBB187_88:
	s_andn2_saveexec_b32 s10, s7
	s_cbranch_execz .LBB187_90
; %bb.89:
	s_mul_i32 s22, s12, 24
	s_ashr_i32 s23, s22, 31
	s_lshl_b64 s[22:23], s[22:23], 3
	v_add_co_u32 v13, s7, v3, s22
	v_add_co_ci_u32_e64 v14, null, s23, v4, s7
	flat_load_dwordx2 v[14:15], v[13:14]
	v_add_nc_u32_e32 v13, 0x18c0, v9
	v_add_nc_u32_e32 v1, v8, v13
	s_waitcnt vmcnt(0) lgkmcnt(0)
	ds_write_b64 v1, v[14:15]
.LBB187_90:
	s_or_b32 exec_lo, exec_lo, s10
	v_add_co_u32 v1, s7, v3, v8
	v_add_co_ci_u32_e64 v3, null, 0, v4, s7
	v_add_nc_u32_e32 v4, 0x840, v9
	v_sub_co_u32 v1, s7, v1, s8
	v_subrev_co_ci_u32_e64 v3, null, s9, v3, s7
	v_add_co_u32 v1, s7, 0x108, v1
	v_add_co_ci_u32_e64 v3, null, 0, v3, s7
	v_cndmask_b32_e32 v23, v1, v23, vcc_lo
	v_cndmask_b32_e32 v24, v3, v24, vcc_lo
	v_add_nc_u32_e32 v3, 0x1080, v9
.LBB187_91:
	v_add_nc_u32_e32 v1, v8, v9
	v_lshlrev_b32_e32 v7, 3, v7
	v_add_nc_u32_e32 v4, v8, v4
	v_lshlrev_b32_e32 v9, 3, v10
	v_add_nc_u32_e32 v3, v8, v3
	s_waitcnt lgkmcnt(0)
	s_barrier
	buffer_gl0_inv
	v_lshlrev_b32_e32 v10, 3, v11
	v_add_nc_u32_e32 v8, v8, v13
	v_lshlrev_b32_e32 v11, 3, v12
	ds_read_b64 v[28:29], v1
	ds_read_b64 v[30:31], v7 offset:9088
	ds_read_b64 v[32:33], v4
	ds_read_b64 v[38:39], v9 offset:9088
	;; [unrolled: 2-line block ×3, first 2 shown]
	ds_read2_b32 v[44:45], v8 offset1:1
	ds_read_b64 v[46:47], v11 offset:9088
	v_lshl_add_u32 v1, v5, 3, v26
	ds_read_b128 v[11:14], v6 offset:256
	ds_read_b128 v[3:6], v6 offset:272
	ds_read2_b64 v[15:18], v1 offset1:1
	ds_read2_b64 v[7:10], v1 offset0:2 offset1:3
	s_waitcnt lgkmcnt(0)
	s_barrier
	buffer_gl0_inv
	v_mul_f32_e32 v1, v31, v29
	v_mul_f32_e32 v29, v30, v29
	;; [unrolled: 1-line block ×5, first 2 shown]
	v_fma_f32 v1, v30, v28, -v1
	v_fmac_f32_e32 v29, v31, v28
	v_mul_f32_e32 v28, v42, v41
	v_fma_f32 v30, v38, v32, -v34
	v_fmac_f32_e32 v33, v39, v32
	v_add_f32_e32 v1, 0, v1
	v_add_f32_e32 v29, 0, v29
	v_mul_f32_e32 v49, v47, v45
	v_mul_f32_e32 v31, v46, v45
	v_fma_f32 v32, v42, v40, -v48
	v_fmac_f32_e32 v28, v43, v40
	v_add_f32_e32 v1, v1, v30
	v_add_f32_e32 v29, v29, v33
	v_fma_f32 v30, v46, v44, -v49
	v_fmac_f32_e32 v31, v47, v44
	v_add_f32_e32 v1, v1, v32
	v_add_f32_e32 v29, v29, v28
	;; [unrolled: 1-line block ×4, first 2 shown]
	ds_write_b64 v27, v[28:29]
	s_waitcnt lgkmcnt(0)
	s_barrier
	buffer_gl0_inv
	s_and_saveexec_b32 s7, s3
	s_cbranch_execz .LBB187_93
; %bb.92:
	ds_read2_b64 v[28:31], v26 offset1:1
	ds_read2_b64 v[38:41], v26 offset0:2 offset1:3
	ds_read2_b64 v[42:45], v26 offset0:4 offset1:5
	s_waitcnt lgkmcnt(2)
	v_add_f32_e32 v1, v36, v28
	v_add_f32_e32 v28, v37, v29
	;; [unrolled: 1-line block ×4, first 2 shown]
	ds_read2_b64 v[28:31], v26 offset0:6 offset1:7
	s_waitcnt lgkmcnt(2)
	v_add_f32_e32 v1, v1, v38
	v_add_f32_e32 v32, v32, v39
	v_add_f32_e32 v1, v1, v40
	v_add_f32_e32 v32, v32, v41
	s_waitcnt lgkmcnt(1)
	v_add_f32_e32 v1, v1, v42
	v_add_f32_e32 v32, v32, v43
	v_add_f32_e32 v1, v1, v44
	v_add_f32_e32 v32, v32, v45
	;; [unrolled: 5-line block ×3, first 2 shown]
.LBB187_93:
	s_or_b32 exec_lo, exec_lo, s7
	v_mul_f32_e32 v1, v12, v16
	v_mul_f32_e32 v16, v11, v16
	;; [unrolled: 1-line block ×5, first 2 shown]
	v_fma_f32 v1, v11, v15, -v1
	v_fmac_f32_e32 v16, v12, v15
	v_mul_f32_e32 v8, v3, v8
	v_fma_f32 v12, v13, v17, -v28
	v_fmac_f32_e32 v18, v14, v17
	v_add_f32_e32 v1, 0, v1
	v_add_f32_e32 v13, 0, v16
	v_mul_f32_e32 v11, v6, v10
	v_mul_f32_e32 v10, v5, v10
	v_fma_f32 v3, v3, v7, -v29
	v_add_f32_e32 v1, v1, v12
	v_fmac_f32_e32 v8, v4, v7
	v_add_f32_e32 v4, v13, v18
	v_fma_f32 v5, v5, v9, -v11
	v_fmac_f32_e32 v10, v6, v9
	v_add_f32_e32 v1, v1, v3
	v_add_f32_e32 v4, v4, v8
	s_barrier
	buffer_gl0_inv
	v_add_f32_e32 v3, v1, v5
	v_add_f32_e32 v4, v4, v10
	ds_write_b64 v27, v[3:4]
	s_waitcnt lgkmcnt(0)
	s_barrier
	buffer_gl0_inv
	s_and_saveexec_b32 s3, s2
	s_cbranch_execz .LBB187_95
; %bb.94:
	ds_read2_b64 v[3:6], v26 offset1:1
	ds_read2_b64 v[7:10], v26 offset0:2 offset1:3
	ds_read2_b64 v[11:14], v26 offset0:4 offset1:5
	s_waitcnt lgkmcnt(2)
	v_add_f32_e32 v1, v36, v3
	v_add_f32_e32 v3, v37, v4
	;; [unrolled: 1-line block ×4, first 2 shown]
	ds_read2_b64 v[3:6], v26 offset0:6 offset1:7
	s_waitcnt lgkmcnt(2)
	v_add_f32_e32 v1, v1, v7
	v_add_f32_e32 v7, v15, v8
	v_add_f32_e32 v1, v1, v9
	v_add_f32_e32 v7, v7, v10
	s_waitcnt lgkmcnt(1)
	v_add_f32_e32 v1, v1, v11
	v_add_f32_e32 v7, v7, v12
	v_add_f32_e32 v1, v1, v13
	v_add_f32_e32 v7, v7, v14
	;; [unrolled: 5-line block ×3, first 2 shown]
.LBB187_95:
	s_or_b32 exec_lo, exec_lo, s3
	s_load_dwordx2 s[2:3], s[4:5], 0x68
	s_mul_hi_u32 s4, s15, s14
	s_mul_i32 s27, s27, s14
	s_mul_i32 s5, s15, s14
	s_add_i32 s4, s4, s27
	s_mul_hi_u32 s7, s5, s26
	s_mul_i32 s8, s4, s26
	s_mul_i32 s4, s5, s26
	s_add_i32 s5, s7, s8
	s_mul_i32 s8, s15, s6
	s_lshl_b64 s[4:5], s[4:5], 3
	v_cmp_le_i32_e32 vcc_lo, s18, v0
	v_lshlrev_b32_e32 v72, 3, v0
	s_waitcnt lgkmcnt(0)
	s_barrier
	buffer_gl0_inv
	s_add_u32 s4, s2, s4
	s_addc_u32 s5, s3, s5
	s_ashr_i32 s9, s8, 31
	s_lshl_b64 s[2:3], s[8:9], 3
	s_add_u32 s7, s4, s2
	s_addc_u32 s22, s5, s3
	s_and_b32 vcc_lo, s17, vcc_lo
	s_cmp_lt_i32 s6, 1
	s_cbranch_scc1 .LBB187_102
; %bb.96:
	v_mul_lo_u32 v1, v2, s12
	v_sub_co_u32 v7, s2, v23, s20
	v_subrev_co_ci_u32_e64 v8, null, s21, v24, s2
	s_ashr_i32 s19, s18, 31
	v_add_co_u32 v7, s2, 0xffffff00, v7
	v_lshl_add_u32 v3, v1, 2, v0
	v_add_co_ci_u32_e64 v8, null, -1, v8, s2
	v_sub_co_u32 v7, s2, v7, v21
	v_ashrrev_i32_e32 v4, 31, v3
	v_sub_co_ci_u32_e64 v8, null, v8, v22, s2
	v_lshrrev_b32_e32 v5, 4, v25
	v_and_b32_e32 v6, 15, v0
	v_lshlrev_b64 v[3:4], 3, v[3:4]
	s_mul_i32 s4, s11, s16
	v_mov_b32_e32 v1, 0
	s_ashr_i32 s5, s4, 31
	v_add_nc_u32_e32 v75, 0x2180, v72
	s_lshl_b64 s[4:5], s[4:5], 3
	v_add_co_u32 v3, s2, v7, v3
	v_add_co_ci_u32_e64 v4, null, v8, v4, s2
	v_lshl_add_u32 v76, v2, 5, 0x2180
	v_sub_co_u32 v7, s2, v3, v72
	v_subrev_co_ci_u32_e64 v8, null, 0, v4, s2
	s_lshl_b64 s[2:3], s[18:19], 3
	v_add_nc_u32_e32 v77, 0x2380, v72
	v_add_co_u32 v7, s2, v7, s2
	v_add_co_ci_u32_e64 v8, null, s3, v8, s2
	v_mad_u32_u24 v78, 0x860, v2, v72
	v_add_co_u32 v7, s2, v7, -8
	v_add_co_ci_u32_e64 v8, null, -1, v8, s2
	v_sub_co_u32 v73, s2, v19, s4
	v_cndmask_b32_e32 v38, v3, v7, vcc_lo
	v_cndmask_b32_e32 v39, v4, v8, vcc_lo
	v_and_b32_e32 v3, 48, v0
	v_lshlrev_b32_e32 v4, 5, v5
	v_mul_i32_i24_e32 v5, 0xffffffe8, v5
	v_subrev_co_ci_u32_e64 v74, null, s5, v20, s2
	v_lshlrev_b32_e32 v3, 3, v3
	v_mad_u32_u24 v79, 0x218, v6, v4
	v_or_b32_e32 v4, 0x78, v72
	v_cmp_gt_u32_e64 s2, 64, v25
	s_ashr_i32 s13, s12, 31
	v_mad_u32_u24 v80, 0x218, v6, v3
	v_add_nc_u32_e32 v82, v79, v5
	v_mad_u32_u24 v81, 0x218, v6, v4
	s_lshl_b32 s18, s11, 6
	s_lshl_b64 s[4:5], s[12:13], 3
	s_lshl_b64 s[8:9], s[12:13], 4
	;; [unrolled: 1-line block ×3, first 2 shown]
	s_mul_hi_i32 s19, s12, 24
	s_mul_i32 s20, s12, 24
	s_lshl_b64 s[14:15], s[12:13], 7
	s_mul_hi_i32 s21, s12, 0x90
	s_mul_i32 s23, s12, 0x90
	s_mul_hi_i32 s24, s12, 0x98
	s_mul_i32 s25, s12, 0x98
	s_lshl_b64 s[16:17], s[12:13], 8
	s_mul_hi_i32 s26, s12, 0x110
	s_mul_i32 s27, s12, 0x110
	s_mul_hi_i32 s28, s12, 0x118
	s_mul_i32 s29, s12, 0x118
	;; [unrolled: 2-line block ×8, first 2 shown]
	s_mov_b32 s12, 0
	s_branch .LBB187_98
.LBB187_97:                             ;   in Loop: Header=BB187_98 Depth=1
	s_or_b32 exec_lo, exec_lo, s13
	v_mul_f32_e32 v83, v8, v41
	v_mul_f32_e32 v8, v8, v40
	v_mul_f32_e32 v84, v10, v47
	v_mul_f32_e32 v10, v10, v46
	v_mul_f32_e32 v85, v4, v45
	v_fma_f32 v40, v7, v40, -v83
	v_fmac_f32_e32 v8, v7, v41
	v_fma_f32 v46, v9, v46, -v84
	v_mul_f32_e32 v4, v4, v44
	v_mul_f32_e32 v83, v6, v43
	v_add_f32_e32 v36, v36, v40
	v_fma_f32 v7, v3, v44, -v85
	v_fmac_f32_e32 v10, v9, v47
	v_add_f32_e32 v8, v37, v8
	v_mul_f32_e32 v6, v6, v42
	v_add_f32_e32 v36, v36, v46
	v_mul_f32_e32 v40, v16, v55
	v_fma_f32 v9, v5, v42, -v83
	v_fmac_f32_e32 v4, v3, v45
	v_add_f32_e32 v3, v8, v10
	v_add_f32_e32 v7, v36, v7
	v_mul_f32_e32 v16, v16, v54
	v_mul_f32_e32 v41, v18, v53
	v_fma_f32 v8, v15, v54, -v40
	v_fmac_f32_e32 v6, v5, v43
	v_add_f32_e32 v7, v7, v9
	v_add_f32_e32 v3, v3, v4
	v_mul_f32_e32 v18, v18, v52
	v_mul_f32_e32 v9, v12, v51
	v_fma_f32 v4, v17, v52, -v41
	v_add_f32_e32 v5, v7, v8
	v_fmac_f32_e32 v16, v15, v55
	v_add_f32_e32 v3, v3, v6
	v_mul_f32_e32 v7, v14, v49
	v_fma_f32 v6, v11, v50, -v9
	v_add_f32_e32 v4, v5, v4
	v_mul_f32_e32 v5, v12, v50
	v_fmac_f32_e32 v18, v17, v53
	v_add_f32_e32 v3, v3, v16
	v_fma_f32 v7, v13, v48, -v7
	v_add_f32_e32 v4, v4, v6
	v_mul_f32_e32 v6, v24, v63
	v_fmac_f32_e32 v5, v11, v51
	v_add_f32_e32 v3, v3, v18
	v_mul_f32_e32 v8, v14, v48
	v_add_f32_e32 v4, v4, v7
	v_fma_f32 v6, v23, v62, -v6
	v_mul_f32_e32 v7, v26, v61
	v_add_f32_e32 v3, v3, v5
	v_fmac_f32_e32 v8, v13, v49
	v_mul_f32_e32 v5, v24, v62
	v_add_f32_e32 v4, v4, v6
	v_fma_f32 v6, v25, v60, -v7
	v_mul_f32_e32 v7, v20, v59
	v_add_f32_e32 v3, v3, v8
	v_fmac_f32_e32 v5, v23, v63
	;; [unrolled: 6-line block ×4, first 2 shown]
	v_mul_f32_e32 v8, v22, v56
	v_add_f32_e32 v4, v4, v6
	v_mul_f32_e32 v6, v34, v69
	v_mul_f32_e32 v9, v30, v64
	v_add_f32_e32 v3, v3, v5
	v_fma_f32 v5, v31, v70, -v7
	v_fmac_f32_e32 v8, v21, v57
	v_mul_f32_e32 v7, v32, v70
	v_fmac_f32_e32 v9, v29, v65
	v_add_co_u32 v38, s3, v38, s10
	v_add_f32_e32 v4, v4, v5
	v_fma_f32 v5, v33, v68, -v6
	v_add_f32_e32 v3, v3, v8
	v_mul_f32_e32 v6, v34, v68
	v_fmac_f32_e32 v7, v31, v71
	v_mul_f32_e32 v8, v28, v67
	v_add_f32_e32 v4, v4, v5
	v_mul_f32_e32 v5, v28, v66
	v_fmac_f32_e32 v6, v33, v69
	v_add_f32_e32 v3, v3, v7
	v_fma_f32 v7, v27, v66, -v8
	v_mul_f32_e32 v8, v30, v65
	v_fmac_f32_e32 v5, v27, v67
	v_add_co_ci_u32_e64 v39, null, s11, v39, s3
	v_add_f32_e32 v3, v3, v6
	v_add_f32_e32 v4, v4, v7
	v_fma_f32 v6, v29, v64, -v8
	v_add_nc_u32_e32 v0, 64, v0
	s_add_i32 s6, s6, -1
	v_add_f32_e32 v3, v3, v5
	s_add_i32 s12, s12, s18
	v_add_f32_e32 v36, v4, v6
	s_cmp_eq_u32 s6, 0
	s_waitcnt_vscnt null, 0x0
	v_add_f32_e32 v37, v3, v9
	s_barrier
	buffer_gl0_inv
	s_cbranch_scc1 .LBB187_102
.LBB187_98:                             ; =>This Inner Loop Header: Depth=1
	s_and_saveexec_b32 s43, s1
	s_cbranch_execz .LBB187_100
; %bb.99:                               ;   in Loop: Header=BB187_98 Depth=1
	s_ashr_i32 s13, s12, 31
	s_lshl_b64 s[44:45], s[12:13], 3
	v_add_co_u32 v3, s3, v73, s44
	v_add_co_ci_u32_e64 v4, null, s45, v74, s3
	flat_load_dwordx2 v[3:4], v[3:4]
	s_waitcnt vmcnt(0) lgkmcnt(0)
	ds_write_b64 v75, v[3:4]
.LBB187_100:                            ;   in Loop: Header=BB187_98 Depth=1
	s_or_b32 exec_lo, exec_lo, s43
	v_add_co_u32 v3, s3, v38, s4
	v_add_co_ci_u32_e64 v4, null, s5, v39, s3
	v_add_co_u32 v5, s3, v38, s8
	v_add_co_ci_u32_e64 v6, null, s9, v39, s3
	;; [unrolled: 2-line block ×3, first 2 shown]
	s_waitcnt lgkmcnt(0)
	s_barrier
	buffer_gl0_inv
	s_clause 0x3
	flat_load_dwordx2 v[40:41], v[38:39]
	flat_load_dwordx2 v[46:47], v[3:4]
	;; [unrolled: 1-line block ×4, first 2 shown]
	ds_read_b64 v[11:12], v77
	ds_read_b128 v[7:10], v76
	ds_read_b128 v[3:6], v76 offset:16
	v_add_co_u32 v13, s3, v38, s14
	v_add_co_ci_u32_e64 v14, null, s15, v39, s3
	v_add_co_u32 v17, s3, v38, s42
	v_add_co_ci_u32_e64 v18, null, s41, v39, s3
	s_waitcnt vmcnt(2) lgkmcnt(2)
	v_mul_f32_e32 v19, v12, v47
	v_mul_f32_e32 v15, v12, v41
	;; [unrolled: 1-line block ×4, first 2 shown]
	s_waitcnt vmcnt(1)
	v_mul_f32_e32 v21, v12, v45
	v_mul_f32_e32 v22, v12, v44
	s_waitcnt vmcnt(0)
	v_mul_f32_e32 v23, v12, v43
	v_mul_f32_e32 v24, v11, v43
	v_fma_f32 v15, v11, v40, -v15
	v_fmac_f32_e32 v16, v11, v41
	v_fma_f32 v19, v11, v46, -v19
	v_fmac_f32_e32 v20, v11, v47
	;; [unrolled: 2-line block ×4, first 2 shown]
	v_add_co_u32 v11, s3, v38, s23
	v_add_co_ci_u32_e64 v12, null, s21, v39, s3
	ds_write2_b64 v78, v[15:16], v[19:20] offset1:67
	ds_write2_b64 v78, v[21:22], v[23:24] offset0:134 offset1:201
	s_waitcnt lgkmcnt(0)
	s_barrier
	buffer_gl0_inv
	ds_read2_b64 v[83:86], v79 offset1:1
	ds_read2_b64 v[87:90], v79 offset0:2 offset1:3
	s_waitcnt lgkmcnt(0)
	s_barrier
	buffer_gl0_inv
	flat_load_dwordx2 v[54:55], v[13:14]
	v_add_co_u32 v13, s3, v38, s25
	v_add_co_ci_u32_e64 v14, null, s24, v39, s3
	s_clause 0x2
	flat_load_dwordx2 v[52:53], v[17:18]
	flat_load_dwordx2 v[50:51], v[11:12]
	flat_load_dwordx2 v[48:49], v[13:14]
	ds_read_b64 v[11:12], v77
	v_add_co_u32 v19, s3, v38, s16
	v_add_co_ci_u32_e64 v20, null, s17, v39, s3
	v_add_co_u32 v21, s3, v38, s40
	v_add_co_ci_u32_e64 v22, null, s39, v39, s3
	;; [unrolled: 2-line block ×4, first 2 shown]
	v_add_f32_e32 v83, 0, v83
	v_add_f32_e32 v84, 0, v84
	;; [unrolled: 1-line block ×8, first 2 shown]
	s_waitcnt vmcnt(3) lgkmcnt(0)
	v_mul_f32_e32 v13, v12, v55
	v_mul_f32_e32 v26, v12, v54
	s_waitcnt vmcnt(2)
	v_mul_f32_e32 v14, v12, v53
	v_mul_f32_e32 v28, v12, v52
	s_waitcnt vmcnt(1)
	;; [unrolled: 3-line block ×3, first 2 shown]
	v_mul_f32_e32 v16, v12, v49
	v_mul_f32_e32 v32, v11, v49
	v_fma_f32 v25, v11, v54, -v13
	v_fmac_f32_e32 v26, v11, v55
	v_fma_f32 v27, v11, v52, -v14
	v_fmac_f32_e32 v28, v11, v53
	;; [unrolled: 2-line block ×4, first 2 shown]
	ds_read_b128 v[15:18], v76 offset:128
	ds_read_b128 v[11:14], v76 offset:144
	ds_write2_b64 v78, v[25:26], v[27:28] offset1:67
	ds_write2_b64 v78, v[29:30], v[31:32] offset0:134 offset1:201
	s_waitcnt lgkmcnt(0)
	s_barrier
	buffer_gl0_inv
	ds_read2_b64 v[91:94], v79 offset1:1
	ds_read2_b64 v[95:98], v79 offset0:2 offset1:3
	s_waitcnt lgkmcnt(0)
	s_barrier
	buffer_gl0_inv
	s_clause 0x3
	flat_load_dwordx2 v[62:63], v[19:20]
	flat_load_dwordx2 v[60:61], v[21:22]
	;; [unrolled: 1-line block ×4, first 2 shown]
	ds_read_b64 v[19:20], v77
	v_add_co_u32 v27, s3, v38, s31
	v_add_co_ci_u32_e64 v28, null, s30, v39, s3
	v_add_co_u32 v29, s3, v38, s38
	v_add_co_ci_u32_e64 v30, null, s37, v39, s3
	;; [unrolled: 2-line block ×3, first 2 shown]
	v_add_f32_e32 v91, 0, v91
	v_add_f32_e32 v92, 0, v92
	;; [unrolled: 1-line block ×8, first 2 shown]
	s_waitcnt vmcnt(3) lgkmcnt(0)
	v_mul_f32_e32 v21, v20, v63
	v_mul_f32_e32 v32, v20, v62
	s_waitcnt vmcnt(2)
	v_mul_f32_e32 v22, v20, v61
	v_mul_f32_e32 v34, v20, v60
	s_waitcnt vmcnt(1)
	v_mul_f32_e32 v23, v20, v59
	s_waitcnt vmcnt(0)
	v_mul_f32_e32 v24, v20, v57
	v_mul_f32_e32 v65, v20, v58
	;; [unrolled: 1-line block ×3, first 2 shown]
	v_fma_f32 v31, v19, v62, -v21
	v_fma_f32 v33, v19, v60, -v22
	v_fmac_f32_e32 v32, v19, v63
	v_fmac_f32_e32 v34, v19, v61
	v_fma_f32 v64, v19, v58, -v23
	v_fma_f32 v66, v19, v56, -v24
	v_fmac_f32_e32 v65, v19, v59
	v_fmac_f32_e32 v67, v20, v56
	ds_read_b128 v[23:26], v76 offset:256
	ds_read_b128 v[19:22], v76 offset:272
	ds_write2_b64 v78, v[31:32], v[33:34] offset1:67
	ds_write2_b64 v78, v[64:65], v[66:67] offset0:134 offset1:201
	s_waitcnt lgkmcnt(0)
	s_barrier
	buffer_gl0_inv
	ds_read2_b64 v[99:102], v79 offset1:1
	ds_read2_b64 v[103:106], v79 offset0:2 offset1:3
	s_waitcnt lgkmcnt(0)
	s_barrier
	buffer_gl0_inv
	flat_load_dwordx2 v[70:71], v[27:28]
	v_add_co_u32 v27, s3, v38, s36
	v_add_co_ci_u32_e64 v28, null, s35, v39, s3
	s_clause 0x2
	flat_load_dwordx2 v[68:69], v[29:30]
	flat_load_dwordx2 v[66:67], v[107:108]
	;; [unrolled: 1-line block ×3, first 2 shown]
	ds_read_b64 v[27:28], v77
	v_add_f32_e32 v91, 0, v99
	v_add_f32_e32 v92, 0, v100
	;; [unrolled: 1-line block ×6, first 2 shown]
	s_waitcnt vmcnt(3) lgkmcnt(0)
	v_mul_f32_e32 v29, v28, v71
	v_mul_f32_e32 v108, v28, v70
	s_waitcnt vmcnt(2)
	v_mul_f32_e32 v30, v28, v69
	v_mul_f32_e32 v110, v28, v68
	s_waitcnt vmcnt(1)
	v_mul_f32_e32 v31, v28, v67
	v_mul_f32_e32 v112, v28, v66
	s_waitcnt vmcnt(0)
	v_mul_f32_e32 v32, v28, v65
	v_mul_f32_e32 v114, v27, v65
	v_fma_f32 v107, v27, v70, -v29
	v_fma_f32 v109, v27, v68, -v30
	v_fmac_f32_e32 v108, v27, v71
	v_fmac_f32_e32 v110, v27, v69
	v_fma_f32 v111, v27, v66, -v31
	v_fma_f32 v113, v27, v64, -v32
	v_fmac_f32_e32 v112, v27, v67
	v_fmac_f32_e32 v114, v28, v64
	ds_read_b128 v[31:34], v76 offset:384
	ds_read_b128 v[27:30], v76 offset:400
	ds_write2_b64 v78, v[107:108], v[109:110] offset1:67
	ds_write2_b64 v78, v[111:112], v[113:114] offset0:134 offset1:201
	s_waitcnt lgkmcnt(0)
	s_barrier
	buffer_gl0_inv
	ds_read2_b64 v[107:110], v79 offset1:1
	ds_read2_b64 v[83:86], v79 offset0:2 offset1:3
	s_waitcnt lgkmcnt(0)
	s_barrier
	buffer_gl0_inv
	v_add_f32_e32 v93, 0, v107
	v_add_f32_e32 v94, 0, v108
	;; [unrolled: 1-line block ×10, first 2 shown]
	ds_write2_b64 v82, v[87:88], v[89:90] offset1:16
	ds_write2_b64 v82, v[83:84], v[85:86] offset0:32 offset1:48
	s_waitcnt lgkmcnt(0)
	s_barrier
	buffer_gl0_inv
	s_and_saveexec_b32 s13, s2
	s_cbranch_execz .LBB187_97
; %bb.101:                              ;   in Loop: Header=BB187_98 Depth=1
	ds_read_b64 v[95:96], v80
	ds_read2_b64 v[83:86], v80 offset0:1 offset1:2
	ds_read2_b64 v[87:90], v80 offset0:3 offset1:4
	;; [unrolled: 1-line block ×3, first 2 shown]
	s_waitcnt lgkmcnt(2)
	v_add_f32_e32 v83, v83, v95
	v_add_f32_e32 v84, v84, v96
	v_add_f32_e32 v95, v85, v83
	v_add_f32_e32 v96, v86, v84
	ds_read2_b64 v[83:86], v80 offset0:7 offset1:8
	s_waitcnt lgkmcnt(2)
	v_add_f32_e32 v87, v95, v87
	v_add_f32_e32 v88, v96, v88
	v_add_f32_e32 v95, v87, v89
	v_add_f32_e32 v96, v88, v90
	ds_read2_b64 v[87:90], v80 offset0:9 offset1:10
	s_waitcnt lgkmcnt(2)
	v_add_f32_e32 v91, v95, v91
	v_add_f32_e32 v92, v96, v92
	v_add_f32_e32 v95, v91, v93
	v_add_f32_e32 v96, v92, v94
	ds_read2_b64 v[91:94], v80 offset0:11 offset1:12
	s_waitcnt lgkmcnt(2)
	v_add_f32_e32 v83, v95, v83
	v_add_f32_e32 v84, v96, v84
	v_add_f32_e32 v95, v83, v85
	v_add_f32_e32 v96, v84, v86
	ds_read2_b64 v[83:86], v80 offset0:13 offset1:14
	s_waitcnt lgkmcnt(2)
	v_add_f32_e32 v87, v95, v87
	v_add_f32_e32 v88, v96, v88
	;; [unrolled: 1-line block ×4, first 2 shown]
	ds_read_b64 v[87:88], v81
	s_waitcnt lgkmcnt(2)
	v_add_f32_e32 v89, v89, v91
	v_add_f32_e32 v90, v90, v92
	;; [unrolled: 1-line block ×4, first 2 shown]
	s_waitcnt lgkmcnt(1)
	v_add_f32_e32 v83, v89, v83
	v_add_f32_e32 v84, v90, v84
	;; [unrolled: 1-line block ×4, first 2 shown]
	v_lshlrev_b64 v[83:84], 3, v[0:1]
	s_waitcnt lgkmcnt(0)
	v_add_f32_e32 v85, v85, v87
	v_add_f32_e32 v86, v86, v88
	v_add_co_u32 v83, s3, s7, v83
	v_add_co_ci_u32_e64 v84, null, s22, v84, s3
	global_store_dwordx2 v[83:84], v[85:86], off
	s_branch .LBB187_97
.LBB187_102:
	v_mad_u32_u24 v0, 0x218, v2, v72
	s_nor_b32 s0, s0, vcc_lo
	ds_write_b64 v0, v[36:37]
	s_waitcnt lgkmcnt(0)
	s_barrier
	buffer_gl0_inv
	s_and_saveexec_b32 s1, s0
	s_cbranch_execz .LBB187_104
; %bb.103:
	ds_read2_b64 v[0:3], v72 offset1:67
	ds_read2_b64 v[4:7], v72 offset0:134 offset1:201
	v_ashrrev_i32_e32 v36, 31, v35
	s_waitcnt lgkmcnt(1)
	v_add_f32_e32 v0, v2, v0
	v_add_f32_e32 v1, v3, v1
	s_waitcnt lgkmcnt(0)
	v_add_f32_e32 v2, v4, v0
	v_add_f32_e32 v3, v5, v1
	v_lshlrev_b64 v[0:1], 3, v[35:36]
	v_add_f32_e32 v2, v2, v6
	v_add_f32_e32 v3, v3, v7
	v_add_co_u32 v0, vcc_lo, s7, v0
	v_add_co_ci_u32_e64 v1, null, s22, v1, vcc_lo
	global_store_dwordx2 v[0:1], v[2:3], off
.LBB187_104:
	s_endpgm
	.section	.rodata,"a",@progbits
	.p2align	6, 0x0
	.amdhsa_kernel _ZL26rocblas_hemvn_kernel_lowerILb0ELi64ELi4ELi33ELi32ELi16Ei19rocblas_complex_numIfEPKPKS1_PS1_EviT6_lT7_lT5_lS8_lS9_lS7_lT8_i
		.amdhsa_group_segment_fixed_size 9600
		.amdhsa_private_segment_fixed_size 0
		.amdhsa_kernarg_size 376
		.amdhsa_user_sgpr_count 6
		.amdhsa_user_sgpr_private_segment_buffer 1
		.amdhsa_user_sgpr_dispatch_ptr 0
		.amdhsa_user_sgpr_queue_ptr 0
		.amdhsa_user_sgpr_kernarg_segment_ptr 1
		.amdhsa_user_sgpr_dispatch_id 0
		.amdhsa_user_sgpr_flat_scratch_init 0
		.amdhsa_user_sgpr_private_segment_size 0
		.amdhsa_wavefront_size32 1
		.amdhsa_uses_dynamic_stack 0
		.amdhsa_system_sgpr_private_segment_wavefront_offset 0
		.amdhsa_system_sgpr_workgroup_id_x 1
		.amdhsa_system_sgpr_workgroup_id_y 0
		.amdhsa_system_sgpr_workgroup_id_z 1
		.amdhsa_system_sgpr_workgroup_info 0
		.amdhsa_system_vgpr_workitem_id 1
		.amdhsa_next_free_vgpr 115
		.amdhsa_next_free_sgpr 46
		.amdhsa_reserve_vcc 1
		.amdhsa_reserve_flat_scratch 1
		.amdhsa_float_round_mode_32 0
		.amdhsa_float_round_mode_16_64 0
		.amdhsa_float_denorm_mode_32 3
		.amdhsa_float_denorm_mode_16_64 3
		.amdhsa_dx10_clamp 1
		.amdhsa_ieee_mode 1
		.amdhsa_fp16_overflow 0
		.amdhsa_workgroup_processor_mode 1
		.amdhsa_memory_ordered 1
		.amdhsa_forward_progress 1
		.amdhsa_shared_vgpr_count 0
		.amdhsa_exception_fp_ieee_invalid_op 0
		.amdhsa_exception_fp_denorm_src 0
		.amdhsa_exception_fp_ieee_div_zero 0
		.amdhsa_exception_fp_ieee_overflow 0
		.amdhsa_exception_fp_ieee_underflow 0
		.amdhsa_exception_fp_ieee_inexact 0
		.amdhsa_exception_int_div_zero 0
	.end_amdhsa_kernel
	.section	.text._ZL26rocblas_hemvn_kernel_lowerILb0ELi64ELi4ELi33ELi32ELi16Ei19rocblas_complex_numIfEPKPKS1_PS1_EviT6_lT7_lT5_lS8_lS9_lS7_lT8_i,"axG",@progbits,_ZL26rocblas_hemvn_kernel_lowerILb0ELi64ELi4ELi33ELi32ELi16Ei19rocblas_complex_numIfEPKPKS1_PS1_EviT6_lT7_lT5_lS8_lS9_lS7_lT8_i,comdat
.Lfunc_end187:
	.size	_ZL26rocblas_hemvn_kernel_lowerILb0ELi64ELi4ELi33ELi32ELi16Ei19rocblas_complex_numIfEPKPKS1_PS1_EviT6_lT7_lT5_lS8_lS9_lS7_lT8_i, .Lfunc_end187-_ZL26rocblas_hemvn_kernel_lowerILb0ELi64ELi4ELi33ELi32ELi16Ei19rocblas_complex_numIfEPKPKS1_PS1_EviT6_lT7_lT5_lS8_lS9_lS7_lT8_i
                                        ; -- End function
	.set _ZL26rocblas_hemvn_kernel_lowerILb0ELi64ELi4ELi33ELi32ELi16Ei19rocblas_complex_numIfEPKPKS1_PS1_EviT6_lT7_lT5_lS8_lS9_lS7_lT8_i.num_vgpr, 115
	.set _ZL26rocblas_hemvn_kernel_lowerILb0ELi64ELi4ELi33ELi32ELi16Ei19rocblas_complex_numIfEPKPKS1_PS1_EviT6_lT7_lT5_lS8_lS9_lS7_lT8_i.num_agpr, 0
	.set _ZL26rocblas_hemvn_kernel_lowerILb0ELi64ELi4ELi33ELi32ELi16Ei19rocblas_complex_numIfEPKPKS1_PS1_EviT6_lT7_lT5_lS8_lS9_lS7_lT8_i.numbered_sgpr, 46
	.set _ZL26rocblas_hemvn_kernel_lowerILb0ELi64ELi4ELi33ELi32ELi16Ei19rocblas_complex_numIfEPKPKS1_PS1_EviT6_lT7_lT5_lS8_lS9_lS7_lT8_i.num_named_barrier, 0
	.set _ZL26rocblas_hemvn_kernel_lowerILb0ELi64ELi4ELi33ELi32ELi16Ei19rocblas_complex_numIfEPKPKS1_PS1_EviT6_lT7_lT5_lS8_lS9_lS7_lT8_i.private_seg_size, 0
	.set _ZL26rocblas_hemvn_kernel_lowerILb0ELi64ELi4ELi33ELi32ELi16Ei19rocblas_complex_numIfEPKPKS1_PS1_EviT6_lT7_lT5_lS8_lS9_lS7_lT8_i.uses_vcc, 1
	.set _ZL26rocblas_hemvn_kernel_lowerILb0ELi64ELi4ELi33ELi32ELi16Ei19rocblas_complex_numIfEPKPKS1_PS1_EviT6_lT7_lT5_lS8_lS9_lS7_lT8_i.uses_flat_scratch, 1
	.set _ZL26rocblas_hemvn_kernel_lowerILb0ELi64ELi4ELi33ELi32ELi16Ei19rocblas_complex_numIfEPKPKS1_PS1_EviT6_lT7_lT5_lS8_lS9_lS7_lT8_i.has_dyn_sized_stack, 0
	.set _ZL26rocblas_hemvn_kernel_lowerILb0ELi64ELi4ELi33ELi32ELi16Ei19rocblas_complex_numIfEPKPKS1_PS1_EviT6_lT7_lT5_lS8_lS9_lS7_lT8_i.has_recursion, 0
	.set _ZL26rocblas_hemvn_kernel_lowerILb0ELi64ELi4ELi33ELi32ELi16Ei19rocblas_complex_numIfEPKPKS1_PS1_EviT6_lT7_lT5_lS8_lS9_lS7_lT8_i.has_indirect_call, 0
	.section	.AMDGPU.csdata,"",@progbits
; Kernel info:
; codeLenInByte = 7800
; TotalNumSgprs: 48
; NumVgprs: 115
; ScratchSize: 0
; MemoryBound: 1
; FloatMode: 240
; IeeeMode: 1
; LDSByteSize: 9600 bytes/workgroup (compile time only)
; SGPRBlocks: 0
; VGPRBlocks: 14
; NumSGPRsForWavesPerEU: 48
; NumVGPRsForWavesPerEU: 115
; Occupancy: 8
; WaveLimiterHint : 1
; COMPUTE_PGM_RSRC2:SCRATCH_EN: 0
; COMPUTE_PGM_RSRC2:USER_SGPR: 6
; COMPUTE_PGM_RSRC2:TRAP_HANDLER: 0
; COMPUTE_PGM_RSRC2:TGID_X_EN: 1
; COMPUTE_PGM_RSRC2:TGID_Y_EN: 0
; COMPUTE_PGM_RSRC2:TGID_Z_EN: 1
; COMPUTE_PGM_RSRC2:TIDIG_COMP_CNT: 1
	.section	.text._ZL26rocblas_hemvn_kernel_upperILb0ELi64ELi4ELi33ELi32ELi16ElPK19rocblas_complex_numIdEPKS3_PS1_EviT6_lT7_lT5_lS8_lS9_lS7_lT8_i,"axG",@progbits,_ZL26rocblas_hemvn_kernel_upperILb0ELi64ELi4ELi33ELi32ELi16ElPK19rocblas_complex_numIdEPKS3_PS1_EviT6_lT7_lT5_lS8_lS9_lS7_lT8_i,comdat
	.globl	_ZL26rocblas_hemvn_kernel_upperILb0ELi64ELi4ELi33ELi32ELi16ElPK19rocblas_complex_numIdEPKS3_PS1_EviT6_lT7_lT5_lS8_lS9_lS7_lT8_i ; -- Begin function _ZL26rocblas_hemvn_kernel_upperILb0ELi64ELi4ELi33ELi32ELi16ElPK19rocblas_complex_numIdEPKS3_PS1_EviT6_lT7_lT5_lS8_lS9_lS7_lT8_i
	.p2align	8
	.type	_ZL26rocblas_hemvn_kernel_upperILb0ELi64ELi4ELi33ELi32ELi16ElPK19rocblas_complex_numIdEPKS3_PS1_EviT6_lT7_lT5_lS8_lS9_lS7_lT8_i,@function
_ZL26rocblas_hemvn_kernel_upperILb0ELi64ELi4ELi33ELi32ELi16ElPK19rocblas_complex_numIdEPKS3_PS1_EviT6_lT7_lT5_lS8_lS9_lS7_lT8_i: ; @_ZL26rocblas_hemvn_kernel_upperILb0ELi64ELi4ELi33ELi32ELi16ElPK19rocblas_complex_numIdEPKS3_PS1_EviT6_lT7_lT5_lS8_lS9_lS7_lT8_i
; %bb.0:
	s_load_dwordx2 s[0:1], s[4:5], 0x84
	s_add_u32 s16, s4, 0x78
	s_addc_u32 s17, s5, 0
	s_waitcnt lgkmcnt(0)
	s_lshr_b32 s2, s0, 16
	s_and_b32 s0, s0, 0xffff
	s_and_b32 s1, s1, 0xffff
	s_mul_i32 s0, s2, s0
	s_mul_i32 s0, s0, s1
	s_cmpk_lg_i32 s0, 0x100
	s_cbranch_scc1 .LBB188_155
; %bb.1:
	s_load_dwordx8 s[8:15], s[4:5], 0x8
	s_mov_b32 s18, s7
	s_mov_b32 s19, 0
	s_waitcnt lgkmcnt(0)
	s_mul_i32 s1, s11, s7
	s_mul_hi_u32 s2, s10, s7
	s_mul_i32 s0, s10, s7
	s_add_i32 s1, s2, s1
	s_lshl_b64 s[0:1], s[0:1], 4
	s_add_u32 s0, s8, s0
	s_addc_u32 s1, s9, s1
	s_load_dwordx4 s[0:3], s[0:1], 0x0
	s_waitcnt lgkmcnt(0)
	v_cmp_neq_f64_e64 s7, s[0:1], 0
	v_cmp_neq_f64_e64 s8, s[2:3], 0
	s_clause 0x1
	s_load_dwordx2 s[20:21], s[4:5], 0x68
	s_load_dwordx4 s[0:3], s[4:5], 0x58
	s_or_b32 s7, s7, s8
	s_and_b32 vcc_lo, exec_lo, s7
	s_mov_b32 s7, -1
	s_cbranch_vccnz .LBB188_3
; %bb.2:
	s_waitcnt lgkmcnt(0)
	s_mul_i32 s3, s3, s18
	s_mul_hi_u32 s7, s2, s18
	s_mul_i32 s2, s2, s18
	s_add_i32 s3, s7, s3
	s_mov_b32 s7, 0
	s_lshl_b64 s[2:3], s[2:3], 4
	s_add_u32 s0, s0, s2
	s_addc_u32 s1, s1, s3
	s_load_dwordx4 s[0:3], s[0:1], 0x0
	s_waitcnt lgkmcnt(0)
	v_cmp_eq_f64_e64 s0, s[0:1], 1.0
	v_cmp_eq_f64_e64 s1, s[2:3], 0
	s_and_b32 s0, s0, s1
	s_andn2_b32 vcc_lo, exec_lo, s0
.LBB188_3:
	s_andn2_b32 vcc_lo, exec_lo, s7
	s_cbranch_vccnz .LBB188_155
; %bb.4:
	s_waitcnt lgkmcnt(0)
	s_clause 0x1
	s_load_dwordx4 s[0:3], s[4:5], 0x38
	s_load_dword s24, s[4:5], 0x0
	s_lshl_b64 s[10:11], s[18:19], 3
	s_load_dwordx2 s[8:9], s[4:5], 0x48
	s_add_u32 s22, s12, s10
	s_addc_u32 s23, s13, s11
	s_load_dword s19, s[16:17], 0x0
	s_waitcnt lgkmcnt(0)
	s_add_u32 s0, s0, s10
	s_addc_u32 s1, s1, s11
	s_lshl_b64 s[2:3], s[2:3], 4
	s_load_dwordx2 s[0:1], s[0:1], 0x0
	s_waitcnt lgkmcnt(0)
	s_add_u32 s0, s0, s2
	s_addc_u32 s1, s1, s3
	s_lshl_b32 s12, s6, 6
	s_load_dwordx2 s[16:17], s[4:5], 0x28
	s_load_dwordx2 s[2:3], s[22:23], 0x0
	v_add_nc_u32_e32 v167, s12, v0
	s_ashr_i32 s25, s24, 31
	s_add_i32 s5, s19, -1
	s_lshr_b32 s4, s25, 26
	v_ashrrev_i32_e32 v168, 31, v167
	v_mul_lo_u32 v4, s9, v167
	v_mad_u64_u32 v[2:3], null, s8, v167, 0
	s_add_i32 s4, s24, s4
	v_mul_lo_u32 v5, s8, v168
	s_andn2_b32 s4, s4, 63
	s_sub_i32 s22, s24, s4
	s_cmp_eq_u32 s6, s5
	s_mov_b32 s4, -1
	s_cselect_b32 s10, s22, 0
	v_add3_u32 v3, v3, v5, v4
	v_lshlrev_b64 v[2:3], 4, v[2:3]
	v_add_co_u32 v40, vcc_lo, s0, v2
	v_add_co_ci_u32_e64 v41, null, s1, v3, vcc_lo
	v_cmp_eq_u32_e64 s0, 0, v1
	s_and_saveexec_b32 s1, s0
	s_cbranch_execz .LBB188_9
; %bb.5:
	v_cmp_le_i32_e32 vcc_lo, s10, v0
	s_cmp_lg_u32 s10, 0
	v_lshl_add_u32 v2, v0, 4, 0x4700
	s_cselect_b32 s5, -1, 0
	s_and_b32 s5, s5, vcc_lo
	s_and_saveexec_b32 s7, s5
	s_xor_b32 s5, exec_lo, s7
	s_cbranch_execz .LBB188_7
; %bb.6:
	v_mov_b32_e32 v3, 0
	v_mov_b32_e32 v4, v3
	;; [unrolled: 1-line block ×4, first 2 shown]
	ds_write_b128 v2, v[3:6]
                                        ; implicit-def: $vgpr2
.LBB188_7:
	s_andn2_saveexec_b32 s5, s5
	s_cbranch_execz .LBB188_9
; %bb.8:
	flat_load_dwordx4 v[3:6], v[40:41]
	s_waitcnt vmcnt(0) lgkmcnt(0)
	ds_write2_b64 v2, v[3:4], v[5:6] offset1:1
.LBB188_9:
	s_or_b32 exec_lo, exec_lo, s1
	v_lshl_add_u32 v44, v1, 6, v0
	v_and_b32_e32 v6, 31, v0
	v_mov_b32_e32 v7, 0
	s_lshl_b64 s[14:15], s[14:15], 4
	s_waitcnt lgkmcnt(0)
	s_mul_hi_u32 s1, s16, s12
	v_lshrrev_b32_e32 v11, 5, v44
	s_add_u32 s7, s2, s14
	s_addc_u32 s3, s3, s15
	s_ashr_i32 s13, s12, 31
	s_mul_i32 s5, s17, s12
	v_mad_u64_u32 v[2:3], null, s16, v11, v[6:7]
	s_lshl_b64 s[14:15], s[12:13], 4
	s_mul_i32 s11, s16, s13
	s_add_u32 s7, s7, s14
	s_addc_u32 s14, s3, s15
	s_add_i32 s1, s1, s11
	s_mul_i32 s2, s16, s12
	v_mad_u64_u32 v[3:4], null, s17, v11, v[3:4]
	s_add_i32 s3, s1, s5
	v_cmp_gt_i32_e64 s1, s10, v6
	s_lshl_b64 s[2:3], s[2:3], 4
	s_cmp_eq_u32 s10, 0
	v_lshlrev_b32_e32 v13, 4, v6
	s_cselect_b32 s23, -1, 0
	v_lshlrev_b64 v[38:39], 4, v[2:3]
	s_cmp_lg_u32 s10, 0
	v_lshlrev_b32_e32 v12, 4, v6
	s_cselect_b32 s26, -1, 0
                                        ; implicit-def: $vgpr7_vgpr8
	v_add_co_u32 v2, vcc_lo, s7, v38
	v_add_co_ci_u32_e64 v3, null, s14, v39, vcc_lo
	s_and_b32 vcc_lo, exec_lo, s26
	v_add_co_u32 v2, s2, v2, s2
	v_add_co_ci_u32_e64 v3, null, s3, v3, s2
	s_cbranch_vccz .LBB188_27
; %bb.10:
	v_sub_co_u32 v4, vcc_lo, v2, v13
	s_ashr_i32 s11, s10, 31
	v_subrev_co_ci_u32_e64 v5, null, 0, v3, vcc_lo
	s_lshl_b64 s[2:3], s[10:11], 4
	v_mad_u32_u24 v8, 0x210, v11, v12
	v_add_co_u32 v4, vcc_lo, v4, s2
	v_add_co_ci_u32_e64 v5, null, s3, v5, vcc_lo
	s_mov_b32 s4, exec_lo
	v_add_co_u32 v4, vcc_lo, v4, -16
	v_add_co_ci_u32_e64 v5, null, -1, v5, vcc_lo
	v_cndmask_b32_e64 v4, v4, v2, s1
	v_cndmask_b32_e64 v5, v5, v3, s1
	v_cmpx_le_i32_e64 s10, v11
	s_xor_b32 s4, exec_lo, s4
	s_cbranch_execz .LBB188_12
; %bb.11:
	v_mov_b32_e32 v14, 0
	v_mov_b32_e32 v15, v14
	;; [unrolled: 1-line block ×4, first 2 shown]
	ds_write_b128 v8, v[14:17]
                                        ; implicit-def: $vgpr8
.LBB188_12:
	s_or_saveexec_b32 s4, s4
	v_mul_u32_u24_e32 v7, 0x210, v11
	s_xor_b32 exec_lo, exec_lo, s4
	s_cbranch_execz .LBB188_14
; %bb.13:
	flat_load_dwordx4 v[14:17], v[4:5]
	s_waitcnt vmcnt(0) lgkmcnt(0)
	ds_write2_b64 v8, v[14:15], v[16:17] offset1:1
.LBB188_14:
	s_or_b32 exec_lo, exec_lo, s4
	v_add_nc_u32_e32 v8, 8, v11
	v_cmp_le_i32_e32 vcc_lo, s10, v8
	v_add_nc_u32_e32 v8, v7, v12
	s_and_saveexec_b32 s4, vcc_lo
	s_xor_b32 s4, exec_lo, s4
	s_cbranch_execz .LBB188_16
; %bb.15:
	v_mov_b32_e32 v14, 0
	v_mov_b32_e32 v15, v14
	;; [unrolled: 1-line block ×4, first 2 shown]
	ds_write_b128 v8, v[14:17] offset:4224
.LBB188_16:
	s_andn2_saveexec_b32 s4, s4
	s_cbranch_execz .LBB188_18
; %bb.17:
	s_lshl_b64 s[14:15], s[16:17], 7
	v_add_co_u32 v9, vcc_lo, v4, s14
	v_add_co_ci_u32_e64 v10, null, s15, v5, vcc_lo
	flat_load_dwordx4 v[14:17], v[9:10]
	v_add3_u32 v9, v7, v12, 0x1080
	s_waitcnt vmcnt(0) lgkmcnt(0)
	ds_write2_b64 v9, v[14:15], v[16:17] offset1:1
.LBB188_18:
	s_or_b32 exec_lo, exec_lo, s4
	v_add_nc_u32_e32 v9, 16, v11
	s_mov_b32 s4, exec_lo
	v_cmpx_le_i32_e64 s10, v9
	s_xor_b32 s4, exec_lo, s4
	s_cbranch_execz .LBB188_20
; %bb.19:
	v_mov_b32_e32 v14, 0
	v_mov_b32_e32 v15, v14
	;; [unrolled: 1-line block ×4, first 2 shown]
	ds_write_b128 v8, v[14:17] offset:8448
.LBB188_20:
	s_andn2_saveexec_b32 s4, s4
	s_cbranch_execz .LBB188_22
; %bb.21:
	s_lshl_b64 s[14:15], s[16:17], 8
	v_add_co_u32 v9, vcc_lo, v4, s14
	v_add_co_ci_u32_e64 v10, null, s15, v5, vcc_lo
	flat_load_dwordx4 v[14:17], v[9:10]
	v_add3_u32 v9, v7, v12, 0x2100
	s_waitcnt vmcnt(0) lgkmcnt(0)
	ds_write2_b64 v9, v[14:15], v[16:17] offset1:1
.LBB188_22:
	s_or_b32 exec_lo, exec_lo, s4
	v_add_nc_u32_e32 v9, 24, v11
	s_mov_b32 s4, exec_lo
	v_cmpx_le_i32_e64 s10, v9
	s_xor_b32 s4, exec_lo, s4
	s_cbranch_execz .LBB188_24
; %bb.23:
	v_mov_b32_e32 v14, 0
                                        ; implicit-def: $vgpr7
	v_mov_b32_e32 v15, v14
	v_mov_b32_e32 v16, v14
	;; [unrolled: 1-line block ×3, first 2 shown]
	ds_write_b128 v8, v[14:17] offset:12672
.LBB188_24:
	s_andn2_saveexec_b32 s4, s4
	s_cbranch_execz .LBB188_26
; %bb.25:
	v_mad_u64_u32 v[8:9], null, 0x180, s16, v[4:5]
	v_add3_u32 v7, v7, v12, 0x3180
	v_mad_u64_u32 v[9:10], null, 0x180, s17, v[9:10]
	flat_load_dwordx4 v[14:17], v[8:9]
	s_waitcnt vmcnt(0) lgkmcnt(0)
	ds_write2_b64 v7, v[14:15], v[16:17] offset1:1
.LBB188_26:
	s_or_b32 exec_lo, exec_lo, s4
	v_add_co_u32 v4, vcc_lo, v4, v13
	v_add_co_ci_u32_e64 v5, null, 0, v5, vcc_lo
	s_mov_b32 s4, 0
	v_sub_co_u32 v4, vcc_lo, v4, s2
	v_subrev_co_ci_u32_e64 v5, null, s3, v5, vcc_lo
	v_add_co_u32 v4, vcc_lo, v4, 16
	v_add_co_ci_u32_e64 v5, null, 0, v5, vcc_lo
	v_cndmask_b32_e64 v7, v4, v2, s1
	v_cndmask_b32_e64 v8, v5, v3, s1
.LBB188_27:
	s_and_b32 vcc_lo, exec_lo, s4
	s_cbranch_vccz .LBB188_29
; %bb.28:
	flat_load_dwordx4 v[7:10], v[2:3]
	v_mul_u32_u24_e32 v4, 0x210, v11
	s_lshl_b64 s[2:3], s[16:17], 7
	v_lshl_add_u32 v18, v6, 4, v4
	v_add_co_u32 v4, vcc_lo, v2, s2
	v_add_co_ci_u32_e64 v5, null, s3, v3, vcc_lo
	v_add_nc_u32_e32 v14, 0x1080, v18
	s_waitcnt vmcnt(0) lgkmcnt(0)
	ds_write2_b64 v18, v[7:8], v[9:10] offset1:1
	flat_load_dwordx4 v[7:10], v[4:5]
	v_add_co_u32 v4, vcc_lo, v4, s2
	v_add_co_ci_u32_e64 v5, null, s3, v5, vcc_lo
	s_waitcnt vmcnt(0) lgkmcnt(0)
	ds_write2_b64 v14, v[7:8], v[9:10] offset1:1
	flat_load_dwordx4 v[7:10], v[4:5]
	v_add_co_u32 v4, vcc_lo, v4, s2
	v_add_nc_u32_e32 v14, 0x2100, v18
	v_add_co_ci_u32_e64 v5, null, s3, v5, vcc_lo
	s_waitcnt vmcnt(0) lgkmcnt(0)
	ds_write2_b64 v14, v[7:8], v[9:10] offset1:1
	flat_load_dwordx4 v[14:17], v[4:5]
	v_mov_b32_e32 v8, v3
	v_add_nc_u32_e32 v4, 0x3180, v18
	v_mov_b32_e32 v7, v2
	s_waitcnt vmcnt(0) lgkmcnt(0)
	ds_write2_b64 v4, v[14:15], v[16:17] offset1:1
.LBB188_29:
	v_lshlrev_b32_e32 v18, 2, v11
	v_lshl_or_b32 v2, v6, 9, v12
	v_mad_u32_u24 v14, 0x840, v11, v12
	s_waitcnt lgkmcnt(0)
	s_barrier
	v_cmp_gt_u32_e64 s2, v18, v6
	v_lshl_add_u32 v3, v18, 4, v2
	buffer_gl0_inv
	s_and_saveexec_b32 s1, s2
	s_cbranch_execz .LBB188_31
; %bb.30:
	ds_read_b128 v[19:22], v14
	s_waitcnt lgkmcnt(0)
	ds_write_b128 v3, v[19:22]
.LBB188_31:
	s_or_b32 exec_lo, exec_lo, s1
	v_or_b32_e32 v2, 1, v18
	v_cmp_ge_u32_e64 s3, v18, v6
	v_mad_u32_u24 v15, 0x210, v2, v12
	s_and_saveexec_b32 s1, s3
	s_cbranch_execz .LBB188_33
; %bb.32:
	ds_read_b128 v[19:22], v15
	s_waitcnt lgkmcnt(0)
	ds_write_b128 v3, v[19:22] offset:16
.LBB188_33:
	s_or_b32 exec_lo, exec_lo, s1
	v_or_b32_e32 v2, 2, v18
	v_cmp_gt_u32_e64 s4, v2, v6
	s_and_saveexec_b32 s1, s4
	s_cbranch_execz .LBB188_35
; %bb.34:
	v_mad_u32_u24 v2, 0x210, v2, v12
	ds_read_b128 v[19:22], v2
	s_waitcnt lgkmcnt(0)
	ds_write_b128 v3, v[19:22] offset:32
.LBB188_35:
	s_or_b32 exec_lo, exec_lo, s1
	v_or_b32_e32 v4, 3, v18
	s_mov_b32 s1, exec_lo
	v_cmp_gt_u32_e64 s5, v4, v6
	v_mul_u32_u24_e32 v2, 0x210, v4
	v_cmpx_le_u32_e64 v4, v6
	s_xor_b32 s1, exec_lo, s1
; %bb.36:
	v_mul_u32_u24_e32 v2, 0x210, v4
                                        ; implicit-def: $vgpr4
                                        ; implicit-def: $vgpr3
; %bb.37:
	s_andn2_saveexec_b32 s1, s1
	s_cbranch_execz .LBB188_39
; %bb.38:
	v_mad_u32_u24 v4, 0x210, v4, v12
	ds_read_b128 v[19:22], v4
	s_waitcnt lgkmcnt(0)
	ds_write_b128 v3, v[19:22] offset:48
.LBB188_39:
	s_or_b32 exec_lo, exec_lo, s1
	v_lshlrev_b32_e32 v19, 4, v18
	s_waitcnt lgkmcnt(0)
	s_barrier
	buffer_gl0_inv
	ds_read_b128 v[20:23], v14
	ds_read_b128 v[24:27], v19 offset:18176
	v_add_nc_u32_e32 v16, v12, v2
	ds_read_b128 v[2:5], v15 offset:528
	ds_read_b128 v[28:31], v19 offset:18192
	ds_read_b128 v[32:35], v15
	ds_read_b128 v[45:48], v16
	ds_read_b128 v[49:52], v19 offset:18208
	v_cmp_gt_u32_e64 s1, 32, v44
	s_waitcnt lgkmcnt(5)
	v_mul_f64 v[9:10], v[26:27], v[22:23]
	v_mul_f64 v[22:23], v[24:25], v[22:23]
	s_waitcnt lgkmcnt(2)
	v_mul_f64 v[36:37], v[30:31], v[34:35]
	v_mul_f64 v[34:35], v[28:29], v[34:35]
	v_fma_f64 v[9:10], v[24:25], v[20:21], -v[9:10]
	v_fma_f64 v[24:25], v[26:27], v[20:21], v[22:23]
	ds_read_b128 v[20:23], v19 offset:18224
	s_waitcnt lgkmcnt(1)
	v_mul_f64 v[26:27], v[51:52], v[4:5]
	v_mul_f64 v[4:5], v[49:50], v[4:5]
	v_fma_f64 v[28:29], v[28:29], v[32:33], -v[36:37]
	v_fma_f64 v[30:31], v[30:31], v[32:33], v[34:35]
	s_waitcnt lgkmcnt(0)
	s_barrier
	buffer_gl0_inv
	v_mul_f64 v[32:33], v[22:23], v[47:48]
	v_add_f64 v[9:10], v[9:10], 0
	v_add_f64 v[24:25], v[24:25], 0
	v_mul_f64 v[34:35], v[20:21], v[47:48]
	v_fma_f64 v[26:27], v[49:50], v[2:3], -v[26:27]
	v_fma_f64 v[2:3], v[51:52], v[2:3], v[4:5]
	v_fma_f64 v[20:21], v[20:21], v[45:46], -v[32:33]
	v_add_f64 v[4:5], v[9:10], v[28:29]
	v_add_f64 v[9:10], v[24:25], v[30:31]
	v_fma_f64 v[22:23], v[22:23], v[45:46], v[34:35]
	v_add_f64 v[4:5], v[4:5], v[26:27]
	v_add_f64 v[2:3], v[9:10], v[2:3]
	;; [unrolled: 1-line block ×4, first 2 shown]
	v_mul_u32_u24_e32 v2, 33, v6
	v_mov_b32_e32 v4, 0
	v_mov_b32_e32 v5, 0
	v_lshlrev_b32_e32 v45, 4, v2
	v_mov_b32_e32 v2, 0
	v_mov_b32_e32 v3, 0
	v_lshl_add_u32 v46, v11, 4, v45
	ds_write_b128 v46, v[20:23]
	s_waitcnt lgkmcnt(0)
	s_barrier
	buffer_gl0_inv
	s_and_saveexec_b32 s7, s1
	s_cbranch_execz .LBB188_41
; %bb.40:
	ds_read_b128 v[2:5], v45
	ds_read_b128 v[20:23], v45 offset:16
	s_waitcnt lgkmcnt(0)
	v_add_f64 v[9:10], v[20:21], v[2:3]
	v_add_f64 v[24:25], v[22:23], v[4:5]
	ds_read_b128 v[2:5], v45 offset:32
	ds_read_b128 v[20:23], v45 offset:48
	s_waitcnt lgkmcnt(1)
	v_add_f64 v[2:3], v[9:10], v[2:3]
	v_add_f64 v[4:5], v[24:25], v[4:5]
	s_waitcnt lgkmcnt(0)
	v_add_f64 v[9:10], v[2:3], v[20:21]
	v_add_f64 v[24:25], v[4:5], v[22:23]
	ds_read_b128 v[2:5], v45 offset:64
	ds_read_b128 v[20:23], v45 offset:80
	s_waitcnt lgkmcnt(1)
	v_add_f64 v[2:3], v[9:10], v[2:3]
	v_add_f64 v[4:5], v[24:25], v[4:5]
	;; [unrolled: 8-line block ×3, first 2 shown]
	s_waitcnt lgkmcnt(0)
	v_add_f64 v[2:3], v[2:3], v[20:21]
	v_add_f64 v[4:5], v[4:5], v[22:23]
.LBB188_41:
	s_or_b32 exec_lo, exec_lo, s7
	s_lshl_b64 s[14:15], s[16:17], 9
	v_mad_u32_u24 v17, 0x210, v11, v12
	v_add_co_u32 v20, vcc_lo, v7, s14
	v_add_co_ci_u32_e64 v21, null, s15, v8, vcc_lo
	v_add_co_u32 v9, vcc_lo, 0x200, v20
	v_add_co_ci_u32_e64 v10, null, 0, v21, vcc_lo
	s_and_b32 vcc_lo, exec_lo, s26
	s_barrier
	buffer_gl0_inv
	s_cbranch_vccz .LBB188_59
; %bb.42:
	v_sub_co_u32 v7, vcc_lo, v20, v13
	s_ashr_i32 s11, s10, 31
	v_subrev_co_ci_u32_e64 v8, null, 0, v21, vcc_lo
	s_lshl_b64 s[14:15], s[10:11], 4
	v_or_b32_e32 v22, 32, v6
	v_add_co_u32 v7, vcc_lo, v7, s14
	v_add_co_ci_u32_e64 v8, null, s15, v8, vcc_lo
	s_sub_i32 s11, s10, 32
	v_add_co_u32 v7, vcc_lo, v7, -16
	v_add_co_ci_u32_e64 v8, null, -1, v8, vcc_lo
	v_cmp_gt_i32_e32 vcc_lo, s10, v22
	v_cmp_le_i32_e64 s7, s11, v11
	v_cndmask_b32_e32 v8, v8, v10, vcc_lo
	v_cndmask_b32_e32 v7, v7, v9, vcc_lo
	s_and_saveexec_b32 s27, s7
	s_xor_b32 s7, exec_lo, s27
	s_cbranch_execz .LBB188_44
; %bb.43:
	v_mov_b32_e32 v22, 0
	v_mov_b32_e32 v23, v22
	;; [unrolled: 1-line block ×4, first 2 shown]
	ds_write_b128 v17, v[22:25]
.LBB188_44:
	s_andn2_saveexec_b32 s7, s7
	s_cbranch_execz .LBB188_46
; %bb.45:
	flat_load_dwordx4 v[22:25], v[7:8]
	s_waitcnt vmcnt(0) lgkmcnt(0)
	ds_write2_b64 v17, v[22:23], v[24:25] offset1:1
.LBB188_46:
	s_or_b32 exec_lo, exec_lo, s7
	v_add_nc_u32_e32 v22, 8, v11
	v_cmp_le_i32_e64 s7, s11, v22
	v_mad_u32_u24 v22, 0x210, v22, v12
	s_and_saveexec_b32 s27, s7
	s_xor_b32 s7, exec_lo, s27
	s_cbranch_execz .LBB188_48
; %bb.47:
	v_mov_b32_e32 v23, 0
	v_mov_b32_e32 v24, v23
	;; [unrolled: 1-line block ×4, first 2 shown]
	ds_write_b128 v22, v[23:26]
                                        ; implicit-def: $vgpr22
.LBB188_48:
	s_andn2_saveexec_b32 s27, s7
	s_cbranch_execz .LBB188_50
; %bb.49:
	s_lshl_b64 s[28:29], s[16:17], 7
	v_add_co_u32 v23, s7, v7, s28
	v_add_co_ci_u32_e64 v24, null, s29, v8, s7
	flat_load_dwordx4 v[23:26], v[23:24]
	s_waitcnt vmcnt(0) lgkmcnt(0)
	ds_write2_b64 v22, v[23:24], v[25:26] offset1:1
.LBB188_50:
	s_or_b32 exec_lo, exec_lo, s27
	v_add_nc_u32_e32 v22, 16, v11
	v_cmp_le_i32_e64 s7, s11, v22
	v_mad_u32_u24 v22, 0x210, v22, v12
	s_and_saveexec_b32 s27, s7
	s_xor_b32 s7, exec_lo, s27
	s_cbranch_execz .LBB188_52
; %bb.51:
	v_mov_b32_e32 v23, 0
	v_mov_b32_e32 v24, v23
	;; [unrolled: 1-line block ×4, first 2 shown]
	ds_write_b128 v22, v[23:26]
                                        ; implicit-def: $vgpr22
.LBB188_52:
	s_andn2_saveexec_b32 s27, s7
	s_cbranch_execz .LBB188_54
; %bb.53:
	s_lshl_b64 s[28:29], s[16:17], 8
	v_add_co_u32 v23, s7, v7, s28
	v_add_co_ci_u32_e64 v24, null, s29, v8, s7
	flat_load_dwordx4 v[23:26], v[23:24]
	s_waitcnt vmcnt(0) lgkmcnt(0)
	ds_write2_b64 v22, v[23:24], v[25:26] offset1:1
.LBB188_54:
	s_or_b32 exec_lo, exec_lo, s27
	v_add_nc_u32_e32 v22, 24, v11
	v_cmp_le_i32_e64 s7, s11, v22
	v_mad_u32_u24 v22, 0x210, v22, v12
	s_and_saveexec_b32 s11, s7
	s_xor_b32 s7, exec_lo, s11
	s_cbranch_execz .LBB188_56
; %bb.55:
	v_mov_b32_e32 v23, 0
	v_mov_b32_e32 v24, v23
	;; [unrolled: 1-line block ×4, first 2 shown]
	ds_write_b128 v22, v[23:26]
                                        ; implicit-def: $vgpr22
.LBB188_56:
	s_andn2_saveexec_b32 s7, s7
	s_cbranch_execz .LBB188_58
; %bb.57:
	v_mad_u64_u32 v[23:24], null, 0x180, s16, v[7:8]
	v_mad_u64_u32 v[24:25], null, 0x180, s17, v[24:25]
	flat_load_dwordx4 v[23:26], v[23:24]
	s_waitcnt vmcnt(0) lgkmcnt(0)
	ds_write2_b64 v22, v[23:24], v[25:26] offset1:1
.LBB188_58:
	s_or_b32 exec_lo, exec_lo, s7
	v_add_co_u32 v7, s7, v7, v13
	v_add_co_ci_u32_e64 v8, null, 0, v8, s7
	v_sub_co_u32 v7, s7, v7, s14
	v_subrev_co_ci_u32_e64 v8, null, s15, v8, s7
	v_add_co_u32 v7, s7, 0x210, v7
	v_add_co_ci_u32_e64 v8, null, 0, v8, s7
	v_cndmask_b32_e32 v7, v7, v9, vcc_lo
	v_cndmask_b32_e32 v8, v8, v10, vcc_lo
	s_branch .LBB188_61
.LBB188_59:
                                        ; implicit-def: $vgpr7_vgpr8
	s_cbranch_execz .LBB188_61
; %bb.60:
	flat_load_dwordx4 v[22:25], v[9:10]
	s_lshl_b64 s[14:15], s[16:17], 7
	v_add_co_u32 v7, vcc_lo, v20, s14
	v_add_co_ci_u32_e64 v8, null, s15, v21, vcc_lo
	s_waitcnt vmcnt(0) lgkmcnt(0)
	ds_write2_b64 v17, v[22:23], v[24:25] offset1:1
	flat_load_dwordx4 v[20:23], v[7:8] offset:512
	v_add_co_u32 v7, vcc_lo, v7, s14
	v_add_nc_u32_e32 v24, 0x1080, v17
	v_add_co_ci_u32_e64 v8, null, s15, v8, vcc_lo
	s_waitcnt vmcnt(0) lgkmcnt(0)
	ds_write2_b64 v24, v[20:21], v[22:23] offset1:1
	flat_load_dwordx4 v[20:23], v[7:8] offset:512
	v_add_co_u32 v7, vcc_lo, v7, s14
	v_add_nc_u32_e32 v24, 0x2100, v17
	v_add_co_ci_u32_e64 v8, null, s15, v8, vcc_lo
	s_waitcnt vmcnt(0) lgkmcnt(0)
	ds_write2_b64 v24, v[20:21], v[22:23] offset1:1
	flat_load_dwordx4 v[20:23], v[7:8] offset:512
	v_mov_b32_e32 v7, v9
	v_add_nc_u32_e32 v24, 0x3180, v17
	v_mov_b32_e32 v8, v10
	s_waitcnt vmcnt(0) lgkmcnt(0)
	ds_write2_b64 v24, v[20:21], v[22:23] offset1:1
.LBB188_61:
	v_lshl_add_u32 v9, v18, 4, v45
	s_waitcnt lgkmcnt(0)
	s_barrier
	buffer_gl0_inv
	s_and_saveexec_b32 s7, s2
	s_cbranch_execz .LBB188_65
; %bb.62:
	ds_read_b128 v[20:23], v14
	s_waitcnt lgkmcnt(0)
	ds_write_b128 v9, v[20:23]
	s_or_b32 exec_lo, exec_lo, s7
	s_and_saveexec_b32 s2, s3
	s_cbranch_execnz .LBB188_66
.LBB188_63:
	s_or_b32 exec_lo, exec_lo, s2
	v_add_nc_u32_e32 v18, 0x210, v15
	s_and_saveexec_b32 s2, s4
	s_cbranch_execz .LBB188_67
.LBB188_64:
	ds_read_b128 v[20:23], v18
	s_waitcnt lgkmcnt(0)
	ds_write_b128 v9, v[20:23] offset:32
	s_or_b32 exec_lo, exec_lo, s2
	v_add_nc_u32_e32 v19, 0x4700, v19
	s_and_saveexec_b32 s2, s5
	s_cbranch_execnz .LBB188_68
	s_branch .LBB188_69
.LBB188_65:
	s_or_b32 exec_lo, exec_lo, s7
	s_and_saveexec_b32 s2, s3
	s_cbranch_execz .LBB188_63
.LBB188_66:
	ds_read_b128 v[20:23], v15
	s_waitcnt lgkmcnt(0)
	ds_write_b128 v9, v[20:23] offset:16
	s_or_b32 exec_lo, exec_lo, s2
	v_add_nc_u32_e32 v18, 0x210, v15
	s_and_saveexec_b32 s2, s4
	s_cbranch_execnz .LBB188_64
.LBB188_67:
	s_or_b32 exec_lo, exec_lo, s2
	v_add_nc_u32_e32 v19, 0x4700, v19
	s_and_saveexec_b32 s2, s5
	s_cbranch_execz .LBB188_69
.LBB188_68:
	ds_read_b128 v[20:23], v16
	s_waitcnt lgkmcnt(0)
	ds_write_b128 v9, v[20:23] offset:48
.LBB188_69:
	s_or_b32 exec_lo, exec_lo, s2
	s_waitcnt lgkmcnt(0)
	s_barrier
	buffer_gl0_inv
	ds_read_b128 v[20:23], v14
	ds_read_b128 v[24:27], v19 offset:512
	ds_read_b128 v[28:31], v19 offset:528
	ds_read_b128 v[32:35], v15
	ds_read_b128 v[47:50], v19 offset:544
	ds_read_b128 v[51:54], v18
	v_cmp_eq_u32_e64 s2, 1, v11
	s_waitcnt lgkmcnt(4)
	v_mul_f64 v[9:10], v[26:27], v[22:23]
	v_mul_f64 v[22:23], v[24:25], v[22:23]
	s_waitcnt lgkmcnt(2)
	v_mul_f64 v[36:37], v[30:31], v[34:35]
	v_mul_f64 v[34:35], v[28:29], v[34:35]
	;; [unrolled: 3-line block ×3, first 2 shown]
	v_fma_f64 v[9:10], v[24:25], v[20:21], -v[9:10]
	v_fma_f64 v[42:43], v[26:27], v[20:21], v[22:23]
	v_fma_f64 v[28:29], v[28:29], v[32:33], -v[36:37]
	v_fma_f64 v[30:31], v[30:31], v[32:33], v[34:35]
	ds_read_b128 v[20:23], v19 offset:560
	ds_read_b128 v[24:27], v16
	v_fma_f64 v[36:37], v[47:48], v[51:52], -v[55:56]
	s_waitcnt lgkmcnt(0)
	s_barrier
	buffer_gl0_inv
	v_add_f64 v[9:10], v[9:10], 0
	v_add_f64 v[32:33], v[42:43], 0
	v_mul_f64 v[34:35], v[22:23], v[26:27]
	v_mul_f64 v[26:27], v[20:21], v[26:27]
	v_fma_f64 v[42:43], v[49:50], v[51:52], v[53:54]
	v_add_f64 v[9:10], v[9:10], v[28:29]
	v_add_f64 v[28:29], v[32:33], v[30:31]
	v_fma_f64 v[20:21], v[20:21], v[24:25], -v[34:35]
	v_fma_f64 v[22:23], v[22:23], v[24:25], v[26:27]
	v_add_f64 v[9:10], v[9:10], v[36:37]
	v_add_f64 v[24:25], v[28:29], v[42:43]
	;; [unrolled: 1-line block ×4, first 2 shown]
	ds_write_b128 v46, v[20:23]
	s_waitcnt lgkmcnt(0)
	s_barrier
	buffer_gl0_inv
	s_and_saveexec_b32 s3, s2
	s_cbranch_execz .LBB188_71
; %bb.70:
	ds_read_b128 v[2:5], v45
	ds_read_b128 v[20:23], v45 offset:16
	s_waitcnt lgkmcnt(0)
	v_add_f64 v[9:10], v[20:21], v[2:3]
	v_add_f64 v[24:25], v[22:23], v[4:5]
	ds_read_b128 v[2:5], v45 offset:32
	ds_read_b128 v[20:23], v45 offset:48
	s_waitcnt lgkmcnt(1)
	v_add_f64 v[2:3], v[9:10], v[2:3]
	v_add_f64 v[4:5], v[24:25], v[4:5]
	s_waitcnt lgkmcnt(0)
	v_add_f64 v[9:10], v[2:3], v[20:21]
	v_add_f64 v[24:25], v[4:5], v[22:23]
	ds_read_b128 v[2:5], v45 offset:64
	ds_read_b128 v[20:23], v45 offset:80
	s_waitcnt lgkmcnt(1)
	v_add_f64 v[2:3], v[9:10], v[2:3]
	v_add_f64 v[4:5], v[24:25], v[4:5]
	s_waitcnt lgkmcnt(0)
	v_add_f64 v[9:10], v[2:3], v[20:21]
	v_add_f64 v[24:25], v[4:5], v[22:23]
	ds_read_b128 v[2:5], v45 offset:96
	ds_read_b128 v[20:23], v45 offset:112
	s_waitcnt lgkmcnt(1)
	v_add_f64 v[2:3], v[9:10], v[2:3]
	v_add_f64 v[4:5], v[24:25], v[4:5]
	s_waitcnt lgkmcnt(0)
	v_add_f64 v[2:3], v[2:3], v[20:21]
	v_add_f64 v[4:5], v[4:5], v[22:23]
.LBB188_71:
	s_or_b32 exec_lo, exec_lo, s3
	v_add_co_u32 v7, vcc_lo, 0xfffffe00, v7
	v_add_co_ci_u32_e64 v8, null, -1, v8, vcc_lo
	s_and_b32 vcc_lo, exec_lo, s26
	s_barrier
	buffer_gl0_inv
	s_cbranch_vccz .LBB188_89
; %bb.72:
	v_sub_co_u32 v9, vcc_lo, v7, v13
	s_ashr_i32 s11, s10, 31
	v_subrev_co_ci_u32_e64 v10, null, 0, v8, vcc_lo
	s_lshl_b64 s[4:5], s[10:11], 4
	s_sub_i32 s7, s10, 32
	v_add_co_u32 v9, vcc_lo, v9, s4
	v_add_co_ci_u32_e64 v10, null, s5, v10, vcc_lo
	v_cmp_le_i32_e64 s3, s7, v11
	v_add_co_u32 v9, vcc_lo, v9, -16
	v_add_co_ci_u32_e64 v10, null, -1, v10, vcc_lo
	v_cmp_gt_i32_e32 vcc_lo, s10, v6
	v_cndmask_b32_e32 v10, v10, v8, vcc_lo
	v_cndmask_b32_e32 v9, v9, v7, vcc_lo
	s_and_saveexec_b32 s11, s3
	s_xor_b32 s3, exec_lo, s11
	s_cbranch_execz .LBB188_74
; %bb.73:
	v_mov_b32_e32 v20, 0
	v_mov_b32_e32 v21, v20
	;; [unrolled: 1-line block ×4, first 2 shown]
	ds_write_b128 v17, v[20:23]
.LBB188_74:
	s_andn2_saveexec_b32 s3, s3
	s_cbranch_execz .LBB188_76
; %bb.75:
	flat_load_dwordx4 v[20:23], v[9:10]
	s_waitcnt vmcnt(0) lgkmcnt(0)
	ds_write2_b64 v17, v[20:21], v[22:23] offset1:1
.LBB188_76:
	s_or_b32 exec_lo, exec_lo, s3
	v_add_nc_u32_e32 v6, 8, v11
	v_cmp_le_i32_e64 s3, s7, v6
	v_mad_u32_u24 v20, 0x210, v6, v12
	s_and_saveexec_b32 s11, s3
	s_xor_b32 s3, exec_lo, s11
	s_cbranch_execz .LBB188_78
; %bb.77:
	v_mov_b32_e32 v21, 0
	v_mov_b32_e32 v22, v21
	;; [unrolled: 1-line block ×4, first 2 shown]
	ds_write_b128 v20, v[21:24]
                                        ; implicit-def: $vgpr20
.LBB188_78:
	s_andn2_saveexec_b32 s11, s3
	s_cbranch_execz .LBB188_80
; %bb.79:
	s_lshl_b64 s[14:15], s[16:17], 7
	v_add_co_u32 v21, s3, v9, s14
	v_add_co_ci_u32_e64 v22, null, s15, v10, s3
	flat_load_dwordx4 v[21:24], v[21:22]
	s_waitcnt vmcnt(0) lgkmcnt(0)
	ds_write2_b64 v20, v[21:22], v[23:24] offset1:1
.LBB188_80:
	s_or_b32 exec_lo, exec_lo, s11
	v_add_nc_u32_e32 v21, 16, v11
	v_cmp_le_i32_e64 s3, s7, v21
	v_mad_u32_u24 v20, 0x210, v21, v12
	s_and_saveexec_b32 s11, s3
	s_xor_b32 s3, exec_lo, s11
	s_cbranch_execz .LBB188_82
; %bb.81:
	v_mov_b32_e32 v22, 0
	v_mov_b32_e32 v23, v22
	v_mov_b32_e32 v24, v22
	v_mov_b32_e32 v25, v22
	ds_write_b128 v20, v[22:25]
                                        ; implicit-def: $vgpr20
.LBB188_82:
	s_andn2_saveexec_b32 s11, s3
	s_cbranch_execz .LBB188_84
; %bb.83:
	s_lshl_b64 s[14:15], s[16:17], 8
	v_add_co_u32 v22, s3, v9, s14
	v_add_co_ci_u32_e64 v23, null, s15, v10, s3
	flat_load_dwordx4 v[22:25], v[22:23]
	s_waitcnt vmcnt(0) lgkmcnt(0)
	ds_write2_b64 v20, v[22:23], v[24:25] offset1:1
.LBB188_84:
	s_or_b32 exec_lo, exec_lo, s11
	v_add_nc_u32_e32 v20, 24, v11
	v_cmp_le_i32_e64 s3, s7, v20
	v_mad_u32_u24 v22, 0x210, v20, v12
	s_and_saveexec_b32 s7, s3
	s_xor_b32 s3, exec_lo, s7
	s_cbranch_execz .LBB188_86
; %bb.85:
	v_mov_b32_e32 v23, 0
	v_mov_b32_e32 v24, v23
	;; [unrolled: 1-line block ×4, first 2 shown]
	ds_write_b128 v22, v[23:26]
                                        ; implicit-def: $vgpr22
.LBB188_86:
	s_andn2_saveexec_b32 s3, s3
	s_cbranch_execz .LBB188_88
; %bb.87:
	v_mad_u64_u32 v[23:24], null, 0x180, s16, v[9:10]
	v_mad_u64_u32 v[24:25], null, 0x180, s17, v[24:25]
	flat_load_dwordx4 v[23:26], v[23:24]
	s_waitcnt vmcnt(0) lgkmcnt(0)
	ds_write2_b64 v22, v[23:24], v[25:26] offset1:1
.LBB188_88:
	s_or_b32 exec_lo, exec_lo, s3
	v_add_co_u32 v9, s3, v9, v13
	v_add_co_ci_u32_e64 v10, null, 0, v10, s3
	v_sub_co_u32 v9, s3, v9, s4
	v_subrev_co_ci_u32_e64 v10, null, s5, v10, s3
	v_add_co_u32 v9, s3, v9, 16
	v_add_co_ci_u32_e64 v10, null, 0, v10, s3
	v_cndmask_b32_e32 v42, v9, v7, vcc_lo
	v_cndmask_b32_e32 v43, v10, v8, vcc_lo
	s_branch .LBB188_91
.LBB188_89:
                                        ; implicit-def: $vgpr42_vgpr43
                                        ; implicit-def: $vgpr6
                                        ; implicit-def: $vgpr21
                                        ; implicit-def: $vgpr20
	s_cbranch_execz .LBB188_91
; %bb.90:
	flat_load_dwordx4 v[20:23], v[7:8]
	s_lshl_b64 s[4:5], s[16:17], 7
	v_add_nc_u32_e32 v6, 8, v11
	v_add_co_u32 v9, vcc_lo, v7, s4
	v_add_co_ci_u32_e64 v10, null, s5, v8, vcc_lo
	v_mad_u32_u24 v12, 0x210, v6, v12
	v_mov_b32_e32 v43, v8
	v_mov_b32_e32 v42, v7
	v_add_nc_u32_e32 v13, 0x1080, v12
	s_waitcnt vmcnt(0) lgkmcnt(0)
	ds_write2_b64 v17, v[20:21], v[22:23] offset1:1
	flat_load_dwordx4 v[20:23], v[9:10]
	v_add_co_u32 v9, vcc_lo, v9, s4
	v_add_co_ci_u32_e64 v10, null, s5, v10, vcc_lo
	s_waitcnt vmcnt(0) lgkmcnt(0)
	ds_write2_b64 v12, v[20:21], v[22:23] offset1:1
	flat_load_dwordx4 v[20:23], v[9:10]
	v_add_co_u32 v9, vcc_lo, v9, s4
	v_add_co_ci_u32_e64 v10, null, s5, v10, vcc_lo
	s_waitcnt vmcnt(0) lgkmcnt(0)
	ds_write2_b64 v13, v[20:21], v[22:23] offset1:1
	flat_load_dwordx4 v[22:25], v[9:10]
	v_add_nc_u32_e32 v21, 16, v11
	v_add_nc_u32_e32 v20, 24, v11
	;; [unrolled: 1-line block ×3, first 2 shown]
	s_waitcnt vmcnt(0) lgkmcnt(0)
	ds_write2_b64 v9, v[22:23], v[24:25] offset1:1
.LBB188_91:
	v_lshlrev_b32_e32 v11, 4, v11
	s_waitcnt lgkmcnt(0)
	s_barrier
	buffer_gl0_inv
	v_lshlrev_b32_e32 v6, 4, v6
	v_add_nc_u32_e32 v7, v45, v11
	ds_read_b128 v[7:10], v7
	ds_read_b128 v[22:25], v11 offset:18176
	v_add_nc_u32_e32 v11, v45, v6
	ds_read_b128 v[26:29], v11
	ds_read_b128 v[30:33], v6 offset:18176
	v_lshlrev_b32_e32 v6, 4, v21
	v_add_nc_u32_e32 v13, v45, v6
	ds_read_b128 v[34:37], v13
	ds_read_b128 v[47:50], v6 offset:18176
	s_waitcnt lgkmcnt(4)
	v_mul_f64 v[11:12], v[9:10], v[24:25]
	v_mul_f64 v[24:25], v[7:8], v[24:25]
	s_waitcnt lgkmcnt(2)
	v_mul_f64 v[51:52], v[28:29], v[32:33]
	v_mul_f64 v[32:33], v[26:27], v[32:33]
	v_fma_f64 v[53:54], v[7:8], v[22:23], -v[11:12]
	v_fma_f64 v[21:22], v[9:10], v[22:23], v[24:25]
	v_lshlrev_b32_e32 v10, 4, v20
	s_waitcnt lgkmcnt(0)
	v_mul_f64 v[23:24], v[36:37], v[49:50]
	v_mul_f64 v[49:50], v[34:35], v[49:50]
	v_fma_f64 v[25:26], v[26:27], v[30:31], -v[51:52]
	v_add_nc_u32_e32 v6, v45, v10
	v_fma_f64 v[27:28], v[28:29], v[30:31], v[32:33]
	ds_read_b128 v[6:9], v6
	ds_read_b128 v[10:13], v10 offset:18176
	v_add_f64 v[29:30], v[53:54], 0
	v_add_f64 v[20:21], v[21:22], 0
	v_fma_f64 v[22:23], v[34:35], v[47:48], -v[23:24]
	v_fma_f64 v[33:34], v[36:37], v[47:48], v[49:50]
	s_waitcnt lgkmcnt(0)
	v_mul_f64 v[31:32], v[8:9], v[12:13]
	v_mul_f64 v[12:13], v[6:7], v[12:13]
	v_add_f64 v[24:25], v[29:30], v[25:26]
	v_add_f64 v[20:21], v[20:21], v[27:28]
	v_fma_f64 v[6:7], v[6:7], v[10:11], -v[31:32]
	v_fma_f64 v[8:9], v[8:9], v[10:11], v[12:13]
	v_add_f64 v[10:11], v[24:25], v[22:23]
	v_add_f64 v[12:13], v[20:21], v[33:34]
	ds_read_b128 v[30:33], v19 offset:512
	ds_read_b128 v[22:25], v19 offset:528
	v_add_f64 v[47:48], v[10:11], v[6:7]
	v_add_f64 v[49:50], v[12:13], v[8:9]
	ds_read_b128 v[10:13], v19 offset:544
	ds_read_b128 v[6:9], v19 offset:560
	ds_read_b128 v[34:37], v14
	ds_read_b128 v[26:29], v15
	;; [unrolled: 1-line block ×4, first 2 shown]
	s_waitcnt lgkmcnt(0)
	s_barrier
	buffer_gl0_inv
	ds_write_b128 v46, v[47:50]
	s_waitcnt lgkmcnt(0)
	s_barrier
	buffer_gl0_inv
	s_and_saveexec_b32 s3, s2
	s_cbranch_execz .LBB188_93
; %bb.92:
	ds_read_b128 v[47:50], v45
	ds_read_b128 v[51:54], v45 offset:16
	s_waitcnt lgkmcnt(1)
	v_add_f64 v[2:3], v[2:3], v[47:48]
	v_add_f64 v[4:5], v[4:5], v[49:50]
	s_waitcnt lgkmcnt(0)
	v_add_f64 v[51:52], v[2:3], v[51:52]
	v_add_f64 v[53:54], v[4:5], v[53:54]
	ds_read_b128 v[2:5], v45 offset:32
	ds_read_b128 v[47:50], v45 offset:48
	s_waitcnt lgkmcnt(1)
	v_add_f64 v[2:3], v[51:52], v[2:3]
	v_add_f64 v[4:5], v[53:54], v[4:5]
	s_waitcnt lgkmcnt(0)
	v_add_f64 v[51:52], v[2:3], v[47:48]
	v_add_f64 v[53:54], v[4:5], v[49:50]
	ds_read_b128 v[2:5], v45 offset:64
	;; [unrolled: 8-line block ×3, first 2 shown]
	ds_read_b128 v[47:50], v45 offset:112
	s_waitcnt lgkmcnt(1)
	v_add_f64 v[2:3], v[51:52], v[2:3]
	v_add_f64 v[4:5], v[53:54], v[4:5]
	s_waitcnt lgkmcnt(0)
	v_add_f64 v[2:3], v[2:3], v[47:48]
	v_add_f64 v[4:5], v[4:5], v[49:50]
.LBB188_93:
	s_or_b32 exec_lo, exec_lo, s3
	v_mul_f64 v[47:48], v[32:33], v[36:37]
	v_mul_f64 v[36:37], v[30:31], v[36:37]
	v_mul_f64 v[49:50], v[24:25], v[28:29]
	v_mul_f64 v[28:29], v[22:23], v[28:29]
	s_barrier
	buffer_gl0_inv
	v_fma_f64 v[30:31], v[30:31], v[34:35], -v[47:48]
	v_fma_f64 v[32:33], v[32:33], v[34:35], v[36:37]
	v_mul_f64 v[34:35], v[12:13], v[20:21]
	v_mul_f64 v[20:21], v[10:11], v[20:21]
	v_fma_f64 v[22:23], v[22:23], v[26:27], -v[49:50]
	v_fma_f64 v[24:25], v[24:25], v[26:27], v[28:29]
	v_add_f64 v[26:27], v[30:31], 0
	v_add_f64 v[28:29], v[32:33], 0
	v_mul_f64 v[30:31], v[8:9], v[16:17]
	v_mul_f64 v[16:17], v[6:7], v[16:17]
	v_fma_f64 v[10:11], v[10:11], v[18:19], -v[34:35]
	v_fma_f64 v[12:13], v[12:13], v[18:19], v[20:21]
	v_add_f64 v[18:19], v[26:27], v[22:23]
	v_add_f64 v[20:21], v[28:29], v[24:25]
	v_fma_f64 v[6:7], v[6:7], v[14:15], -v[30:31]
	v_fma_f64 v[8:9], v[8:9], v[14:15], v[16:17]
	v_add_f64 v[10:11], v[18:19], v[10:11]
	v_add_f64 v[12:13], v[20:21], v[12:13]
	;; [unrolled: 1-line block ×4, first 2 shown]
	ds_write_b128 v46, v[6:9]
	s_waitcnt lgkmcnt(0)
	s_barrier
	buffer_gl0_inv
	s_and_saveexec_b32 s2, s1
	s_cbranch_execz .LBB188_95
; %bb.94:
	ds_read_b128 v[6:9], v45
	ds_read_b128 v[10:13], v45 offset:16
	s_waitcnt lgkmcnt(1)
	v_add_f64 v[2:3], v[2:3], v[6:7]
	v_add_f64 v[4:5], v[4:5], v[8:9]
	s_waitcnt lgkmcnt(0)
	v_add_f64 v[10:11], v[2:3], v[10:11]
	v_add_f64 v[12:13], v[4:5], v[12:13]
	ds_read_b128 v[2:5], v45 offset:32
	ds_read_b128 v[6:9], v45 offset:48
	s_waitcnt lgkmcnt(1)
	v_add_f64 v[2:3], v[10:11], v[2:3]
	v_add_f64 v[4:5], v[12:13], v[4:5]
	s_waitcnt lgkmcnt(0)
	v_add_f64 v[10:11], v[2:3], v[6:7]
	v_add_f64 v[12:13], v[4:5], v[8:9]
	ds_read_b128 v[2:5], v45 offset:64
	ds_read_b128 v[6:9], v45 offset:80
	s_waitcnt lgkmcnt(1)
	v_add_f64 v[2:3], v[10:11], v[2:3]
	v_add_f64 v[4:5], v[12:13], v[4:5]
	s_waitcnt lgkmcnt(0)
	v_add_f64 v[10:11], v[2:3], v[6:7]
	v_add_f64 v[12:13], v[4:5], v[8:9]
	ds_read_b128 v[2:5], v45 offset:96
	ds_read_b128 v[6:9], v45 offset:112
	s_waitcnt lgkmcnt(1)
	v_add_f64 v[2:3], v[10:11], v[2:3]
	v_add_f64 v[4:5], v[12:13], v[4:5]
	s_waitcnt lgkmcnt(0)
	v_add_f64 v[2:3], v[2:3], v[6:7]
	v_add_f64 v[4:5], v[4:5], v[8:9]
.LBB188_95:
	s_or_b32 exec_lo, exec_lo, s2
	s_mul_hi_u32 s1, s24, s18
	s_mul_i32 s25, s25, s18
	s_mul_i32 s2, s24, s18
	s_add_i32 s1, s1, s25
	s_mul_hi_u32 s3, s2, s19
	s_mul_i32 s1, s1, s19
	s_mul_i32 s2, s2, s19
	s_add_i32 s3, s3, s1
	s_mul_hi_i32 s5, s24, s6
	s_lshl_b64 s[2:3], s[2:3], 4
	s_mul_i32 s4, s24, s6
	s_add_u32 s1, s20, s2
	s_addc_u32 s2, s21, s3
	s_lshl_b64 s[4:5], s[4:5], 4
	v_lshlrev_b32_e32 v169, 4, v0
	s_add_u32 s3, s1, s4
	s_addc_u32 s7, s2, s5
	s_add_i32 s1, s6, 1
	s_cmp_ge_u32 s1, s19
	s_barrier
	buffer_gl0_inv
	s_cbranch_scc1 .LBB188_153
; %bb.96:
	v_lshlrev_b32_e32 v15, 6, v1
	v_lshrrev_b32_e32 v6, 4, v44
	v_and_b32_e32 v7, 15, v0
	v_and_b32_e32 v8, 48, v0
	v_or_b32_e32 v10, 0xf0, v169
	s_mul_i32 s1, s8, s13
	v_lshlrev_b32_e32 v9, 6, v6
	v_mul_i32_i24_e32 v16, 0xffffffd0, v6
	v_lshlrev_b32_e32 v8, 4, v8
	v_mad_u32_u24 v179, 0x430, v7, v10
	v_add_nc_u32_e32 v10, 0x220, v15
	v_mad_u32_u24 v177, 0x430, v7, v9
	s_mul_hi_u32 s2, s8, s12
	v_mad_u32_u24 v178, 0x430, v7, v8
	s_mul_i32 s4, s9, s12
	v_mad_u64_u32 v[7:8], null, s16, v10, 0
	s_add_i32 s1, s2, s1
	v_add_nc_u32_e32 v12, 0x530, v15
	s_add_i32 s5, s1, s4
	s_mul_i32 s4, s8, s12
	v_add_nc_u32_e32 v17, 0x210, v15
	s_lshl_b64 s[4:5], s[4:5], 4
	v_mov_b32_e32 v6, v8
	v_sub_co_u32 v171, vcc_lo, v40, s4
	v_subrev_co_ci_u32_e64 v172, null, s5, v41, vcc_lo
	v_mad_u64_u32 v[10:11], null, s17, v10, v[6:7]
	v_sub_co_u32 v7, vcc_lo, v7, v38
	v_mad_u64_u32 v[8:9], null, s16, v12, 0
	v_add_nc_u32_e32 v18, 0x500, v15
	v_add_nc_u32_e32 v174, 0x4300, v15
	v_sub_co_ci_u32_e64 v14, null, v10, v39, vcc_lo
	v_mad_u64_u32 v[10:11], null, s16, v17, 0
	v_add_co_u32 v195, vcc_lo, v42, v7
	v_add_co_ci_u32_e64 v196, null, v43, v14, vcc_lo
	v_lshlrev_b32_e32 v170, 2, v1
	v_add_nc_u32_e32 v173, 0x4300, v169
	v_mad_u64_u32 v[12:13], null, s17, v12, v[9:10]
	v_sub_co_u32 v9, vcc_lo, v8, v38
	v_mov_b32_e32 v7, v11
	v_mad_u64_u32 v[13:14], null, s16, v18, 0
	v_add_nc_u32_e32 v175, 0x4700, v169
	v_sub_co_ci_u32_e64 v11, null, v12, v39, vcc_lo
	v_add_nc_u32_e32 v12, 0x200, v15
	v_add_co_u32 v197, vcc_lo, v42, v9
	v_mad_u64_u32 v[7:8], null, s17, v17, v[7:8]
	v_add_co_ci_u32_e64 v198, null, v43, v11, vcc_lo
	v_sub_co_u32 v11, vcc_lo, v10, v38
	v_mad_u64_u32 v[9:10], null, s16, v12, 0
	v_mov_b32_e32 v8, v14
	v_sub_co_ci_u32_e64 v14, null, v7, v39, vcc_lo
	v_add_nc_u32_e32 v17, 0x510, v15
	v_add_co_u32 v199, vcc_lo, v42, v11
	v_mad_u64_u32 v[7:8], null, s17, v18, v[8:9]
	v_add_co_ci_u32_e64 v200, null, v43, v14, vcc_lo
	v_sub_co_u32 v13, vcc_lo, v13, v38
	v_mov_b32_e32 v8, v10
	v_mad_u64_u32 v[10:11], null, s16, v17, 0
	v_sub_co_ci_u32_e64 v14, null, v7, v39, vcc_lo
	v_add_co_u32 v201, vcc_lo, v42, v13
	v_mad_u64_u32 v[7:8], null, s17, v12, v[8:9]
	v_add_co_ci_u32_e64 v202, null, v43, v14, vcc_lo
	v_add_nc_u32_e32 v14, 0x230, v15
	v_mov_b32_e32 v8, v11
	v_sub_co_u32 v9, vcc_lo, v9, v38
	v_sub_co_ci_u32_e64 v13, null, v7, v39, vcc_lo
	v_mad_u64_u32 v[11:12], null, s16, v14, 0
	v_mad_u64_u32 v[7:8], null, s17, v17, v[8:9]
	v_add_nc_u32_e32 v17, 0x320, v15
	v_add_co_u32 v203, vcc_lo, v42, v9
	v_add_co_ci_u32_e64 v204, null, v43, v13, vcc_lo
	v_mov_b32_e32 v8, v12
	v_mad_u64_u32 v[12:13], null, s16, v17, 0
	v_sub_co_u32 v9, vcc_lo, v10, v38
	v_sub_co_ci_u32_e64 v10, null, v7, v39, vcc_lo
	v_mad_u32_u24 v176, 0x10c0, v1, v169
	v_mad_u64_u32 v[7:8], null, s17, v14, v[8:9]
	v_mov_b32_e32 v8, v13
	v_add_nc_u32_e32 v13, 0x520, v15
	v_add_co_u32 v205, vcc_lo, v42, v9
	v_add_co_ci_u32_e64 v206, null, v43, v10, vcc_lo
	v_mad_u64_u32 v[9:10], null, s16, v13, 0
	v_sub_co_u32 v11, vcc_lo, v11, v38
	v_sub_co_ci_u32_e64 v14, null, v7, v39, vcc_lo
	v_cmp_gt_u32_e64 s1, 64, v44
	v_add_co_u32 v207, vcc_lo, v42, v11
	v_mad_u64_u32 v[7:8], null, s17, v17, v[8:9]
	v_add_nc_u32_e32 v17, 0x430, v15
	v_add_co_ci_u32_e64 v208, null, v43, v14, vcc_lo
	v_sub_co_u32 v12, vcc_lo, v12, v38
	v_mov_b32_e32 v8, v10
	v_mad_u64_u32 v[10:11], null, s16, v17, 0
	v_sub_co_ci_u32_e64 v14, null, v7, v39, vcc_lo
	v_add_co_u32 v209, vcc_lo, v42, v12
	v_mad_u64_u32 v[7:8], null, s17, v13, v[8:9]
	v_add_co_ci_u32_e64 v210, null, v43, v14, vcc_lo
	v_add_nc_u32_e32 v14, 0x310, v15
	v_mov_b32_e32 v8, v11
	v_sub_co_u32 v9, vcc_lo, v9, v38
	v_sub_co_ci_u32_e64 v13, null, v7, v39, vcc_lo
	v_mad_u64_u32 v[11:12], null, s16, v14, 0
	v_mad_u64_u32 v[7:8], null, s17, v17, v[8:9]
	v_add_nc_u32_e32 v17, 0x400, v15
	v_add_co_u32 v211, vcc_lo, v42, v9
	v_add_co_ci_u32_e64 v212, null, v43, v13, vcc_lo
	v_mov_b32_e32 v8, v12
	v_mad_u64_u32 v[12:13], null, s16, v17, 0
	v_sub_co_u32 v9, vcc_lo, v10, v38
	v_sub_co_ci_u32_e64 v10, null, v7, v39, vcc_lo
	v_or_b32_e32 v180, 1, v170
	v_mad_u64_u32 v[7:8], null, s17, v14, v[8:9]
	v_mov_b32_e32 v8, v13
	v_add_nc_u32_e32 v13, 0x300, v15
	v_add_co_u32 v213, vcc_lo, v42, v9
	v_add_co_ci_u32_e64 v214, null, v43, v10, vcc_lo
	v_mad_u64_u32 v[9:10], null, s16, v13, 0
	v_sub_co_u32 v11, vcc_lo, v11, v38
	v_sub_co_ci_u32_e64 v14, null, v7, v39, vcc_lo
	v_or_b32_e32 v181, 2, v170
	v_add_co_u32 v215, vcc_lo, v42, v11
	v_mad_u64_u32 v[7:8], null, s17, v17, v[8:9]
	v_add_nc_u32_e32 v17, 0x410, v15
	v_mov_b32_e32 v8, v10
	v_add_co_ci_u32_e64 v216, null, v43, v14, vcc_lo
	v_sub_co_u32 v12, vcc_lo, v12, v38
	v_mad_u64_u32 v[10:11], null, s16, v17, 0
	v_sub_co_ci_u32_e64 v14, null, v7, v39, vcc_lo
	v_mad_u64_u32 v[7:8], null, s17, v13, v[8:9]
	v_add_co_u32 v217, vcc_lo, v42, v12
	v_add_co_ci_u32_e64 v218, null, v43, v14, vcc_lo
	v_mov_b32_e32 v8, v11
	v_sub_co_u32 v11, vcc_lo, v9, v38
	v_sub_co_ci_u32_e64 v12, null, v7, v39, vcc_lo
	v_add_nc_u32_e32 v14, 0x420, v15
	v_add_nc_u32_e32 v13, 0x330, v15
	v_add_co_u32 v219, vcc_lo, v42, v11
	v_mad_u64_u32 v[7:8], null, s17, v17, v[8:9]
	v_add_co_ci_u32_e64 v220, null, v43, v12, vcc_lo
	v_mad_u64_u32 v[11:12], null, s16, v14, 0
	v_mad_u64_u32 v[8:9], null, s16, v13, 0
	v_sub_co_u32 v15, vcc_lo, v10, v38
	v_sub_co_ci_u32_e64 v17, null, v7, v39, vcc_lo
	v_mov_b32_e32 v7, v12
	v_add_co_u32 v221, vcc_lo, v42, v15
	v_mad_u64_u32 v[9:10], null, s17, v13, v[9:10]
	v_mad_u64_u32 v[12:13], null, s17, v14, v[7:8]
	v_add_co_ci_u32_e64 v222, null, v43, v17, vcc_lo
	v_sub_co_u32 v7, vcc_lo, v8, v38
	v_sub_co_ci_u32_e64 v8, null, v9, v39, vcc_lo
	v_sub_co_u32 v9, vcc_lo, v11, v38
	v_sub_co_ci_u32_e64 v10, null, v12, v39, vcc_lo
	v_add_co_u32 v223, vcc_lo, v42, v7
	v_add_co_ci_u32_e64 v224, null, v43, v8, vcc_lo
	v_add_co_u32 v225, vcc_lo, v42, v9
	v_or_b32_e32 v182, 3, v170
	v_add_nc_u32_e32 v183, 16, v170
	v_add_nc_u32_e32 v184, 17, v170
	;; [unrolled: 1-line block ×12, first 2 shown]
	v_mov_b32_e32 v6, 0
	v_add_co_ci_u32_e64 v226, null, v43, v10, vcc_lo
	v_add_nc_u32_e32 v227, v177, v16
	s_add_i32 s11, s19, -2
	s_add_i32 s12, s12, 64
	s_lshl_b64 s[4:5], s[16:17], 10
	s_cmp_eq_u32 s11, s6
	s_cselect_b32 s13, s22, 0
	s_and_saveexec_b32 s2, s0
	s_cbranch_execz .LBB188_102
	s_branch .LBB188_98
.LBB188_97:                             ;   in Loop: Header=BB188_102 Depth=1
	s_mov_b32 s6, s2
	s_cmp_eq_u32 s11, s6
	s_cselect_b32 s13, s22, 0
	s_and_saveexec_b32 s2, s0
	s_cbranch_execz .LBB188_102
.LBB188_98:
	v_cmp_le_i32_e32 vcc_lo, s13, v0
	s_cmp_lg_u32 s13, 0
	s_cselect_b32 s14, -1, 0
	s_and_b32 s14, s14, vcc_lo
	s_and_saveexec_b32 s15, s14
	s_xor_b32 s14, exec_lo, s15
	s_cbranch_execz .LBB188_100
; %bb.99:
	v_mov_b32_e32 v7, v6
	v_mov_b32_e32 v8, v6
	;; [unrolled: 1-line block ×3, first 2 shown]
	ds_write_b128 v173, v[6:9]
.LBB188_100:
	s_andn2_saveexec_b32 s14, s14
	s_cbranch_execz .LBB188_102
; %bb.101:
	s_ashr_i32 s14, s12, 31
	s_mul_hi_u32 s15, s8, s12
	s_mul_i32 s14, s8, s14
	s_mul_i32 s16, s9, s12
	s_add_i32 s15, s15, s14
	s_mul_i32 s14, s8, s12
	s_add_i32 s15, s15, s16
	s_lshl_b64 s[14:15], s[14:15], 4
	v_add_co_u32 v7, vcc_lo, v171, s14
	v_add_co_ci_u32_e64 v8, null, s15, v172, vcc_lo
	flat_load_dwordx4 v[7:10], v[7:8]
	s_waitcnt vmcnt(0) lgkmcnt(0)
	ds_write2_b64 v173, v[7:8], v[9:10] offset1:1
.LBB188_102:                            ; =>This Inner Loop Header: Depth=1
	s_or_b32 exec_lo, exec_lo, s2
	s_cmp_eq_u32 s13, 0
	v_add_co_u32 v19, vcc_lo, v203, v169
	s_cselect_b32 s14, -1, 0
	s_cmp_lg_u32 s13, 0
	v_add_co_ci_u32_e64 v20, null, 0, v204, vcc_lo
	s_cselect_b32 s2, -1, 0
	s_waitcnt lgkmcnt(0)
	s_and_b32 vcc_lo, exec_lo, s2
	s_barrier
	buffer_gl0_inv
	s_cbranch_vccz .LBB188_110
; %bb.103:                              ;   in Loop: Header=BB188_102 Depth=1
	v_mov_b32_e32 v7, 0
	v_mov_b32_e32 v11, 0
	;; [unrolled: 1-line block ×6, first 2 shown]
	s_mov_b32 s15, exec_lo
	v_cmpx_gt_i32_e64 s13, v170
	s_cbranch_execz .LBB188_105
; %bb.104:                              ;   in Loop: Header=BB188_102 Depth=1
	flat_load_dwordx4 v[11:14], v[19:20]
.LBB188_105:                            ;   in Loop: Header=BB188_102 Depth=1
	s_or_b32 exec_lo, exec_lo, s15
	v_mov_b32_e32 v9, 0
	v_mov_b32_e32 v10, 0
	s_mov_b32 s15, exec_lo
	v_cmpx_gt_i32_e64 s13, v180
	s_cbranch_execz .LBB188_107
; %bb.106:                              ;   in Loop: Header=BB188_102 Depth=1
	v_add_co_u32 v7, vcc_lo, v199, v169
	v_add_co_ci_u32_e64 v8, null, 0, v200, vcc_lo
	flat_load_dwordx4 v[7:10], v[7:8]
.LBB188_107:                            ;   in Loop: Header=BB188_102 Depth=1
	s_or_b32 exec_lo, exec_lo, s15
	v_mov_b32_e32 v15, 0
	v_mov_b32_e32 v17, 0
	;; [unrolled: 1-line block ×4, first 2 shown]
	s_mov_b32 s15, exec_lo
	v_cmpx_gt_i32_e64 s13, v181
	s_cbranch_execz .LBB188_109
; %bb.108:                              ;   in Loop: Header=BB188_102 Depth=1
	v_add_co_u32 v15, vcc_lo, v195, v169
	v_add_co_ci_u32_e64 v16, null, 0, v196, vcc_lo
	flat_load_dwordx4 v[15:18], v[15:16]
.LBB188_109:                            ;   in Loop: Header=BB188_102 Depth=1
	s_or_b32 exec_lo, exec_lo, s15
	v_cmp_gt_i32_e64 s15, s13, v182
	s_branch .LBB188_112
.LBB188_110:                            ;   in Loop: Header=BB188_102 Depth=1
	s_mov_b32 s15, 0
                                        ; implicit-def: $vgpr17_vgpr18
                                        ; implicit-def: $vgpr9_vgpr10
                                        ; implicit-def: $vgpr13_vgpr14
	s_cbranch_execz .LBB188_112
; %bb.111:                              ;   in Loop: Header=BB188_102 Depth=1
	s_waitcnt vmcnt(0) lgkmcnt(0)
	v_add_co_u32 v7, vcc_lo, v199, v169
	v_add_co_ci_u32_e64 v8, null, 0, v200, vcc_lo
	v_add_co_u32 v15, vcc_lo, v195, v169
	v_add_co_ci_u32_e64 v16, null, 0, v196, vcc_lo
	flat_load_dwordx4 v[11:14], v[19:20]
	flat_load_dwordx4 v[7:10], v[7:8]
	;; [unrolled: 1-line block ×3, first 2 shown]
	s_or_b32 s15, s15, exec_lo
.LBB188_112:                            ;   in Loop: Header=BB188_102 Depth=1
	v_mov_b32_e32 v19, 0
	v_mov_b32_e32 v21, 0
	;; [unrolled: 1-line block ×4, first 2 shown]
	s_and_saveexec_b32 s16, s15
	s_cbranch_execz .LBB188_114
; %bb.113:                              ;   in Loop: Header=BB188_102 Depth=1
	v_add_co_u32 v19, vcc_lo, v207, v169
	v_add_co_ci_u32_e64 v20, null, 0, v208, vcc_lo
	flat_load_dwordx4 v[19:22], v[19:20]
.LBB188_114:                            ;   in Loop: Header=BB188_102 Depth=1
	s_or_b32 exec_lo, exec_lo, s16
	ds_read_b128 v[23:26], v175
	v_cndmask_b32_e64 v119, 0, 1, s2
	s_waitcnt vmcnt(0) lgkmcnt(0)
	v_mul_f64 v[27:28], v[13:14], v[25:26]
	v_mul_f64 v[29:30], v[11:12], v[25:26]
	;; [unrolled: 1-line block ×8, first 2 shown]
	v_fma_f64 v[39:40], v[11:12], v[23:24], -v[27:28]
	v_fma_f64 v[41:42], v[13:14], v[23:24], v[29:30]
	v_fma_f64 v[43:44], v[7:8], v[23:24], -v[31:32]
	v_fma_f64 v[45:46], v[9:10], v[23:24], v[33:34]
	;; [unrolled: 2-line block ×4, first 2 shown]
	ds_read_b128 v[35:38], v174
	ds_read_b128 v[31:34], v174 offset:16
	ds_read_b128 v[27:30], v174 offset:32
	;; [unrolled: 1-line block ×3, first 2 shown]
	ds_write_b128 v176, v[39:42]
	ds_write_b128 v176, v[43:46] offset:1072
	ds_write_b128 v176, v[47:50] offset:2144
	;; [unrolled: 1-line block ×3, first 2 shown]
	s_waitcnt lgkmcnt(0)
	s_barrier
	buffer_gl0_inv
	ds_read_b128 v[99:102], v177
	ds_read_b128 v[95:98], v177 offset:16
	ds_read_b128 v[91:94], v177 offset:32
	;; [unrolled: 1-line block ×3, first 2 shown]
	v_add_co_u32 v51, vcc_lo, v219, v169
	v_add_co_ci_u32_e64 v52, null, 0, v220, vcc_lo
	s_andn2_b32 vcc_lo, exec_lo, s2
	s_waitcnt lgkmcnt(0)
	s_barrier
	buffer_gl0_inv
	s_cbranch_vccnz .LBB188_122
; %bb.115:                              ;   in Loop: Header=BB188_102 Depth=1
	v_mov_b32_e32 v39, 0
	v_mov_b32_e32 v43, 0
	;; [unrolled: 1-line block ×6, first 2 shown]
	s_mov_b32 s2, exec_lo
	v_cmpx_gt_i32_e64 s13, v183
	s_cbranch_execz .LBB188_117
; %bb.116:                              ;   in Loop: Header=BB188_102 Depth=1
	flat_load_dwordx4 v[43:46], v[51:52]
.LBB188_117:                            ;   in Loop: Header=BB188_102 Depth=1
	s_or_b32 exec_lo, exec_lo, s2
	v_mov_b32_e32 v41, 0
	v_mov_b32_e32 v42, 0
	s_mov_b32 s2, exec_lo
	v_cmpx_gt_i32_e64 s13, v184
	s_cbranch_execz .LBB188_119
; %bb.118:                              ;   in Loop: Header=BB188_102 Depth=1
	v_add_co_u32 v39, vcc_lo, v215, v169
	v_add_co_ci_u32_e64 v40, null, 0, v216, vcc_lo
	flat_load_dwordx4 v[39:42], v[39:40]
.LBB188_119:                            ;   in Loop: Header=BB188_102 Depth=1
	s_or_b32 exec_lo, exec_lo, s2
	v_mov_b32_e32 v47, 0
	v_mov_b32_e32 v49, 0
	;; [unrolled: 1-line block ×4, first 2 shown]
	s_mov_b32 s2, exec_lo
	v_cmpx_gt_i32_e64 s13, v185
	s_cbranch_execz .LBB188_121
; %bb.120:                              ;   in Loop: Header=BB188_102 Depth=1
	v_add_co_u32 v47, vcc_lo, v209, v169
	v_add_co_ci_u32_e64 v48, null, 0, v210, vcc_lo
	flat_load_dwordx4 v[47:50], v[47:48]
.LBB188_121:                            ;   in Loop: Header=BB188_102 Depth=1
	s_or_b32 exec_lo, exec_lo, s2
	v_cmp_gt_i32_e64 s2, s13, v186
	s_branch .LBB188_124
.LBB188_122:                            ;   in Loop: Header=BB188_102 Depth=1
	s_mov_b32 s2, 0
                                        ; implicit-def: $vgpr49_vgpr50
                                        ; implicit-def: $vgpr41_vgpr42
                                        ; implicit-def: $vgpr45_vgpr46
	s_cbranch_execz .LBB188_124
; %bb.123:                              ;   in Loop: Header=BB188_102 Depth=1
	s_waitcnt vmcnt(0) lgkmcnt(0)
	v_add_co_u32 v39, vcc_lo, v215, v169
	v_add_co_ci_u32_e64 v40, null, 0, v216, vcc_lo
	v_add_co_u32 v47, vcc_lo, v209, v169
	v_add_co_ci_u32_e64 v48, null, 0, v210, vcc_lo
	flat_load_dwordx4 v[43:46], v[51:52]
	flat_load_dwordx4 v[39:42], v[39:40]
	;; [unrolled: 1-line block ×3, first 2 shown]
	s_or_b32 s2, s2, exec_lo
.LBB188_124:                            ;   in Loop: Header=BB188_102 Depth=1
	v_mov_b32_e32 v51, 0
	v_mov_b32_e32 v53, 0
	;; [unrolled: 1-line block ×4, first 2 shown]
	s_and_saveexec_b32 s15, s2
	s_cbranch_execz .LBB188_126
; %bb.125:                              ;   in Loop: Header=BB188_102 Depth=1
	v_add_co_u32 v51, vcc_lo, v223, v169
	v_add_co_ci_u32_e64 v52, null, 0, v224, vcc_lo
	flat_load_dwordx4 v[51:54], v[51:52]
.LBB188_126:                            ;   in Loop: Header=BB188_102 Depth=1
	s_or_b32 exec_lo, exec_lo, s15
	ds_read_b128 v[55:58], v175
	v_cmp_ne_u32_e32 vcc_lo, 1, v119
	s_and_b32 vcc_lo, exec_lo, vcc_lo
	s_waitcnt vmcnt(0) lgkmcnt(0)
	v_mul_f64 v[59:60], v[45:46], v[57:58]
	v_mul_f64 v[61:62], v[43:44], v[57:58]
	;; [unrolled: 1-line block ×8, first 2 shown]
	v_fma_f64 v[71:72], v[43:44], v[55:56], -v[59:60]
	v_fma_f64 v[73:74], v[45:46], v[55:56], v[61:62]
	v_fma_f64 v[75:76], v[39:40], v[55:56], -v[63:64]
	v_fma_f64 v[77:78], v[41:42], v[55:56], v[65:66]
	;; [unrolled: 2-line block ×4, first 2 shown]
	ds_read_b128 v[67:70], v174 offset:256
	ds_read_b128 v[63:66], v174 offset:272
	;; [unrolled: 1-line block ×4, first 2 shown]
	ds_write_b128 v176, v[71:74]
	ds_write_b128 v176, v[75:78] offset:1072
	ds_write_b128 v176, v[79:82] offset:2144
	;; [unrolled: 1-line block ×3, first 2 shown]
	s_waitcnt lgkmcnt(0)
	s_barrier
	buffer_gl0_inv
	ds_read_b128 v[147:150], v177
	ds_read_b128 v[143:146], v177 offset:16
	ds_read_b128 v[139:142], v177 offset:32
	;; [unrolled: 1-line block ×3, first 2 shown]
	v_add_co_u32 v87, s2, v217, v169
	v_add_co_ci_u32_e64 v88, null, 0, v218, s2
	s_waitcnt lgkmcnt(0)
	s_barrier
	buffer_gl0_inv
	s_cbranch_vccnz .LBB188_134
; %bb.127:                              ;   in Loop: Header=BB188_102 Depth=1
	v_mov_b32_e32 v71, 0
	v_mov_b32_e32 v75, 0
	v_mov_b32_e32 v77, 0
	v_mov_b32_e32 v72, 0
	v_mov_b32_e32 v76, 0
	v_mov_b32_e32 v78, 0
	s_mov_b32 s2, exec_lo
	v_cmpx_gt_i32_e64 s13, v187
	s_cbranch_execz .LBB188_129
; %bb.128:                              ;   in Loop: Header=BB188_102 Depth=1
	flat_load_dwordx4 v[75:78], v[87:88]
.LBB188_129:                            ;   in Loop: Header=BB188_102 Depth=1
	s_or_b32 exec_lo, exec_lo, s2
	v_mov_b32_e32 v73, 0
	v_mov_b32_e32 v74, 0
	s_mov_b32 s2, exec_lo
	v_cmpx_gt_i32_e64 s13, v188
	s_cbranch_execz .LBB188_131
; %bb.130:                              ;   in Loop: Header=BB188_102 Depth=1
	v_add_co_u32 v71, vcc_lo, v221, v169
	v_add_co_ci_u32_e64 v72, null, 0, v222, vcc_lo
	flat_load_dwordx4 v[71:74], v[71:72]
.LBB188_131:                            ;   in Loop: Header=BB188_102 Depth=1
	s_or_b32 exec_lo, exec_lo, s2
	v_mov_b32_e32 v79, 0
	v_mov_b32_e32 v81, 0
	;; [unrolled: 1-line block ×4, first 2 shown]
	s_mov_b32 s2, exec_lo
	v_cmpx_gt_i32_e64 s13, v189
	s_cbranch_execz .LBB188_133
; %bb.132:                              ;   in Loop: Header=BB188_102 Depth=1
	v_add_co_u32 v79, vcc_lo, v225, v169
	v_add_co_ci_u32_e64 v80, null, 0, v226, vcc_lo
	flat_load_dwordx4 v[79:82], v[79:80]
.LBB188_133:                            ;   in Loop: Header=BB188_102 Depth=1
	s_or_b32 exec_lo, exec_lo, s2
	v_cmp_gt_i32_e64 s2, s13, v190
	s_branch .LBB188_136
.LBB188_134:                            ;   in Loop: Header=BB188_102 Depth=1
	s_mov_b32 s2, 0
                                        ; implicit-def: $vgpr81_vgpr82
                                        ; implicit-def: $vgpr73_vgpr74
                                        ; implicit-def: $vgpr77_vgpr78
	s_cbranch_execz .LBB188_136
; %bb.135:                              ;   in Loop: Header=BB188_102 Depth=1
	s_waitcnt vmcnt(0) lgkmcnt(0)
	v_add_co_u32 v71, vcc_lo, v221, v169
	v_add_co_ci_u32_e64 v72, null, 0, v222, vcc_lo
	v_add_co_u32 v79, vcc_lo, v225, v169
	v_add_co_ci_u32_e64 v80, null, 0, v226, vcc_lo
	flat_load_dwordx4 v[75:78], v[87:88]
	flat_load_dwordx4 v[71:74], v[71:72]
	;; [unrolled: 1-line block ×3, first 2 shown]
	s_or_b32 s2, s2, exec_lo
.LBB188_136:                            ;   in Loop: Header=BB188_102 Depth=1
	v_mov_b32_e32 v87, 0
	v_mov_b32_e32 v89, 0
	;; [unrolled: 1-line block ×4, first 2 shown]
	s_and_saveexec_b32 s15, s2
	s_cbranch_execz .LBB188_138
; %bb.137:                              ;   in Loop: Header=BB188_102 Depth=1
	v_add_co_u32 v87, vcc_lo, v213, v169
	v_add_co_ci_u32_e64 v88, null, 0, v214, vcc_lo
	flat_load_dwordx4 v[87:90], v[87:88]
.LBB188_138:                            ;   in Loop: Header=BB188_102 Depth=1
	s_or_b32 exec_lo, exec_lo, s15
	ds_read_b128 v[103:106], v175
	v_cmp_ne_u32_e32 vcc_lo, 1, v119
	s_and_b32 vcc_lo, exec_lo, vcc_lo
	s_waitcnt vmcnt(0) lgkmcnt(0)
	v_mul_f64 v[107:108], v[77:78], v[105:106]
	v_mul_f64 v[109:110], v[75:76], v[105:106]
	;; [unrolled: 1-line block ×8, first 2 shown]
	v_fma_f64 v[120:121], v[75:76], v[103:104], -v[107:108]
	v_fma_f64 v[122:123], v[77:78], v[103:104], v[109:110]
	v_fma_f64 v[124:125], v[71:72], v[103:104], -v[111:112]
	v_fma_f64 v[126:127], v[73:74], v[103:104], v[113:114]
	;; [unrolled: 2-line block ×4, first 2 shown]
	ds_read_b128 v[115:118], v174 offset:512
	ds_read_b128 v[111:114], v174 offset:528
	;; [unrolled: 1-line block ×4, first 2 shown]
	ds_write_b128 v176, v[120:123]
	ds_write_b128 v176, v[124:127] offset:1072
	ds_write_b128 v176, v[128:131] offset:2144
	;; [unrolled: 1-line block ×3, first 2 shown]
	s_waitcnt lgkmcnt(0)
	s_barrier
	buffer_gl0_inv
	ds_read_b128 v[163:166], v177
	ds_read_b128 v[159:162], v177 offset:16
	ds_read_b128 v[155:158], v177 offset:32
	;; [unrolled: 1-line block ×3, first 2 shown]
	v_add_co_u32 v131, s2, v201, v169
	v_add_co_ci_u32_e64 v132, null, 0, v202, s2
	s_waitcnt lgkmcnt(0)
	s_barrier
	buffer_gl0_inv
	s_cbranch_vccnz .LBB188_146
; %bb.139:                              ;   in Loop: Header=BB188_102 Depth=1
	v_mov_b32_e32 v119, 0
	v_mov_b32_e32 v123, 0
	;; [unrolled: 1-line block ×6, first 2 shown]
	s_mov_b32 s2, exec_lo
	v_cmpx_gt_i32_e64 s13, v191
	s_cbranch_execz .LBB188_141
; %bb.140:                              ;   in Loop: Header=BB188_102 Depth=1
	flat_load_dwordx4 v[123:126], v[131:132]
.LBB188_141:                            ;   in Loop: Header=BB188_102 Depth=1
	s_or_b32 exec_lo, exec_lo, s2
	v_mov_b32_e32 v121, 0
	v_mov_b32_e32 v122, 0
	s_mov_b32 s2, exec_lo
	v_cmpx_gt_i32_e64 s13, v192
	s_cbranch_execz .LBB188_143
; %bb.142:                              ;   in Loop: Header=BB188_102 Depth=1
	v_add_co_u32 v119, vcc_lo, v205, v169
	v_add_co_ci_u32_e64 v120, null, 0, v206, vcc_lo
	flat_load_dwordx4 v[119:122], v[119:120]
.LBB188_143:                            ;   in Loop: Header=BB188_102 Depth=1
	s_or_b32 exec_lo, exec_lo, s2
	v_mov_b32_e32 v127, 0
	v_mov_b32_e32 v129, 0
	v_mov_b32_e32 v128, 0
	v_mov_b32_e32 v130, 0
	s_mov_b32 s2, exec_lo
	v_cmpx_gt_i32_e64 s13, v193
	s_cbranch_execz .LBB188_145
; %bb.144:                              ;   in Loop: Header=BB188_102 Depth=1
	v_add_co_u32 v127, vcc_lo, v211, v169
	v_add_co_ci_u32_e64 v128, null, 0, v212, vcc_lo
	flat_load_dwordx4 v[127:130], v[127:128]
.LBB188_145:                            ;   in Loop: Header=BB188_102 Depth=1
	s_or_b32 exec_lo, exec_lo, s2
	v_cmp_gt_i32_e64 s2, s13, v194
	s_branch .LBB188_148
.LBB188_146:                            ;   in Loop: Header=BB188_102 Depth=1
	s_mov_b32 s2, 0
                                        ; implicit-def: $vgpr129_vgpr130
                                        ; implicit-def: $vgpr121_vgpr122
                                        ; implicit-def: $vgpr125_vgpr126
	s_cbranch_execz .LBB188_148
; %bb.147:                              ;   in Loop: Header=BB188_102 Depth=1
	s_waitcnt vmcnt(0) lgkmcnt(0)
	v_add_co_u32 v119, vcc_lo, v205, v169
	v_add_co_ci_u32_e64 v120, null, 0, v206, vcc_lo
	v_add_co_u32 v127, vcc_lo, v211, v169
	v_add_co_ci_u32_e64 v128, null, 0, v212, vcc_lo
	flat_load_dwordx4 v[123:126], v[131:132]
	flat_load_dwordx4 v[119:122], v[119:120]
	;; [unrolled: 1-line block ×3, first 2 shown]
	s_or_b32 s2, s2, exec_lo
.LBB188_148:                            ;   in Loop: Header=BB188_102 Depth=1
	v_mov_b32_e32 v131, 0
	v_mov_b32_e32 v133, 0
	;; [unrolled: 1-line block ×4, first 2 shown]
	s_and_saveexec_b32 s15, s2
	s_cbranch_execz .LBB188_150
; %bb.149:                              ;   in Loop: Header=BB188_102 Depth=1
	v_add_co_u32 v131, vcc_lo, v197, v169
	v_add_co_ci_u32_e64 v132, null, 0, v198, vcc_lo
	flat_load_dwordx4 v[131:134], v[131:132]
.LBB188_150:                            ;   in Loop: Header=BB188_102 Depth=1
	s_or_b32 exec_lo, exec_lo, s15
	ds_read_b128 v[228:231], v175
	v_add_f64 v[163:164], v[163:164], 0
	v_add_f64 v[165:166], v[165:166], 0
	;; [unrolled: 1-line block ×6, first 2 shown]
	v_cmp_gt_i32_e32 vcc_lo, s13, v0
	s_or_b32 s2, s14, vcc_lo
	s_and_b32 s13, s1, s2
	s_waitcnt vmcnt(0) lgkmcnt(0)
	v_mul_f64 v[232:233], v[125:126], v[230:231]
	v_mul_f64 v[234:235], v[123:124], v[230:231]
	;; [unrolled: 1-line block ×8, first 2 shown]
	v_add_f64 v[159:160], v[163:164], v[159:160]
	v_add_f64 v[161:162], v[165:166], v[161:162]
	v_add_f64 v[143:144], v[147:148], v[143:144]
	v_add_f64 v[145:146], v[149:150], v[145:146]
	v_add_f64 v[95:96], v[99:100], v[95:96]
	v_add_f64 v[97:98], v[101:102], v[97:98]
	v_fma_f64 v[232:233], v[123:124], v[228:229], -v[232:233]
	v_fma_f64 v[234:235], v[125:126], v[228:229], v[234:235]
	v_fma_f64 v[236:237], v[119:120], v[228:229], -v[236:237]
	v_fma_f64 v[238:239], v[121:122], v[228:229], v[238:239]
	;; [unrolled: 2-line block ×4, first 2 shown]
	v_add_f64 v[147:148], v[159:160], v[155:156]
	v_add_f64 v[149:150], v[161:162], v[157:158]
	;; [unrolled: 1-line block ×6, first 2 shown]
	ds_write_b128 v176, v[232:235]
	ds_write_b128 v176, v[236:239] offset:1072
	ds_write_b128 v176, v[240:243] offset:2144
	ds_read_b128 v[139:142], v174 offset:768
	ds_read_b128 v[99:102], v174 offset:784
	ds_write_b128 v176, v[244:247] offset:3216
	v_add_f64 v[143:144], v[147:148], v[151:152]
	v_add_f64 v[145:146], v[149:150], v[153:154]
	ds_read_b128 v[95:98], v174 offset:800
	ds_read_b128 v[91:94], v174 offset:816
	s_waitcnt lgkmcnt(0)
	s_barrier
	buffer_gl0_inv
	ds_read_b128 v[147:150], v177
	ds_read_b128 v[151:154], v177 offset:16
	v_add_f64 v[135:136], v[155:156], v[135:136]
	v_add_f64 v[137:138], v[157:158], v[137:138]
	;; [unrolled: 1-line block ×4, first 2 shown]
	s_waitcnt lgkmcnt(1)
	v_add_f64 v[147:148], v[147:148], 0
	v_add_f64 v[149:150], v[149:150], 0
	s_waitcnt lgkmcnt(0)
	v_add_f64 v[155:156], v[147:148], v[151:152]
	v_add_f64 v[157:158], v[149:150], v[153:154]
	ds_read_b128 v[147:150], v177 offset:32
	ds_read_b128 v[151:154], v177 offset:48
	s_waitcnt lgkmcnt(0)
	s_barrier
	buffer_gl0_inv
	v_add_f64 v[147:148], v[155:156], v[147:148]
	v_add_f64 v[149:150], v[157:158], v[149:150]
	;; [unrolled: 1-line block ×4, first 2 shown]
	ds_write_b128 v227, v[83:86]
	ds_write_b128 v227, v[135:138] offset:256
	ds_write_b128 v227, v[143:146] offset:512
	;; [unrolled: 1-line block ×3, first 2 shown]
	s_waitcnt lgkmcnt(0)
	s_barrier
	buffer_gl0_inv
	s_and_saveexec_b32 s2, s13
	s_cbranch_execz .LBB188_152
; %bb.151:                              ;   in Loop: Header=BB188_102 Depth=1
	ds_read_b128 v[83:86], v178
	ds_read_b128 v[135:138], v178 offset:16
	s_waitcnt lgkmcnt(0)
	v_add_f64 v[143:144], v[135:136], v[83:84]
	v_add_f64 v[145:146], v[137:138], v[85:86]
	ds_read_b128 v[83:86], v178 offset:32
	ds_read_b128 v[135:138], v178 offset:48
	s_waitcnt lgkmcnt(1)
	v_add_f64 v[83:84], v[143:144], v[83:84]
	v_add_f64 v[85:86], v[145:146], v[85:86]
	s_waitcnt lgkmcnt(0)
	v_add_f64 v[143:144], v[83:84], v[135:136]
	v_add_f64 v[145:146], v[85:86], v[137:138]
	ds_read_b128 v[83:86], v178 offset:64
	ds_read_b128 v[135:138], v178 offset:80
	s_waitcnt lgkmcnt(1)
	v_add_f64 v[83:84], v[143:144], v[83:84]
	v_add_f64 v[85:86], v[145:146], v[85:86]
	s_waitcnt lgkmcnt(0)
	v_add_f64 v[143:144], v[83:84], v[135:136]
	v_add_f64 v[145:146], v[85:86], v[137:138]
	ds_read_b128 v[83:86], v178 offset:96
	ds_read_b128 v[135:138], v178 offset:112
	s_waitcnt lgkmcnt(1)
	v_add_f64 v[83:84], v[143:144], v[83:84]
	v_add_f64 v[85:86], v[145:146], v[85:86]
	s_waitcnt lgkmcnt(0)
	v_add_f64 v[143:144], v[83:84], v[135:136]
	v_add_f64 v[145:146], v[85:86], v[137:138]
	ds_read_b128 v[83:86], v178 offset:128
	ds_read_b128 v[135:138], v178 offset:144
	s_waitcnt lgkmcnt(1)
	v_add_f64 v[83:84], v[143:144], v[83:84]
	v_add_f64 v[85:86], v[145:146], v[85:86]
	s_waitcnt lgkmcnt(0)
	v_add_f64 v[143:144], v[83:84], v[135:136]
	v_add_f64 v[145:146], v[85:86], v[137:138]
	ds_read_b128 v[83:86], v178 offset:160
	ds_read_b128 v[135:138], v178 offset:176
	s_waitcnt lgkmcnt(1)
	v_add_f64 v[83:84], v[143:144], v[83:84]
	v_add_f64 v[85:86], v[145:146], v[85:86]
	s_waitcnt lgkmcnt(0)
	v_add_f64 v[143:144], v[83:84], v[135:136]
	v_add_f64 v[145:146], v[85:86], v[137:138]
	ds_read_b128 v[83:86], v178 offset:192
	ds_read_b128 v[135:138], v178 offset:208
	s_waitcnt lgkmcnt(1)
	v_add_f64 v[83:84], v[143:144], v[83:84]
	v_add_f64 v[85:86], v[145:146], v[85:86]
	s_waitcnt lgkmcnt(0)
	v_add_f64 v[143:144], v[83:84], v[135:136]
	v_add_f64 v[145:146], v[85:86], v[137:138]
	ds_read_b128 v[83:86], v178 offset:224
	ds_read_b128 v[135:138], v179
	s_waitcnt lgkmcnt(1)
	v_add_f64 v[83:84], v[143:144], v[83:84]
	v_add_f64 v[85:86], v[145:146], v[85:86]
	v_add_nc_u32_e32 v143, s12, v0
	v_ashrrev_i32_e32 v144, 31, v143
	s_waitcnt lgkmcnt(0)
	v_add_f64 v[83:84], v[83:84], v[135:136]
	v_add_f64 v[85:86], v[85:86], v[137:138]
	v_lshlrev_b64 v[135:136], 4, v[143:144]
	v_add_co_u32 v135, vcc_lo, s3, v135
	v_add_co_ci_u32_e64 v136, null, s7, v136, vcc_lo
	global_store_dwordx4 v[135:136], v[83:86], off
.LBB188_152:                            ;   in Loop: Header=BB188_102 Depth=1
	s_or_b32 exec_lo, exec_lo, s2
	v_mul_f64 v[83:84], v[13:14], v[37:38]
	v_mul_f64 v[37:38], v[11:12], v[37:38]
	;; [unrolled: 1-line block ×4, first 2 shown]
	v_add_co_u32 v195, vcc_lo, v195, s4
	v_add_co_ci_u32_e64 v196, null, s5, v196, vcc_lo
	v_add_co_u32 v197, vcc_lo, v197, s4
	v_add_co_ci_u32_e64 v198, null, s5, v198, vcc_lo
	;; [unrolled: 2-line block ×4, first 2 shown]
	v_add_co_u32 v203, vcc_lo, v203, s4
	v_fma_f64 v[11:12], v[11:12], v[35:36], -v[83:84]
	v_fma_f64 v[13:14], v[13:14], v[35:36], v[37:38]
	v_mul_f64 v[35:36], v[17:18], v[29:30]
	v_mul_f64 v[29:30], v[15:16], v[29:30]
	v_fma_f64 v[7:8], v[7:8], v[31:32], -v[85:86]
	v_fma_f64 v[9:10], v[9:10], v[31:32], v[33:34]
	v_add_co_ci_u32_e64 v204, null, s5, v204, vcc_lo
	v_add_co_u32 v205, vcc_lo, v205, s4
	v_add_co_ci_u32_e64 v206, null, s5, v206, vcc_lo
	v_add_co_u32 v207, vcc_lo, v207, s4
	;; [unrolled: 2-line block ×4, first 2 shown]
	v_add_f64 v[2:3], v[2:3], v[11:12]
	v_add_f64 v[4:5], v[4:5], v[13:14]
	v_mul_f64 v[11:12], v[21:22], v[25:26]
	v_mul_f64 v[13:14], v[19:20], v[25:26]
	v_fma_f64 v[15:16], v[15:16], v[27:28], -v[35:36]
	v_fma_f64 v[17:18], v[17:18], v[27:28], v[29:30]
	v_add_co_ci_u32_e64 v212, null, s5, v212, vcc_lo
	v_add_co_u32 v213, vcc_lo, v213, s4
	v_add_co_ci_u32_e64 v214, null, s5, v214, vcc_lo
	v_add_co_u32 v215, vcc_lo, v215, s4
	;; [unrolled: 2-line block ×4, first 2 shown]
	v_add_f64 v[2:3], v[2:3], v[7:8]
	v_add_f64 v[4:5], v[4:5], v[9:10]
	v_mul_f64 v[7:8], v[45:46], v[69:70]
	v_mul_f64 v[9:10], v[43:44], v[69:70]
	v_fma_f64 v[11:12], v[19:20], v[23:24], -v[11:12]
	v_fma_f64 v[13:14], v[21:22], v[23:24], v[13:14]
	v_add_co_ci_u32_e64 v220, null, s5, v220, vcc_lo
	v_add_co_u32 v221, vcc_lo, v221, s4
	v_add_co_ci_u32_e64 v222, null, s5, v222, vcc_lo
	v_add_co_u32 v223, vcc_lo, v223, s4
	;; [unrolled: 2-line block ×3, first 2 shown]
	v_add_co_ci_u32_e64 v226, null, s5, v226, vcc_lo
	s_add_i32 s2, s6, 1
	s_add_i32 s6, s6, 2
	v_add_f64 v[2:3], v[2:3], v[15:16]
	v_add_f64 v[4:5], v[4:5], v[17:18]
	v_mul_f64 v[15:16], v[41:42], v[65:66]
	v_mul_f64 v[17:18], v[39:40], v[65:66]
	v_fma_f64 v[7:8], v[43:44], v[67:68], -v[7:8]
	v_fma_f64 v[9:10], v[45:46], v[67:68], v[9:10]
	s_add_i32 s12, s12, 64
	s_cmp_ge_u32 s6, s19
	s_waitcnt_vscnt null, 0x0
	s_barrier
	buffer_gl0_inv
	v_add_f64 v[2:3], v[2:3], v[11:12]
	v_add_f64 v[4:5], v[4:5], v[13:14]
	v_mul_f64 v[11:12], v[49:50], v[61:62]
	v_mul_f64 v[13:14], v[47:48], v[61:62]
	v_fma_f64 v[15:16], v[39:40], v[63:64], -v[15:16]
	v_fma_f64 v[17:18], v[41:42], v[63:64], v[17:18]
	v_add_f64 v[2:3], v[2:3], v[7:8]
	v_add_f64 v[4:5], v[4:5], v[9:10]
	v_mul_f64 v[7:8], v[53:54], v[57:58]
	v_mul_f64 v[9:10], v[51:52], v[57:58]
	v_fma_f64 v[11:12], v[47:48], v[59:60], -v[11:12]
	v_fma_f64 v[13:14], v[49:50], v[59:60], v[13:14]
	;; [unrolled: 6-line block ×10, first 2 shown]
	v_add_f64 v[2:3], v[2:3], v[7:8]
	v_add_f64 v[4:5], v[4:5], v[9:10]
	v_fma_f64 v[7:8], v[131:132], v[91:92], -v[11:12]
	v_fma_f64 v[9:10], v[133:134], v[91:92], v[13:14]
	v_add_f64 v[2:3], v[2:3], v[15:16]
	v_add_f64 v[4:5], v[4:5], v[17:18]
	;; [unrolled: 1-line block ×4, first 2 shown]
	s_cbranch_scc0 .LBB188_97
.LBB188_153:
	v_cmp_gt_i32_e32 vcc_lo, s10, v0
	v_mad_u32_u24 v1, 0x430, v1, v169
	s_or_b32 s1, s23, vcc_lo
	ds_write_b128 v1, v[2:5]
	s_and_b32 s0, s0, s1
	s_waitcnt lgkmcnt(0)
	s_barrier
	buffer_gl0_inv
	s_and_saveexec_b32 s1, s0
	s_cbranch_execz .LBB188_155
; %bb.154:
	ds_read_b128 v[0:3], v169 offset:1072
	ds_read_b128 v[4:7], v169
	s_waitcnt lgkmcnt(0)
	v_add_f64 v[8:9], v[0:1], v[4:5]
	v_add_f64 v[10:11], v[2:3], v[6:7]
	ds_read_b128 v[0:3], v169 offset:2144
	ds_read_b128 v[4:7], v169 offset:3216
	s_waitcnt lgkmcnt(1)
	v_add_f64 v[0:1], v[8:9], v[0:1]
	v_add_f64 v[2:3], v[10:11], v[2:3]
	s_waitcnt lgkmcnt(0)
	v_add_f64 v[0:1], v[0:1], v[4:5]
	v_add_f64 v[2:3], v[2:3], v[6:7]
	v_lshlrev_b64 v[4:5], 4, v[167:168]
	v_add_co_u32 v4, vcc_lo, s3, v4
	v_add_co_ci_u32_e64 v5, null, s7, v5, vcc_lo
	global_store_dwordx4 v[4:5], v[0:3], off
.LBB188_155:
	s_endpgm
	.section	.rodata,"a",@progbits
	.p2align	6, 0x0
	.amdhsa_kernel _ZL26rocblas_hemvn_kernel_upperILb0ELi64ELi4ELi33ELi32ELi16ElPK19rocblas_complex_numIdEPKS3_PS1_EviT6_lT7_lT5_lS8_lS9_lS7_lT8_i
		.amdhsa_group_segment_fixed_size 19200
		.amdhsa_private_segment_fixed_size 0
		.amdhsa_kernarg_size 376
		.amdhsa_user_sgpr_count 6
		.amdhsa_user_sgpr_private_segment_buffer 1
		.amdhsa_user_sgpr_dispatch_ptr 0
		.amdhsa_user_sgpr_queue_ptr 0
		.amdhsa_user_sgpr_kernarg_segment_ptr 1
		.amdhsa_user_sgpr_dispatch_id 0
		.amdhsa_user_sgpr_flat_scratch_init 0
		.amdhsa_user_sgpr_private_segment_size 0
		.amdhsa_wavefront_size32 1
		.amdhsa_uses_dynamic_stack 0
		.amdhsa_system_sgpr_private_segment_wavefront_offset 0
		.amdhsa_system_sgpr_workgroup_id_x 1
		.amdhsa_system_sgpr_workgroup_id_y 0
		.amdhsa_system_sgpr_workgroup_id_z 1
		.amdhsa_system_sgpr_workgroup_info 0
		.amdhsa_system_vgpr_workitem_id 1
		.amdhsa_next_free_vgpr 248
		.amdhsa_next_free_sgpr 30
		.amdhsa_reserve_vcc 1
		.amdhsa_reserve_flat_scratch 0
		.amdhsa_float_round_mode_32 0
		.amdhsa_float_round_mode_16_64 0
		.amdhsa_float_denorm_mode_32 3
		.amdhsa_float_denorm_mode_16_64 3
		.amdhsa_dx10_clamp 1
		.amdhsa_ieee_mode 1
		.amdhsa_fp16_overflow 0
		.amdhsa_workgroup_processor_mode 1
		.amdhsa_memory_ordered 1
		.amdhsa_forward_progress 1
		.amdhsa_shared_vgpr_count 0
		.amdhsa_exception_fp_ieee_invalid_op 0
		.amdhsa_exception_fp_denorm_src 0
		.amdhsa_exception_fp_ieee_div_zero 0
		.amdhsa_exception_fp_ieee_overflow 0
		.amdhsa_exception_fp_ieee_underflow 0
		.amdhsa_exception_fp_ieee_inexact 0
		.amdhsa_exception_int_div_zero 0
	.end_amdhsa_kernel
	.section	.text._ZL26rocblas_hemvn_kernel_upperILb0ELi64ELi4ELi33ELi32ELi16ElPK19rocblas_complex_numIdEPKS3_PS1_EviT6_lT7_lT5_lS8_lS9_lS7_lT8_i,"axG",@progbits,_ZL26rocblas_hemvn_kernel_upperILb0ELi64ELi4ELi33ELi32ELi16ElPK19rocblas_complex_numIdEPKS3_PS1_EviT6_lT7_lT5_lS8_lS9_lS7_lT8_i,comdat
.Lfunc_end188:
	.size	_ZL26rocblas_hemvn_kernel_upperILb0ELi64ELi4ELi33ELi32ELi16ElPK19rocblas_complex_numIdEPKS3_PS1_EviT6_lT7_lT5_lS8_lS9_lS7_lT8_i, .Lfunc_end188-_ZL26rocblas_hemvn_kernel_upperILb0ELi64ELi4ELi33ELi32ELi16ElPK19rocblas_complex_numIdEPKS3_PS1_EviT6_lT7_lT5_lS8_lS9_lS7_lT8_i
                                        ; -- End function
	.set _ZL26rocblas_hemvn_kernel_upperILb0ELi64ELi4ELi33ELi32ELi16ElPK19rocblas_complex_numIdEPKS3_PS1_EviT6_lT7_lT5_lS8_lS9_lS7_lT8_i.num_vgpr, 248
	.set _ZL26rocblas_hemvn_kernel_upperILb0ELi64ELi4ELi33ELi32ELi16ElPK19rocblas_complex_numIdEPKS3_PS1_EviT6_lT7_lT5_lS8_lS9_lS7_lT8_i.num_agpr, 0
	.set _ZL26rocblas_hemvn_kernel_upperILb0ELi64ELi4ELi33ELi32ELi16ElPK19rocblas_complex_numIdEPKS3_PS1_EviT6_lT7_lT5_lS8_lS9_lS7_lT8_i.numbered_sgpr, 30
	.set _ZL26rocblas_hemvn_kernel_upperILb0ELi64ELi4ELi33ELi32ELi16ElPK19rocblas_complex_numIdEPKS3_PS1_EviT6_lT7_lT5_lS8_lS9_lS7_lT8_i.num_named_barrier, 0
	.set _ZL26rocblas_hemvn_kernel_upperILb0ELi64ELi4ELi33ELi32ELi16ElPK19rocblas_complex_numIdEPKS3_PS1_EviT6_lT7_lT5_lS8_lS9_lS7_lT8_i.private_seg_size, 0
	.set _ZL26rocblas_hemvn_kernel_upperILb0ELi64ELi4ELi33ELi32ELi16ElPK19rocblas_complex_numIdEPKS3_PS1_EviT6_lT7_lT5_lS8_lS9_lS7_lT8_i.uses_vcc, 1
	.set _ZL26rocblas_hemvn_kernel_upperILb0ELi64ELi4ELi33ELi32ELi16ElPK19rocblas_complex_numIdEPKS3_PS1_EviT6_lT7_lT5_lS8_lS9_lS7_lT8_i.uses_flat_scratch, 0
	.set _ZL26rocblas_hemvn_kernel_upperILb0ELi64ELi4ELi33ELi32ELi16ElPK19rocblas_complex_numIdEPKS3_PS1_EviT6_lT7_lT5_lS8_lS9_lS7_lT8_i.has_dyn_sized_stack, 0
	.set _ZL26rocblas_hemvn_kernel_upperILb0ELi64ELi4ELi33ELi32ELi16ElPK19rocblas_complex_numIdEPKS3_PS1_EviT6_lT7_lT5_lS8_lS9_lS7_lT8_i.has_recursion, 0
	.set _ZL26rocblas_hemvn_kernel_upperILb0ELi64ELi4ELi33ELi32ELi16ElPK19rocblas_complex_numIdEPKS3_PS1_EviT6_lT7_lT5_lS8_lS9_lS7_lT8_i.has_indirect_call, 0
	.section	.AMDGPU.csdata,"",@progbits
; Kernel info:
; codeLenInByte = 11780
; TotalNumSgprs: 32
; NumVgprs: 248
; ScratchSize: 0
; MemoryBound: 1
; FloatMode: 240
; IeeeMode: 1
; LDSByteSize: 19200 bytes/workgroup (compile time only)
; SGPRBlocks: 0
; VGPRBlocks: 30
; NumSGPRsForWavesPerEU: 32
; NumVGPRsForWavesPerEU: 248
; Occupancy: 4
; WaveLimiterHint : 1
; COMPUTE_PGM_RSRC2:SCRATCH_EN: 0
; COMPUTE_PGM_RSRC2:USER_SGPR: 6
; COMPUTE_PGM_RSRC2:TRAP_HANDLER: 0
; COMPUTE_PGM_RSRC2:TGID_X_EN: 1
; COMPUTE_PGM_RSRC2:TGID_Y_EN: 0
; COMPUTE_PGM_RSRC2:TGID_Z_EN: 1
; COMPUTE_PGM_RSRC2:TIDIG_COMP_CNT: 1
	.section	.text._ZL26rocblas_hemvn_kernel_upperILb0ELi64ELi4ELi33ELi32ELi16EiPK19rocblas_complex_numIdEPKS3_PS1_EviT6_lT7_lT5_lS8_lS9_lS7_lT8_i,"axG",@progbits,_ZL26rocblas_hemvn_kernel_upperILb0ELi64ELi4ELi33ELi32ELi16EiPK19rocblas_complex_numIdEPKS3_PS1_EviT6_lT7_lT5_lS8_lS9_lS7_lT8_i,comdat
	.globl	_ZL26rocblas_hemvn_kernel_upperILb0ELi64ELi4ELi33ELi32ELi16EiPK19rocblas_complex_numIdEPKS3_PS1_EviT6_lT7_lT5_lS8_lS9_lS7_lT8_i ; -- Begin function _ZL26rocblas_hemvn_kernel_upperILb0ELi64ELi4ELi33ELi32ELi16EiPK19rocblas_complex_numIdEPKS3_PS1_EviT6_lT7_lT5_lS8_lS9_lS7_lT8_i
	.p2align	8
	.type	_ZL26rocblas_hemvn_kernel_upperILb0ELi64ELi4ELi33ELi32ELi16EiPK19rocblas_complex_numIdEPKS3_PS1_EviT6_lT7_lT5_lS8_lS9_lS7_lT8_i,@function
_ZL26rocblas_hemvn_kernel_upperILb0ELi64ELi4ELi33ELi32ELi16EiPK19rocblas_complex_numIdEPKS3_PS1_EviT6_lT7_lT5_lS8_lS9_lS7_lT8_i: ; @_ZL26rocblas_hemvn_kernel_upperILb0ELi64ELi4ELi33ELi32ELi16EiPK19rocblas_complex_numIdEPKS3_PS1_EviT6_lT7_lT5_lS8_lS9_lS7_lT8_i
; %bb.0:
	s_load_dwordx2 s[0:1], s[4:5], 0x84
	s_add_u32 s20, s4, 0x78
	s_addc_u32 s21, s5, 0
	s_waitcnt lgkmcnt(0)
	s_lshr_b32 s2, s0, 16
	s_and_b32 s0, s0, 0xffff
	s_and_b32 s1, s1, 0xffff
	s_mul_i32 s0, s2, s0
	s_mul_i32 s0, s0, s1
	s_cmpk_lg_i32 s0, 0x100
	s_cbranch_scc1 .LBB189_155
; %bb.1:
	s_load_dwordx8 s[8:15], s[4:5], 0x8
	s_mov_b32 s16, s7
	s_mov_b32 s17, 0
	s_waitcnt lgkmcnt(0)
	s_mul_i32 s1, s11, s7
	s_mul_hi_u32 s2, s10, s7
	s_mul_i32 s0, s10, s7
	s_add_i32 s1, s2, s1
	s_lshl_b64 s[0:1], s[0:1], 4
	s_add_u32 s0, s8, s0
	s_addc_u32 s1, s9, s1
	s_load_dwordx4 s[0:3], s[0:1], 0x0
	s_waitcnt lgkmcnt(0)
	v_cmp_neq_f64_e64 s7, s[0:1], 0
	v_cmp_neq_f64_e64 s8, s[2:3], 0
	s_clause 0x1
	s_load_dwordx2 s[10:11], s[4:5], 0x68
	s_load_dwordx4 s[0:3], s[4:5], 0x58
	s_or_b32 s7, s7, s8
	s_and_b32 vcc_lo, exec_lo, s7
	s_mov_b32 s7, -1
	s_cbranch_vccnz .LBB189_3
; %bb.2:
	s_waitcnt lgkmcnt(0)
	s_mul_i32 s3, s3, s16
	s_mul_hi_u32 s7, s2, s16
	s_mul_i32 s2, s2, s16
	s_add_i32 s3, s7, s3
	s_mov_b32 s7, 0
	s_lshl_b64 s[2:3], s[2:3], 4
	s_add_u32 s0, s0, s2
	s_addc_u32 s1, s1, s3
	s_load_dwordx4 s[0:3], s[0:1], 0x0
	s_waitcnt lgkmcnt(0)
	v_cmp_eq_f64_e64 s0, s[0:1], 1.0
	v_cmp_eq_f64_e64 s1, s[2:3], 0
	s_and_b32 s0, s0, s1
	s_andn2_b32 vcc_lo, exec_lo, s0
.LBB189_3:
	s_andn2_b32 vcc_lo, exec_lo, s7
	s_cbranch_vccnz .LBB189_155
; %bb.4:
	s_waitcnt lgkmcnt(0)
	s_clause 0x1
	s_load_dwordx4 s[0:3], s[4:5], 0x38
	s_load_dword s27, s[4:5], 0x48
	s_lshl_b64 s[8:9], s[16:17], 3
	s_add_u32 s12, s12, s8
	s_addc_u32 s13, s13, s9
	s_waitcnt lgkmcnt(0)
	s_add_u32 s0, s0, s8
	s_addc_u32 s1, s1, s9
	s_lshl_b64 s[2:3], s[2:3], 4
	s_load_dwordx2 s[0:1], s[0:1], 0x0
	s_load_dword s17, s[4:5], 0x0
	s_load_dword s24, s[20:21], 0x0
	s_waitcnt lgkmcnt(0)
	s_add_u32 s0, s0, s2
	s_addc_u32 s1, s1, s3
	s_lshl_b32 s18, s6, 6
	s_load_dwordx2 s[2:3], s[12:13], 0x0
	v_add_nc_u32_e32 v167, s18, v0
	s_ashr_i32 s28, s17, 31
	s_add_i32 s8, s24, -1
	s_lshr_b32 s7, s28, 26
	v_mul_lo_u32 v2, s27, v167
	s_add_i32 s7, s17, s7
	s_andn2_b32 s7, s7, 63
	s_sub_i32 s25, s17, s7
	s_cmp_eq_u32 s6, s8
	s_mov_b32 s7, -1
	v_ashrrev_i32_e32 v3, 31, v2
	s_cselect_b32 s8, s25, 0
	v_lshlrev_b64 v[2:3], 4, v[2:3]
	v_add_co_u32 v38, vcc_lo, s0, v2
	v_add_co_ci_u32_e64 v39, null, s1, v3, vcc_lo
	v_cmp_eq_u32_e64 s0, 0, v1
	s_and_saveexec_b32 s1, s0
	s_cbranch_execz .LBB189_9
; %bb.5:
	v_cmp_le_i32_e32 vcc_lo, s8, v0
	s_cmp_lg_u32 s8, 0
	v_lshl_add_u32 v2, v0, 4, 0x4700
	s_cselect_b32 s9, -1, 0
	s_and_b32 s9, s9, vcc_lo
	s_and_saveexec_b32 s12, s9
	s_xor_b32 s9, exec_lo, s12
	s_cbranch_execz .LBB189_7
; %bb.6:
	v_mov_b32_e32 v3, 0
	v_mov_b32_e32 v4, v3
	;; [unrolled: 1-line block ×4, first 2 shown]
	ds_write_b128 v2, v[3:6]
                                        ; implicit-def: $vgpr2
.LBB189_7:
	s_andn2_saveexec_b32 s9, s9
	s_cbranch_execz .LBB189_9
; %bb.8:
	flat_load_dwordx4 v[3:6], v[38:39]
	s_waitcnt vmcnt(0) lgkmcnt(0)
	ds_write2_b64 v2, v[3:4], v[5:6] offset1:1
.LBB189_9:
	s_or_b32 exec_lo, exec_lo, s1
	s_load_dword s12, s[4:5], 0x28
	v_lshl_add_u32 v44, v1, 6, v0
	v_and_b32_e32 v6, 31, v0
	s_lshl_b64 s[4:5], s[14:15], 4
	s_waitcnt lgkmcnt(0)
	s_add_u32 s1, s2, s4
	v_lshrrev_b32_e32 v11, 5, v44
	s_addc_u32 s4, s3, s5
	s_ashr_i32 s19, s18, 31
	v_lshlrev_b32_e32 v12, 4, v6
	s_lshl_b64 s[2:3], s[18:19], 4
	s_add_u32 s5, s1, s2
	s_addc_u32 s4, s4, s3
	v_cmp_gt_i32_e64 s1, s8, v6
	v_mad_u64_u32 v[2:3], null, s12, v11, v[6:7]
	s_mul_i32 s2, s12, s18
                                        ; implicit-def: $vgpr7_vgpr8
	s_ashr_i32 s3, s2, 31
	s_lshl_b64 s[2:3], s[2:3], 4
	s_cmp_eq_u32 s8, 0
	v_ashrrev_i32_e32 v3, 31, v2
	s_cselect_b32 s26, -1, 0
	s_cmp_lg_u32 s8, 0
	s_cselect_b32 s19, -1, 0
	v_lshlrev_b64 v[40:41], 4, v[2:3]
	v_add_co_u32 v2, vcc_lo, s5, v40
	v_add_co_ci_u32_e64 v3, null, s4, v41, vcc_lo
	s_and_b32 vcc_lo, exec_lo, s19
	v_add_co_u32 v2, s2, v2, s2
	v_add_co_ci_u32_e64 v3, null, s3, v3, s2
	s_cbranch_vccz .LBB189_27
; %bb.10:
	v_sub_co_u32 v4, vcc_lo, v2, v12
	s_ashr_i32 s9, s8, 31
	v_subrev_co_ci_u32_e64 v5, null, 0, v3, vcc_lo
	s_lshl_b64 s[2:3], s[8:9], 4
	v_mad_u32_u24 v8, 0x210, v11, v12
	v_add_co_u32 v4, vcc_lo, v4, s2
	v_add_co_ci_u32_e64 v5, null, s3, v5, vcc_lo
	s_mov_b32 s4, exec_lo
	v_add_co_u32 v4, vcc_lo, v4, -16
	v_add_co_ci_u32_e64 v5, null, -1, v5, vcc_lo
	v_cndmask_b32_e64 v4, v4, v2, s1
	v_cndmask_b32_e64 v5, v5, v3, s1
	v_cmpx_le_i32_e64 s8, v11
	s_xor_b32 s4, exec_lo, s4
	s_cbranch_execz .LBB189_12
; %bb.11:
	v_mov_b32_e32 v13, 0
	v_mov_b32_e32 v14, v13
	;; [unrolled: 1-line block ×4, first 2 shown]
	ds_write_b128 v8, v[13:16]
                                        ; implicit-def: $vgpr8
.LBB189_12:
	s_or_saveexec_b32 s4, s4
	v_mul_u32_u24_e32 v7, 0x210, v11
	s_xor_b32 exec_lo, exec_lo, s4
	s_cbranch_execz .LBB189_14
; %bb.13:
	flat_load_dwordx4 v[13:16], v[4:5]
	s_waitcnt vmcnt(0) lgkmcnt(0)
	ds_write2_b64 v8, v[13:14], v[15:16] offset1:1
.LBB189_14:
	s_or_b32 exec_lo, exec_lo, s4
	v_add_nc_u32_e32 v8, 8, v11
	v_cmp_le_i32_e32 vcc_lo, s8, v8
	v_add_nc_u32_e32 v8, v7, v12
	s_and_saveexec_b32 s4, vcc_lo
	s_xor_b32 s4, exec_lo, s4
	s_cbranch_execz .LBB189_16
; %bb.15:
	v_mov_b32_e32 v13, 0
	v_mov_b32_e32 v14, v13
	;; [unrolled: 1-line block ×4, first 2 shown]
	ds_write_b128 v8, v[13:16] offset:4224
.LBB189_16:
	s_andn2_saveexec_b32 s4, s4
	s_cbranch_execz .LBB189_18
; %bb.17:
	s_lshl_b32 s14, s12, 3
	s_ashr_i32 s15, s14, 31
	s_lshl_b64 s[14:15], s[14:15], 4
	v_add_co_u32 v9, vcc_lo, v4, s14
	v_add_co_ci_u32_e64 v10, null, s15, v5, vcc_lo
	flat_load_dwordx4 v[13:16], v[9:10]
	v_add3_u32 v9, v7, v12, 0x1080
	s_waitcnt vmcnt(0) lgkmcnt(0)
	ds_write2_b64 v9, v[13:14], v[15:16] offset1:1
.LBB189_18:
	s_or_b32 exec_lo, exec_lo, s4
	v_add_nc_u32_e32 v9, 16, v11
	s_mov_b32 s4, exec_lo
	v_cmpx_le_i32_e64 s8, v9
	s_xor_b32 s4, exec_lo, s4
	s_cbranch_execz .LBB189_20
; %bb.19:
	v_mov_b32_e32 v13, 0
	v_mov_b32_e32 v14, v13
	;; [unrolled: 1-line block ×4, first 2 shown]
	ds_write_b128 v8, v[13:16] offset:8448
.LBB189_20:
	s_andn2_saveexec_b32 s4, s4
	s_cbranch_execz .LBB189_22
; %bb.21:
	s_lshl_b32 s14, s12, 4
	s_ashr_i32 s15, s14, 31
	s_lshl_b64 s[14:15], s[14:15], 4
	v_add_co_u32 v9, vcc_lo, v4, s14
	v_add_co_ci_u32_e64 v10, null, s15, v5, vcc_lo
	flat_load_dwordx4 v[13:16], v[9:10]
	v_add3_u32 v9, v7, v12, 0x2100
	s_waitcnt vmcnt(0) lgkmcnt(0)
	ds_write2_b64 v9, v[13:14], v[15:16] offset1:1
.LBB189_22:
	s_or_b32 exec_lo, exec_lo, s4
	v_add_nc_u32_e32 v9, 24, v11
	s_mov_b32 s4, exec_lo
	v_cmpx_le_i32_e64 s8, v9
	s_xor_b32 s4, exec_lo, s4
	s_cbranch_execz .LBB189_24
; %bb.23:
	v_mov_b32_e32 v13, 0
                                        ; implicit-def: $vgpr7
	v_mov_b32_e32 v14, v13
	v_mov_b32_e32 v15, v13
	;; [unrolled: 1-line block ×3, first 2 shown]
	ds_write_b128 v8, v[13:16] offset:12672
.LBB189_24:
	s_andn2_saveexec_b32 s4, s4
	s_cbranch_execz .LBB189_26
; %bb.25:
	s_mul_i32 s14, s12, 24
	v_add3_u32 v7, v7, v12, 0x3180
	s_ashr_i32 s15, s14, 31
	s_lshl_b64 s[14:15], s[14:15], 4
	v_add_co_u32 v8, vcc_lo, v4, s14
	v_add_co_ci_u32_e64 v9, null, s15, v5, vcc_lo
	flat_load_dwordx4 v[13:16], v[8:9]
	s_waitcnt vmcnt(0) lgkmcnt(0)
	ds_write2_b64 v7, v[13:14], v[15:16] offset1:1
.LBB189_26:
	s_or_b32 exec_lo, exec_lo, s4
	v_add_co_u32 v4, vcc_lo, v4, v12
	v_add_co_ci_u32_e64 v5, null, 0, v5, vcc_lo
	s_mov_b32 s7, 0
	v_sub_co_u32 v4, vcc_lo, v4, s2
	v_subrev_co_ci_u32_e64 v5, null, s3, v5, vcc_lo
	v_add_co_u32 v4, vcc_lo, v4, 16
	v_add_co_ci_u32_e64 v5, null, 0, v5, vcc_lo
	v_cndmask_b32_e64 v7, v4, v2, s1
	v_cndmask_b32_e64 v8, v5, v3, s1
.LBB189_27:
	v_mul_u32_u24_e32 v13, 0x210, v11
	s_and_b32 vcc_lo, exec_lo, s7
	s_cbranch_vccz .LBB189_29
; %bb.28:
	flat_load_dwordx4 v[7:10], v[2:3]
	s_lshl_b32 s2, s12, 3
	v_lshl_add_u32 v18, v6, 4, v13
	s_ashr_i32 s3, s2, 31
	s_ashr_i32 s13, s12, 31
	s_lshl_b64 s[2:3], s[2:3], 4
	v_add_co_u32 v4, vcc_lo, v2, s2
	v_add_co_ci_u32_e64 v5, null, s3, v3, vcc_lo
	s_lshl_b64 s[2:3], s[12:13], 7
	v_add_nc_u32_e32 v14, 0x1080, v18
	s_waitcnt vmcnt(0) lgkmcnt(0)
	ds_write2_b64 v18, v[7:8], v[9:10] offset1:1
	flat_load_dwordx4 v[7:10], v[4:5]
	v_add_co_u32 v4, vcc_lo, v4, s2
	v_add_co_ci_u32_e64 v5, null, s3, v5, vcc_lo
	s_waitcnt vmcnt(0) lgkmcnt(0)
	ds_write2_b64 v14, v[7:8], v[9:10] offset1:1
	flat_load_dwordx4 v[7:10], v[4:5]
	v_add_co_u32 v4, vcc_lo, v4, s2
	v_add_nc_u32_e32 v14, 0x2100, v18
	v_add_co_ci_u32_e64 v5, null, s3, v5, vcc_lo
	s_waitcnt vmcnt(0) lgkmcnt(0)
	ds_write2_b64 v14, v[7:8], v[9:10] offset1:1
	flat_load_dwordx4 v[14:17], v[4:5]
	v_mov_b32_e32 v8, v3
	v_add_nc_u32_e32 v4, 0x3180, v18
	v_mov_b32_e32 v7, v2
	s_waitcnt vmcnt(0) lgkmcnt(0)
	ds_write2_b64 v4, v[14:15], v[16:17] offset1:1
.LBB189_29:
	v_lshlrev_b32_e32 v18, 2, v11
	v_lshl_or_b32 v2, v6, 9, v12
	v_mad_u32_u24 v14, 0x840, v11, v12
	s_waitcnt lgkmcnt(0)
	s_barrier
	v_cmp_gt_u32_e64 s2, v18, v6
	v_lshl_add_u32 v3, v18, 4, v2
	buffer_gl0_inv
	s_and_saveexec_b32 s1, s2
	s_cbranch_execz .LBB189_31
; %bb.30:
	ds_read_b128 v[19:22], v14
	s_waitcnt lgkmcnt(0)
	ds_write_b128 v3, v[19:22]
.LBB189_31:
	s_or_b32 exec_lo, exec_lo, s1
	v_or_b32_e32 v2, 1, v18
	v_cmp_ge_u32_e64 s3, v18, v6
	v_mad_u32_u24 v15, 0x210, v2, v12
	s_and_saveexec_b32 s1, s3
	s_cbranch_execz .LBB189_33
; %bb.32:
	ds_read_b128 v[19:22], v15
	s_waitcnt lgkmcnt(0)
	ds_write_b128 v3, v[19:22] offset:16
.LBB189_33:
	s_or_b32 exec_lo, exec_lo, s1
	v_or_b32_e32 v2, 2, v18
	v_cmp_gt_u32_e64 s4, v2, v6
	s_and_saveexec_b32 s1, s4
	s_cbranch_execz .LBB189_35
; %bb.34:
	v_mad_u32_u24 v2, 0x210, v2, v12
	ds_read_b128 v[19:22], v2
	s_waitcnt lgkmcnt(0)
	ds_write_b128 v3, v[19:22] offset:32
.LBB189_35:
	s_or_b32 exec_lo, exec_lo, s1
	v_or_b32_e32 v4, 3, v18
	s_mov_b32 s1, exec_lo
	v_cmp_gt_u32_e64 s5, v4, v6
	v_mul_u32_u24_e32 v2, 0x210, v4
	v_cmpx_le_u32_e64 v4, v6
	s_xor_b32 s1, exec_lo, s1
; %bb.36:
	v_mul_u32_u24_e32 v2, 0x210, v4
                                        ; implicit-def: $vgpr4
                                        ; implicit-def: $vgpr3
; %bb.37:
	s_andn2_saveexec_b32 s1, s1
	s_cbranch_execz .LBB189_39
; %bb.38:
	v_mad_u32_u24 v4, 0x210, v4, v12
	ds_read_b128 v[19:22], v4
	s_waitcnt lgkmcnt(0)
	ds_write_b128 v3, v[19:22] offset:48
.LBB189_39:
	s_or_b32 exec_lo, exec_lo, s1
	v_lshlrev_b32_e32 v19, 4, v18
	s_waitcnt lgkmcnt(0)
	s_barrier
	buffer_gl0_inv
	ds_read_b128 v[20:23], v14
	ds_read_b128 v[24:27], v19 offset:18176
	v_add_nc_u32_e32 v16, v12, v2
	ds_read_b128 v[2:5], v15 offset:528
	ds_read_b128 v[28:31], v19 offset:18192
	ds_read_b128 v[32:35], v15
	ds_read_b128 v[45:48], v16
	ds_read_b128 v[49:52], v19 offset:18208
	v_cmp_gt_u32_e64 s1, 32, v44
	s_waitcnt lgkmcnt(5)
	v_mul_f64 v[9:10], v[26:27], v[22:23]
	v_mul_f64 v[22:23], v[24:25], v[22:23]
	s_waitcnt lgkmcnt(2)
	v_mul_f64 v[36:37], v[30:31], v[34:35]
	v_mul_f64 v[34:35], v[28:29], v[34:35]
	v_fma_f64 v[9:10], v[24:25], v[20:21], -v[9:10]
	v_fma_f64 v[24:25], v[26:27], v[20:21], v[22:23]
	ds_read_b128 v[20:23], v19 offset:18224
	s_waitcnt lgkmcnt(1)
	v_mul_f64 v[26:27], v[51:52], v[4:5]
	v_mul_f64 v[4:5], v[49:50], v[4:5]
	v_fma_f64 v[28:29], v[28:29], v[32:33], -v[36:37]
	v_fma_f64 v[30:31], v[30:31], v[32:33], v[34:35]
	s_waitcnt lgkmcnt(0)
	s_barrier
	buffer_gl0_inv
	v_mul_f64 v[32:33], v[22:23], v[47:48]
	v_add_f64 v[9:10], v[9:10], 0
	v_add_f64 v[24:25], v[24:25], 0
	v_mul_f64 v[34:35], v[20:21], v[47:48]
	v_fma_f64 v[26:27], v[49:50], v[2:3], -v[26:27]
	v_fma_f64 v[2:3], v[51:52], v[2:3], v[4:5]
	v_fma_f64 v[20:21], v[20:21], v[45:46], -v[32:33]
	v_add_f64 v[4:5], v[9:10], v[28:29]
	v_add_f64 v[9:10], v[24:25], v[30:31]
	v_fma_f64 v[22:23], v[22:23], v[45:46], v[34:35]
	v_add_f64 v[4:5], v[4:5], v[26:27]
	v_add_f64 v[2:3], v[9:10], v[2:3]
	v_add_f64 v[20:21], v[4:5], v[20:21]
	v_add_f64 v[22:23], v[2:3], v[22:23]
	v_mul_u32_u24_e32 v2, 33, v6
	v_mov_b32_e32 v4, 0
	v_mov_b32_e32 v5, 0
	v_lshlrev_b32_e32 v45, 4, v2
	v_mov_b32_e32 v2, 0
	v_mov_b32_e32 v3, 0
	v_lshl_add_u32 v46, v11, 4, v45
	ds_write_b128 v46, v[20:23]
	s_waitcnt lgkmcnt(0)
	s_barrier
	buffer_gl0_inv
	s_and_saveexec_b32 s7, s1
	s_cbranch_execz .LBB189_41
; %bb.40:
	ds_read_b128 v[2:5], v45
	ds_read_b128 v[20:23], v45 offset:16
	s_waitcnt lgkmcnt(0)
	v_add_f64 v[9:10], v[20:21], v[2:3]
	v_add_f64 v[24:25], v[22:23], v[4:5]
	ds_read_b128 v[2:5], v45 offset:32
	ds_read_b128 v[20:23], v45 offset:48
	s_waitcnt lgkmcnt(1)
	v_add_f64 v[2:3], v[9:10], v[2:3]
	v_add_f64 v[4:5], v[24:25], v[4:5]
	s_waitcnt lgkmcnt(0)
	v_add_f64 v[9:10], v[2:3], v[20:21]
	v_add_f64 v[24:25], v[4:5], v[22:23]
	ds_read_b128 v[2:5], v45 offset:64
	ds_read_b128 v[20:23], v45 offset:80
	s_waitcnt lgkmcnt(1)
	v_add_f64 v[2:3], v[9:10], v[2:3]
	v_add_f64 v[4:5], v[24:25], v[4:5]
	;; [unrolled: 8-line block ×3, first 2 shown]
	s_waitcnt lgkmcnt(0)
	v_add_f64 v[2:3], v[2:3], v[20:21]
	v_add_f64 v[4:5], v[4:5], v[22:23]
.LBB189_41:
	s_or_b32 exec_lo, exec_lo, s7
	s_lshl_b32 s20, s12, 5
	v_mad_u32_u24 v17, 0x210, v11, v12
	s_ashr_i32 s21, s20, 31
	s_lshl_b64 s[14:15], s[20:21], 4
	s_barrier
	v_add_co_u32 v20, vcc_lo, v7, s14
	v_add_co_ci_u32_e64 v21, null, s15, v8, vcc_lo
	buffer_gl0_inv
	v_add_co_u32 v9, vcc_lo, 0x200, v20
	v_add_co_ci_u32_e64 v10, null, 0, v21, vcc_lo
	s_and_b32 vcc_lo, exec_lo, s19
	s_cbranch_vccz .LBB189_59
; %bb.42:
	v_sub_co_u32 v7, vcc_lo, v20, v12
	s_ashr_i32 s9, s8, 31
	v_subrev_co_ci_u32_e64 v8, null, 0, v21, vcc_lo
	s_lshl_b64 s[22:23], s[8:9], 4
	v_or_b32_e32 v22, 32, v6
	v_add_co_u32 v7, vcc_lo, v7, s22
	v_add_co_ci_u32_e64 v8, null, s23, v8, vcc_lo
	s_sub_i32 s9, s8, 32
	v_add_co_u32 v7, vcc_lo, v7, -16
	v_add_co_ci_u32_e64 v8, null, -1, v8, vcc_lo
	v_cmp_gt_i32_e32 vcc_lo, s8, v22
	v_cmp_le_i32_e64 s7, s9, v11
	v_cndmask_b32_e32 v8, v8, v10, vcc_lo
	v_cndmask_b32_e32 v7, v7, v9, vcc_lo
	s_and_saveexec_b32 s13, s7
	s_xor_b32 s7, exec_lo, s13
	s_cbranch_execz .LBB189_44
; %bb.43:
	v_mov_b32_e32 v22, 0
	v_mov_b32_e32 v23, v22
	;; [unrolled: 1-line block ×4, first 2 shown]
	ds_write_b128 v17, v[22:25]
.LBB189_44:
	s_andn2_saveexec_b32 s7, s7
	s_cbranch_execz .LBB189_46
; %bb.45:
	flat_load_dwordx4 v[22:25], v[7:8]
	s_waitcnt vmcnt(0) lgkmcnt(0)
	ds_write2_b64 v17, v[22:23], v[24:25] offset1:1
.LBB189_46:
	s_or_b32 exec_lo, exec_lo, s7
	v_add_nc_u32_e32 v22, 8, v11
	v_cmp_le_i32_e64 s7, s9, v22
	v_add_nc_u32_e32 v22, v13, v12
	s_and_saveexec_b32 s13, s7
	s_xor_b32 s7, exec_lo, s13
	s_cbranch_execz .LBB189_48
; %bb.47:
	v_mov_b32_e32 v23, 0
	v_mov_b32_e32 v24, v23
	;; [unrolled: 1-line block ×4, first 2 shown]
	ds_write_b128 v22, v[23:26] offset:4224
.LBB189_48:
	s_andn2_saveexec_b32 s13, s7
	s_cbranch_execz .LBB189_50
; %bb.49:
	s_lshl_b32 s30, s12, 3
	v_add3_u32 v27, v13, v12, 0x1080
	s_ashr_i32 s31, s30, 31
	s_lshl_b64 s[30:31], s[30:31], 4
	v_add_co_u32 v23, s7, v7, s30
	v_add_co_ci_u32_e64 v24, null, s31, v8, s7
	flat_load_dwordx4 v[23:26], v[23:24]
	s_waitcnt vmcnt(0) lgkmcnt(0)
	ds_write2_b64 v27, v[23:24], v[25:26] offset1:1
.LBB189_50:
	s_or_b32 exec_lo, exec_lo, s13
	v_add_nc_u32_e32 v23, 16, v11
	v_cmp_le_i32_e64 s7, s9, v23
	s_and_saveexec_b32 s13, s7
	s_xor_b32 s7, exec_lo, s13
	s_cbranch_execz .LBB189_52
; %bb.51:
	v_mov_b32_e32 v23, 0
	v_mov_b32_e32 v24, v23
	;; [unrolled: 1-line block ×4, first 2 shown]
	ds_write_b128 v22, v[23:26] offset:8448
.LBB189_52:
	s_andn2_saveexec_b32 s13, s7
	s_cbranch_execz .LBB189_54
; %bb.53:
	s_lshl_b32 s30, s12, 4
	v_add3_u32 v27, v13, v12, 0x2100
	s_ashr_i32 s31, s30, 31
	s_lshl_b64 s[30:31], s[30:31], 4
	v_add_co_u32 v23, s7, v7, s30
	v_add_co_ci_u32_e64 v24, null, s31, v8, s7
	flat_load_dwordx4 v[23:26], v[23:24]
	s_waitcnt vmcnt(0) lgkmcnt(0)
	ds_write2_b64 v27, v[23:24], v[25:26] offset1:1
.LBB189_54:
	s_or_b32 exec_lo, exec_lo, s13
	v_add_nc_u32_e32 v23, 24, v11
	v_cmp_le_i32_e64 s7, s9, v23
	s_and_saveexec_b32 s9, s7
	s_xor_b32 s7, exec_lo, s9
	s_cbranch_execz .LBB189_56
; %bb.55:
	v_mov_b32_e32 v23, 0
	v_mov_b32_e32 v24, v23
	v_mov_b32_e32 v25, v23
	v_mov_b32_e32 v26, v23
	ds_write_b128 v22, v[23:26] offset:12672
.LBB189_56:
	s_andn2_saveexec_b32 s9, s7
	s_cbranch_execz .LBB189_58
; %bb.57:
	s_mul_i32 s30, s12, 24
	v_add3_u32 v26, v13, v12, 0x3180
	s_ashr_i32 s31, s30, 31
	s_lshl_b64 s[30:31], s[30:31], 4
	v_add_co_u32 v22, s7, v7, s30
	v_add_co_ci_u32_e64 v23, null, s31, v8, s7
	flat_load_dwordx4 v[22:25], v[22:23]
	s_waitcnt vmcnt(0) lgkmcnt(0)
	ds_write2_b64 v26, v[22:23], v[24:25] offset1:1
.LBB189_58:
	s_or_b32 exec_lo, exec_lo, s9
	v_add_co_u32 v7, s7, v7, v12
	v_add_co_ci_u32_e64 v8, null, 0, v8, s7
	v_sub_co_u32 v7, s7, v7, s22
	v_subrev_co_ci_u32_e64 v8, null, s23, v8, s7
	v_add_co_u32 v7, s7, 0x210, v7
	v_add_co_ci_u32_e64 v8, null, 0, v8, s7
	v_cndmask_b32_e32 v7, v7, v9, vcc_lo
	v_cndmask_b32_e32 v8, v8, v10, vcc_lo
	s_branch .LBB189_61
.LBB189_59:
                                        ; implicit-def: $vgpr7_vgpr8
	s_cbranch_execz .LBB189_61
; %bb.60:
	flat_load_dwordx4 v[22:25], v[9:10]
	s_lshl_b32 s22, s12, 3
	s_ashr_i32 s13, s12, 31
	s_ashr_i32 s23, s22, 31
	s_lshl_b64 s[22:23], s[22:23], 4
	v_add_co_u32 v7, vcc_lo, v20, s22
	v_add_co_ci_u32_e64 v8, null, s23, v21, vcc_lo
	s_lshl_b64 s[22:23], s[12:13], 7
	s_waitcnt vmcnt(0) lgkmcnt(0)
	ds_write2_b64 v17, v[22:23], v[24:25] offset1:1
	flat_load_dwordx4 v[20:23], v[7:8] offset:512
	v_add_co_u32 v7, vcc_lo, v7, s22
	v_add_nc_u32_e32 v24, 0x1080, v17
	v_add_co_ci_u32_e64 v8, null, s23, v8, vcc_lo
	s_waitcnt vmcnt(0) lgkmcnt(0)
	ds_write2_b64 v24, v[20:21], v[22:23] offset1:1
	flat_load_dwordx4 v[20:23], v[7:8] offset:512
	v_add_co_u32 v7, vcc_lo, v7, s22
	v_add_nc_u32_e32 v24, 0x2100, v17
	v_add_co_ci_u32_e64 v8, null, s23, v8, vcc_lo
	s_waitcnt vmcnt(0) lgkmcnt(0)
	ds_write2_b64 v24, v[20:21], v[22:23] offset1:1
	flat_load_dwordx4 v[20:23], v[7:8] offset:512
	v_mov_b32_e32 v7, v9
	v_add_nc_u32_e32 v24, 0x3180, v17
	v_mov_b32_e32 v8, v10
	s_waitcnt vmcnt(0) lgkmcnt(0)
	ds_write2_b64 v24, v[20:21], v[22:23] offset1:1
.LBB189_61:
	v_lshl_add_u32 v9, v18, 4, v45
	s_waitcnt lgkmcnt(0)
	s_barrier
	buffer_gl0_inv
	s_and_saveexec_b32 s7, s2
	s_cbranch_execz .LBB189_65
; %bb.62:
	ds_read_b128 v[20:23], v14
	s_waitcnt lgkmcnt(0)
	ds_write_b128 v9, v[20:23]
	s_or_b32 exec_lo, exec_lo, s7
	s_and_saveexec_b32 s2, s3
	s_cbranch_execnz .LBB189_66
.LBB189_63:
	s_or_b32 exec_lo, exec_lo, s2
	v_add_nc_u32_e32 v18, 0x210, v15
	s_and_saveexec_b32 s2, s4
	s_cbranch_execz .LBB189_67
.LBB189_64:
	ds_read_b128 v[20:23], v18
	s_waitcnt lgkmcnt(0)
	ds_write_b128 v9, v[20:23] offset:32
	s_or_b32 exec_lo, exec_lo, s2
	v_add_nc_u32_e32 v19, 0x4700, v19
	s_and_saveexec_b32 s2, s5
	s_cbranch_execnz .LBB189_68
	s_branch .LBB189_69
.LBB189_65:
	s_or_b32 exec_lo, exec_lo, s7
	s_and_saveexec_b32 s2, s3
	s_cbranch_execz .LBB189_63
.LBB189_66:
	ds_read_b128 v[20:23], v15
	s_waitcnt lgkmcnt(0)
	ds_write_b128 v9, v[20:23] offset:16
	s_or_b32 exec_lo, exec_lo, s2
	v_add_nc_u32_e32 v18, 0x210, v15
	s_and_saveexec_b32 s2, s4
	s_cbranch_execnz .LBB189_64
.LBB189_67:
	s_or_b32 exec_lo, exec_lo, s2
	v_add_nc_u32_e32 v19, 0x4700, v19
	s_and_saveexec_b32 s2, s5
	s_cbranch_execz .LBB189_69
.LBB189_68:
	ds_read_b128 v[20:23], v16
	s_waitcnt lgkmcnt(0)
	ds_write_b128 v9, v[20:23] offset:48
.LBB189_69:
	s_or_b32 exec_lo, exec_lo, s2
	s_waitcnt lgkmcnt(0)
	s_barrier
	buffer_gl0_inv
	ds_read_b128 v[20:23], v14
	ds_read_b128 v[24:27], v19 offset:512
	ds_read_b128 v[28:31], v19 offset:528
	ds_read_b128 v[32:35], v15
	ds_read_b128 v[47:50], v19 offset:544
	ds_read_b128 v[51:54], v18
	v_cmp_eq_u32_e64 s2, 1, v11
	s_waitcnt lgkmcnt(4)
	v_mul_f64 v[9:10], v[26:27], v[22:23]
	v_mul_f64 v[22:23], v[24:25], v[22:23]
	s_waitcnt lgkmcnt(2)
	v_mul_f64 v[36:37], v[30:31], v[34:35]
	v_mul_f64 v[34:35], v[28:29], v[34:35]
	;; [unrolled: 3-line block ×3, first 2 shown]
	v_fma_f64 v[9:10], v[24:25], v[20:21], -v[9:10]
	v_fma_f64 v[42:43], v[26:27], v[20:21], v[22:23]
	v_fma_f64 v[28:29], v[28:29], v[32:33], -v[36:37]
	v_fma_f64 v[30:31], v[30:31], v[32:33], v[34:35]
	ds_read_b128 v[20:23], v19 offset:560
	ds_read_b128 v[24:27], v16
	v_fma_f64 v[36:37], v[47:48], v[51:52], -v[55:56]
	s_waitcnt lgkmcnt(0)
	s_barrier
	buffer_gl0_inv
	v_add_f64 v[9:10], v[9:10], 0
	v_add_f64 v[32:33], v[42:43], 0
	v_mul_f64 v[34:35], v[22:23], v[26:27]
	v_mul_f64 v[26:27], v[20:21], v[26:27]
	v_fma_f64 v[42:43], v[49:50], v[51:52], v[53:54]
	v_add_f64 v[9:10], v[9:10], v[28:29]
	v_add_f64 v[28:29], v[32:33], v[30:31]
	v_fma_f64 v[20:21], v[20:21], v[24:25], -v[34:35]
	v_fma_f64 v[22:23], v[22:23], v[24:25], v[26:27]
	v_add_f64 v[9:10], v[9:10], v[36:37]
	v_add_f64 v[24:25], v[28:29], v[42:43]
	;; [unrolled: 1-line block ×4, first 2 shown]
	ds_write_b128 v46, v[20:23]
	s_waitcnt lgkmcnt(0)
	s_barrier
	buffer_gl0_inv
	s_and_saveexec_b32 s3, s2
	s_cbranch_execz .LBB189_71
; %bb.70:
	ds_read_b128 v[2:5], v45
	ds_read_b128 v[20:23], v45 offset:16
	s_waitcnt lgkmcnt(0)
	v_add_f64 v[9:10], v[20:21], v[2:3]
	v_add_f64 v[24:25], v[22:23], v[4:5]
	ds_read_b128 v[2:5], v45 offset:32
	ds_read_b128 v[20:23], v45 offset:48
	s_waitcnt lgkmcnt(1)
	v_add_f64 v[2:3], v[9:10], v[2:3]
	v_add_f64 v[4:5], v[24:25], v[4:5]
	s_waitcnt lgkmcnt(0)
	v_add_f64 v[9:10], v[2:3], v[20:21]
	v_add_f64 v[24:25], v[4:5], v[22:23]
	ds_read_b128 v[2:5], v45 offset:64
	ds_read_b128 v[20:23], v45 offset:80
	s_waitcnt lgkmcnt(1)
	v_add_f64 v[2:3], v[9:10], v[2:3]
	v_add_f64 v[4:5], v[24:25], v[4:5]
	;; [unrolled: 8-line block ×3, first 2 shown]
	s_waitcnt lgkmcnt(0)
	v_add_f64 v[2:3], v[2:3], v[20:21]
	v_add_f64 v[4:5], v[4:5], v[22:23]
.LBB189_71:
	s_or_b32 exec_lo, exec_lo, s3
	v_add_co_u32 v7, vcc_lo, 0xfffffe00, v7
	v_add_co_ci_u32_e64 v8, null, -1, v8, vcc_lo
	s_and_b32 vcc_lo, exec_lo, s19
	s_barrier
	buffer_gl0_inv
	s_cbranch_vccz .LBB189_89
; %bb.72:
	v_sub_co_u32 v9, vcc_lo, v7, v12
	s_ashr_i32 s9, s8, 31
	v_subrev_co_ci_u32_e64 v10, null, 0, v8, vcc_lo
	s_lshl_b64 s[4:5], s[8:9], 4
	s_sub_i32 s7, s8, 32
	v_add_co_u32 v9, vcc_lo, v9, s4
	v_add_co_ci_u32_e64 v10, null, s5, v10, vcc_lo
	v_cmp_le_i32_e64 s3, s7, v11
	v_add_co_u32 v9, vcc_lo, v9, -16
	v_add_co_ci_u32_e64 v10, null, -1, v10, vcc_lo
	v_cmp_gt_i32_e32 vcc_lo, s8, v6
	v_cndmask_b32_e32 v10, v10, v8, vcc_lo
	v_cndmask_b32_e32 v9, v9, v7, vcc_lo
	s_and_saveexec_b32 s9, s3
	s_xor_b32 s3, exec_lo, s9
	s_cbranch_execz .LBB189_74
; %bb.73:
	v_mov_b32_e32 v20, 0
	v_mov_b32_e32 v21, v20
	;; [unrolled: 1-line block ×4, first 2 shown]
	ds_write_b128 v17, v[20:23]
.LBB189_74:
	s_andn2_saveexec_b32 s3, s3
	s_cbranch_execz .LBB189_76
; %bb.75:
	flat_load_dwordx4 v[20:23], v[9:10]
	s_waitcnt vmcnt(0) lgkmcnt(0)
	ds_write2_b64 v17, v[20:21], v[22:23] offset1:1
.LBB189_76:
	s_or_b32 exec_lo, exec_lo, s3
	v_add_nc_u32_e32 v6, 8, v11
	v_add_nc_u32_e32 v22, v13, v12
	v_cmp_le_i32_e64 s3, s7, v6
	s_and_saveexec_b32 s9, s3
	s_xor_b32 s3, exec_lo, s9
	s_cbranch_execz .LBB189_78
; %bb.77:
	v_mov_b32_e32 v23, 0
	v_mov_b32_e32 v24, v23
	;; [unrolled: 1-line block ×4, first 2 shown]
	ds_write_b128 v22, v[23:26] offset:4224
.LBB189_78:
	s_andn2_saveexec_b32 s9, s3
	s_cbranch_execz .LBB189_80
; %bb.79:
	s_lshl_b32 s22, s12, 3
	s_ashr_i32 s23, s22, 31
	s_lshl_b64 s[22:23], s[22:23], 4
	v_add_co_u32 v20, s3, v9, s22
	v_add_co_ci_u32_e64 v21, null, s23, v10, s3
	flat_load_dwordx4 v[23:26], v[20:21]
	v_add3_u32 v20, v13, v12, 0x1080
	s_waitcnt vmcnt(0) lgkmcnt(0)
	ds_write2_b64 v20, v[23:24], v[25:26] offset1:1
.LBB189_80:
	s_or_b32 exec_lo, exec_lo, s9
	v_add_nc_u32_e32 v21, 16, v11
	v_cmp_le_i32_e64 s3, s7, v21
	s_and_saveexec_b32 s9, s3
	s_xor_b32 s3, exec_lo, s9
	s_cbranch_execz .LBB189_82
; %bb.81:
	v_mov_b32_e32 v23, 0
	v_mov_b32_e32 v24, v23
	v_mov_b32_e32 v25, v23
	v_mov_b32_e32 v26, v23
	ds_write_b128 v22, v[23:26] offset:8448
.LBB189_82:
	s_andn2_saveexec_b32 s9, s3
	s_cbranch_execz .LBB189_84
; %bb.83:
	s_lshl_b32 s22, s12, 4
	v_add3_u32 v20, v13, v12, 0x2100
	s_ashr_i32 s23, s22, 31
	s_lshl_b64 s[22:23], s[22:23], 4
	v_add_co_u32 v23, s3, v9, s22
	v_add_co_ci_u32_e64 v24, null, s23, v10, s3
	flat_load_dwordx4 v[23:26], v[23:24]
	s_waitcnt vmcnt(0) lgkmcnt(0)
	ds_write2_b64 v20, v[23:24], v[25:26] offset1:1
.LBB189_84:
	s_or_b32 exec_lo, exec_lo, s9
	v_add_nc_u32_e32 v20, 24, v11
	v_cmp_le_i32_e64 s3, s7, v20
	s_and_saveexec_b32 s7, s3
	s_xor_b32 s3, exec_lo, s7
	s_cbranch_execz .LBB189_86
; %bb.85:
	v_mov_b32_e32 v23, 0
                                        ; implicit-def: $vgpr13
	v_mov_b32_e32 v24, v23
	v_mov_b32_e32 v25, v23
	;; [unrolled: 1-line block ×3, first 2 shown]
	ds_write_b128 v22, v[23:26] offset:12672
.LBB189_86:
	s_andn2_saveexec_b32 s7, s3
	s_cbranch_execz .LBB189_88
; %bb.87:
	s_mul_i32 s22, s12, 24
	v_add3_u32 v13, v13, v12, 0x3180
	s_ashr_i32 s23, s22, 31
	s_lshl_b64 s[22:23], s[22:23], 4
	v_add_co_u32 v22, s3, v9, s22
	v_add_co_ci_u32_e64 v23, null, s23, v10, s3
	flat_load_dwordx4 v[22:25], v[22:23]
	s_waitcnt vmcnt(0) lgkmcnt(0)
	ds_write2_b64 v13, v[22:23], v[24:25] offset1:1
.LBB189_88:
	s_or_b32 exec_lo, exec_lo, s7
	v_add_co_u32 v9, s3, v9, v12
	v_add_co_ci_u32_e64 v10, null, 0, v10, s3
	v_sub_co_u32 v9, s3, v9, s4
	v_subrev_co_ci_u32_e64 v10, null, s5, v10, s3
	v_add_co_u32 v9, s3, v9, 16
	v_add_co_ci_u32_e64 v10, null, 0, v10, s3
	v_cndmask_b32_e32 v42, v9, v7, vcc_lo
	v_cndmask_b32_e32 v43, v10, v8, vcc_lo
	s_branch .LBB189_91
.LBB189_89:
                                        ; implicit-def: $vgpr42_vgpr43
                                        ; implicit-def: $vgpr6
                                        ; implicit-def: $vgpr21
                                        ; implicit-def: $vgpr20
	s_cbranch_execz .LBB189_91
; %bb.90:
	flat_load_dwordx4 v[20:23], v[7:8]
	s_lshl_b32 s4, s12, 3
	s_ashr_i32 s13, s12, 31
	s_ashr_i32 s5, s4, 31
	v_add_nc_u32_e32 v6, 0x1080, v17
	s_lshl_b64 s[4:5], s[4:5], 4
	v_mov_b32_e32 v43, v8
	v_add_co_u32 v9, vcc_lo, v7, s4
	v_add_co_ci_u32_e64 v10, null, s5, v8, vcc_lo
	s_lshl_b64 s[4:5], s[12:13], 7
	v_mov_b32_e32 v42, v7
	s_waitcnt vmcnt(0) lgkmcnt(0)
	ds_write2_b64 v17, v[20:21], v[22:23] offset1:1
	flat_load_dwordx4 v[20:23], v[9:10]
	v_add_co_u32 v9, vcc_lo, v9, s4
	v_add_co_ci_u32_e64 v10, null, s5, v10, vcc_lo
	s_waitcnt vmcnt(0) lgkmcnt(0)
	ds_write2_b64 v6, v[20:21], v[22:23] offset1:1
	flat_load_dwordx4 v[20:23], v[9:10]
	v_add_co_u32 v9, vcc_lo, v9, s4
	v_add_nc_u32_e32 v6, 0x2100, v17
	v_add_co_ci_u32_e64 v10, null, s5, v10, vcc_lo
	s_waitcnt vmcnt(0) lgkmcnt(0)
	ds_write2_b64 v6, v[20:21], v[22:23] offset1:1
	flat_load_dwordx4 v[22:25], v[9:10]
	v_add_nc_u32_e32 v6, 8, v11
	v_add_nc_u32_e32 v21, 16, v11
	;; [unrolled: 1-line block ×4, first 2 shown]
	s_waitcnt vmcnt(0) lgkmcnt(0)
	ds_write2_b64 v9, v[22:23], v[24:25] offset1:1
.LBB189_91:
	v_lshlrev_b32_e32 v11, 4, v11
	s_waitcnt lgkmcnt(0)
	s_barrier
	buffer_gl0_inv
	v_lshlrev_b32_e32 v6, 4, v6
	v_add_nc_u32_e32 v7, v45, v11
	ds_read_b128 v[7:10], v7
	ds_read_b128 v[22:25], v11 offset:18176
	v_add_nc_u32_e32 v11, v45, v6
	ds_read_b128 v[26:29], v11
	ds_read_b128 v[30:33], v6 offset:18176
	v_lshlrev_b32_e32 v6, 4, v21
	v_add_nc_u32_e32 v13, v45, v6
	ds_read_b128 v[34:37], v13
	ds_read_b128 v[47:50], v6 offset:18176
	s_waitcnt lgkmcnt(4)
	v_mul_f64 v[11:12], v[9:10], v[24:25]
	v_mul_f64 v[24:25], v[7:8], v[24:25]
	s_waitcnt lgkmcnt(2)
	v_mul_f64 v[51:52], v[28:29], v[32:33]
	v_mul_f64 v[32:33], v[26:27], v[32:33]
	v_fma_f64 v[53:54], v[7:8], v[22:23], -v[11:12]
	v_fma_f64 v[21:22], v[9:10], v[22:23], v[24:25]
	v_lshlrev_b32_e32 v10, 4, v20
	s_waitcnt lgkmcnt(0)
	v_mul_f64 v[23:24], v[36:37], v[49:50]
	v_mul_f64 v[49:50], v[34:35], v[49:50]
	v_fma_f64 v[25:26], v[26:27], v[30:31], -v[51:52]
	v_add_nc_u32_e32 v6, v45, v10
	v_fma_f64 v[27:28], v[28:29], v[30:31], v[32:33]
	ds_read_b128 v[6:9], v6
	ds_read_b128 v[10:13], v10 offset:18176
	v_add_f64 v[29:30], v[53:54], 0
	v_add_f64 v[20:21], v[21:22], 0
	v_fma_f64 v[22:23], v[34:35], v[47:48], -v[23:24]
	v_fma_f64 v[33:34], v[36:37], v[47:48], v[49:50]
	s_waitcnt lgkmcnt(0)
	v_mul_f64 v[31:32], v[8:9], v[12:13]
	v_mul_f64 v[12:13], v[6:7], v[12:13]
	v_add_f64 v[24:25], v[29:30], v[25:26]
	v_add_f64 v[20:21], v[20:21], v[27:28]
	v_fma_f64 v[6:7], v[6:7], v[10:11], -v[31:32]
	v_fma_f64 v[8:9], v[8:9], v[10:11], v[12:13]
	v_add_f64 v[10:11], v[24:25], v[22:23]
	v_add_f64 v[12:13], v[20:21], v[33:34]
	ds_read_b128 v[30:33], v19 offset:512
	ds_read_b128 v[22:25], v19 offset:528
	v_add_f64 v[47:48], v[10:11], v[6:7]
	v_add_f64 v[49:50], v[12:13], v[8:9]
	ds_read_b128 v[10:13], v19 offset:544
	ds_read_b128 v[6:9], v19 offset:560
	ds_read_b128 v[34:37], v14
	ds_read_b128 v[26:29], v15
	ds_read_b128 v[18:21], v18
	ds_read_b128 v[14:17], v16
	s_waitcnt lgkmcnt(0)
	s_barrier
	buffer_gl0_inv
	ds_write_b128 v46, v[47:50]
	s_waitcnt lgkmcnt(0)
	s_barrier
	buffer_gl0_inv
	s_and_saveexec_b32 s3, s2
	s_cbranch_execz .LBB189_93
; %bb.92:
	ds_read_b128 v[47:50], v45
	ds_read_b128 v[51:54], v45 offset:16
	s_waitcnt lgkmcnt(1)
	v_add_f64 v[2:3], v[2:3], v[47:48]
	v_add_f64 v[4:5], v[4:5], v[49:50]
	s_waitcnt lgkmcnt(0)
	v_add_f64 v[51:52], v[2:3], v[51:52]
	v_add_f64 v[53:54], v[4:5], v[53:54]
	ds_read_b128 v[2:5], v45 offset:32
	ds_read_b128 v[47:50], v45 offset:48
	s_waitcnt lgkmcnt(1)
	v_add_f64 v[2:3], v[51:52], v[2:3]
	v_add_f64 v[4:5], v[53:54], v[4:5]
	s_waitcnt lgkmcnt(0)
	v_add_f64 v[51:52], v[2:3], v[47:48]
	v_add_f64 v[53:54], v[4:5], v[49:50]
	ds_read_b128 v[2:5], v45 offset:64
	;; [unrolled: 8-line block ×3, first 2 shown]
	ds_read_b128 v[47:50], v45 offset:112
	s_waitcnt lgkmcnt(1)
	v_add_f64 v[2:3], v[51:52], v[2:3]
	v_add_f64 v[4:5], v[53:54], v[4:5]
	s_waitcnt lgkmcnt(0)
	v_add_f64 v[2:3], v[2:3], v[47:48]
	v_add_f64 v[4:5], v[4:5], v[49:50]
.LBB189_93:
	s_or_b32 exec_lo, exec_lo, s3
	v_mul_f64 v[47:48], v[32:33], v[36:37]
	v_mul_f64 v[36:37], v[30:31], v[36:37]
	v_mul_f64 v[49:50], v[24:25], v[28:29]
	v_mul_f64 v[28:29], v[22:23], v[28:29]
	s_barrier
	buffer_gl0_inv
	v_fma_f64 v[30:31], v[30:31], v[34:35], -v[47:48]
	v_fma_f64 v[32:33], v[32:33], v[34:35], v[36:37]
	v_mul_f64 v[34:35], v[12:13], v[20:21]
	v_mul_f64 v[20:21], v[10:11], v[20:21]
	v_fma_f64 v[22:23], v[22:23], v[26:27], -v[49:50]
	v_fma_f64 v[24:25], v[24:25], v[26:27], v[28:29]
	v_add_f64 v[26:27], v[30:31], 0
	v_add_f64 v[28:29], v[32:33], 0
	v_mul_f64 v[30:31], v[8:9], v[16:17]
	v_mul_f64 v[16:17], v[6:7], v[16:17]
	v_fma_f64 v[10:11], v[10:11], v[18:19], -v[34:35]
	v_fma_f64 v[12:13], v[12:13], v[18:19], v[20:21]
	v_add_f64 v[18:19], v[26:27], v[22:23]
	v_add_f64 v[20:21], v[28:29], v[24:25]
	v_fma_f64 v[6:7], v[6:7], v[14:15], -v[30:31]
	v_fma_f64 v[8:9], v[8:9], v[14:15], v[16:17]
	v_add_f64 v[10:11], v[18:19], v[10:11]
	v_add_f64 v[12:13], v[20:21], v[12:13]
	;; [unrolled: 1-line block ×4, first 2 shown]
	ds_write_b128 v46, v[6:9]
	s_waitcnt lgkmcnt(0)
	s_barrier
	buffer_gl0_inv
	s_and_saveexec_b32 s2, s1
	s_cbranch_execz .LBB189_95
; %bb.94:
	ds_read_b128 v[6:9], v45
	ds_read_b128 v[10:13], v45 offset:16
	s_waitcnt lgkmcnt(1)
	v_add_f64 v[2:3], v[2:3], v[6:7]
	v_add_f64 v[4:5], v[4:5], v[8:9]
	s_waitcnt lgkmcnt(0)
	v_add_f64 v[10:11], v[2:3], v[10:11]
	v_add_f64 v[12:13], v[4:5], v[12:13]
	ds_read_b128 v[2:5], v45 offset:32
	ds_read_b128 v[6:9], v45 offset:48
	s_waitcnt lgkmcnt(1)
	v_add_f64 v[2:3], v[10:11], v[2:3]
	v_add_f64 v[4:5], v[12:13], v[4:5]
	s_waitcnt lgkmcnt(0)
	v_add_f64 v[10:11], v[2:3], v[6:7]
	v_add_f64 v[12:13], v[4:5], v[8:9]
	ds_read_b128 v[2:5], v45 offset:64
	;; [unrolled: 8-line block ×3, first 2 shown]
	ds_read_b128 v[6:9], v45 offset:112
	s_waitcnt lgkmcnt(1)
	v_add_f64 v[2:3], v[10:11], v[2:3]
	v_add_f64 v[4:5], v[12:13], v[4:5]
	s_waitcnt lgkmcnt(0)
	v_add_f64 v[2:3], v[2:3], v[6:7]
	v_add_f64 v[4:5], v[4:5], v[8:9]
.LBB189_95:
	s_or_b32 exec_lo, exec_lo, s2
	s_mul_hi_u32 s1, s17, s16
	s_mul_i32 s28, s28, s16
	s_mul_i32 s2, s17, s16
	s_add_i32 s1, s1, s28
	s_mul_hi_u32 s3, s2, s24
	s_mul_i32 s1, s1, s24
	s_mul_i32 s2, s2, s24
	s_add_i32 s3, s3, s1
	s_mul_hi_i32 s5, s17, s6
	s_lshl_b64 s[2:3], s[2:3], 4
	s_mul_i32 s4, s17, s6
	s_add_u32 s1, s10, s2
	s_addc_u32 s9, s11, s3
	s_lshl_b64 s[2:3], s[4:5], 4
	v_lshlrev_b32_e32 v170, 4, v0
	s_add_u32 s7, s1, s2
	s_addc_u32 s9, s9, s3
	s_add_i32 s2, s6, 1
	s_cmp_ge_u32 s2, s24
	s_barrier
	buffer_gl0_inv
	s_cbranch_scc1 .LBB189_153
; %bb.96:
	v_lshlrev_b32_e32 v171, 2, v1
	v_lshrrev_b32_e32 v8, 4, v44
	s_mul_i32 s4, s27, s18
	v_and_b32_e32 v9, 15, v0
	v_and_b32_e32 v11, 48, v0
	v_mad_u64_u32 v[6:7], null, s12, v171, v[0:1]
	v_lshlrev_b32_e32 v10, 6, v8
	s_ashr_i32 s5, s4, 31
	v_mul_i32_i24_e32 v12, 0xffffffd0, v8
	s_lshl_b64 s[4:5], s[4:5], 4
	s_lshl_b32 s16, s12, 4
	v_mad_u32_u24 v178, 0x430, v9, v10
	v_ashrrev_i32_e32 v7, 31, v6
	v_lshlrev_b32_e32 v10, 4, v11
	v_or_b32_e32 v11, 0xf0, v170
	v_sub_co_u32 v172, vcc_lo, v38, s4
	v_subrev_co_ci_u32_e64 v173, null, s5, v39, vcc_lo
	v_add_co_u32 v8, vcc_lo, s20, v6
	v_mad_u32_u24 v179, 0x430, v9, v10
	v_mad_u32_u24 v180, 0x430, v9, v11
	v_add_co_ci_u32_e64 v9, null, s21, v7, vcc_lo
	s_ashr_i32 s13, s12, 31
	v_lshlrev_b64 v[6:7], 4, v[6:7]
	s_lshl_b32 s23, s27, 6
	v_lshlrev_b64 v[8:9], 4, v[8:9]
	s_lshl_b32 s18, s12, 1
	s_mul_i32 s28, s12, 3
	s_mul_i32 s27, s27, s2
	s_lshl_b64 s[20:21], s[12:13], 5
	s_add_i32 s22, s24, -2
	v_mad_i64_i32 v[10:11], null, s16, 48, v[8:9]
	s_ashr_i32 s17, s16, 31
	s_ashr_i32 s19, s18, 31
	;; [unrolled: 1-line block ×3, first 2 shown]
	s_lshl_b64 s[2:3], s[12:13], 4
	s_lshl_b32 s4, s27, 6
	v_sub_co_u32 v195, vcc_lo, 0, v40
	s_add_u32 s5, s20, s14
	v_sub_co_ci_u32_e64 v196, null, 0, v41, vcc_lo
	s_addc_u32 s27, s21, s15
	v_add_co_u32 v13, vcc_lo, s5, v6
	s_mul_i32 s30, s12, 0x300
	s_lshl_b64 s[12:13], s[28:29], 4
	s_lshl_b64 s[10:11], s[16:17], 6
	v_add_co_ci_u32_e64 v14, null, s27, v7, vcc_lo
	v_add_co_u32 v15, vcc_lo, v10, s12
	s_add_u32 s33, s2, s14
	v_add_co_ci_u32_e64 v16, null, s13, v11, vcc_lo
	s_addc_u32 s34, s3, s15
	v_add_co_u32 v17, vcc_lo, s33, v6
	s_lshl_b64 s[18:19], s[18:19], 4
	v_add_co_ci_u32_e64 v18, null, s34, v7, vcc_lo
	v_add_co_u32 v19, vcc_lo, v10, s18
	v_add_co_ci_u32_e64 v20, null, s19, v11, vcc_lo
	v_add_co_u32 v21, vcc_lo, s14, v6
	;; [unrolled: 2-line block ×3, first 2 shown]
	s_add_u32 s28, s14, s18
	v_add_co_ci_u32_e64 v198, null, v43, v11, vcc_lo
	s_addc_u32 s29, s15, s19
	v_add_co_u32 v23, vcc_lo, s28, v6
	v_add_co_ci_u32_e64 v24, null, s29, v7, vcc_lo
	v_add_co_u32 v10, vcc_lo, v10, s2
	s_add_u32 s35, s14, s12
	s_addc_u32 s36, s15, s13
	s_lshl_b64 s[28:29], s[16:17], 4
	v_add_co_ci_u32_e64 v11, null, s3, v11, vcc_lo
	v_add_co_u32 v25, vcc_lo, s35, v6
	s_add_u32 s35, s5, s28
	s_mul_hi_i32 s31, s16, 48
	v_add_co_ci_u32_e64 v26, null, s36, v7, vcc_lo
	s_addc_u32 s36, s27, s29
	v_add_co_u32 v27, vcc_lo, s35, v6
	s_add_u32 s20, s30, s20
	s_addc_u32 s21, s31, s21
	s_lshl_b64 s[16:17], s[16:17], 5
	v_add_co_ci_u32_e64 v28, null, s36, v7, vcc_lo
	v_add_co_u32 v8, vcc_lo, s20, v8
	s_add_u32 s20, s16, s14
	v_add_co_ci_u32_e64 v9, null, s21, v9, vcc_lo
	s_addc_u32 s21, s17, s15
	s_add_u32 s30, s20, s12
	s_addc_u32 s31, s21, s13
	v_add_co_u32 v29, vcc_lo, s30, v6
	s_add_u32 s30, s33, s28
	v_add_co_ci_u32_e64 v30, null, s31, v7, vcc_lo
	s_addc_u32 s31, s34, s29
	v_add_co_u32 v31, vcc_lo, s30, v6
	s_add_u32 s30, s20, s18
	v_add_co_ci_u32_e64 v32, null, s31, v7, vcc_lo
	;; [unrolled: 4-line block ×3, first 2 shown]
	s_addc_u32 s15, s15, s29
	v_add_co_u32 v35, vcc_lo, s14, v6
	v_add_co_ci_u32_e64 v36, null, s15, v7, vcc_lo
	v_add_co_u32 v37, vcc_lo, s20, v6
	s_add_u32 s18, s14, s18
	s_addc_u32 s19, s15, s19
	v_add_co_ci_u32_e64 v38, null, s21, v7, vcc_lo
	v_add_co_u32 v39, vcc_lo, s18, v6
	s_add_u32 s2, s20, s2
	v_add_co_ci_u32_e64 v40, null, s19, v7, vcc_lo
	s_addc_u32 s3, s21, s3
	v_add_co_u32 v41, vcc_lo, s2, v6
	s_add_u32 s2, s14, s12
	v_cmp_gt_u32_e64 s1, 64, v44
	v_add_co_ci_u32_e64 v44, null, s3, v7, vcc_lo
	s_addc_u32 s3, s15, s13
	v_add_co_u32 v45, vcc_lo, s2, v6
	s_add_u32 s2, s5, s16
	v_add_co_ci_u32_e64 v46, null, s3, v7, vcc_lo
	s_addc_u32 s3, s27, s17
	v_add_co_u32 v6, vcc_lo, s2, v6
	v_add_co_ci_u32_e64 v7, null, s3, v7, vcc_lo
	v_add_co_u32 v200, vcc_lo, v42, v13
	v_add_co_ci_u32_e64 v201, null, v43, v14, vcc_lo
	;; [unrolled: 2-line block ×19, first 2 shown]
	v_add_co_u32 v236, vcc_lo, v42, v6
	v_add_nc_u32_e32 v174, 0x4300, v170
	v_lshl_add_u32 v175, v1, 6, 0x4300
	v_add_nc_u32_e32 v176, 0x4700, v170
	v_mad_u32_u24 v177, 0x10c0, v1, v170
	v_or_b32_e32 v181, 1, v171
	v_or_b32_e32 v182, 2, v171
	;; [unrolled: 1-line block ×3, first 2 shown]
	v_add_nc_u32_e32 v184, 16, v171
	v_add_nc_u32_e32 v185, 17, v171
	;; [unrolled: 1-line block ×12, first 2 shown]
	v_add_co_ci_u32_e64 v237, null, v43, v7, vcc_lo
	v_add_nc_u32_e32 v168, 64, v167
	v_add_nc_u32_e32 v238, v178, v12
	v_mov_b32_e32 v6, 0
	s_cmp_eq_u32 s22, s6
	s_cselect_b32 s3, s25, 0
	s_and_saveexec_b32 s2, s0
	s_cbranch_execz .LBB189_102
	s_branch .LBB189_98
.LBB189_97:                             ;   in Loop: Header=BB189_102 Depth=1
	s_mov_b32 s6, s2
	s_cmp_eq_u32 s22, s6
	s_cselect_b32 s3, s25, 0
	s_and_saveexec_b32 s2, s0
	s_cbranch_execz .LBB189_102
.LBB189_98:
	v_cmp_le_i32_e32 vcc_lo, s3, v0
	s_cmp_lg_u32 s3, 0
	s_cselect_b32 s5, -1, 0
	s_and_b32 s5, s5, vcc_lo
	s_and_saveexec_b32 s12, s5
	s_xor_b32 s5, exec_lo, s12
	s_cbranch_execz .LBB189_100
; %bb.99:
	v_mov_b32_e32 v7, v6
	v_mov_b32_e32 v8, v6
	;; [unrolled: 1-line block ×3, first 2 shown]
	ds_write_b128 v174, v[6:9]
.LBB189_100:
	s_andn2_saveexec_b32 s5, s5
	s_cbranch_execz .LBB189_102
; %bb.101:
	s_ashr_i32 s5, s4, 31
	s_lshl_b64 s[12:13], s[4:5], 4
	v_add_co_u32 v7, vcc_lo, v172, s12
	v_add_co_ci_u32_e64 v8, null, s13, v173, vcc_lo
	flat_load_dwordx4 v[7:10], v[7:8]
	s_waitcnt vmcnt(0) lgkmcnt(0)
	ds_write2_b64 v174, v[7:8], v[9:10] offset1:1
.LBB189_102:                            ; =>This Inner Loop Header: Depth=1
	s_or_b32 exec_lo, exec_lo, s2
	s_cmp_eq_u32 s3, 0
	v_add_co_u32 v19, vcc_lo, v208, v195
	s_cselect_b32 s5, -1, 0
	s_cmp_lg_u32 s3, 0
	v_add_co_ci_u32_e64 v20, null, v209, v196, vcc_lo
	s_cselect_b32 s2, -1, 0
	s_waitcnt lgkmcnt(0)
	s_and_b32 vcc_lo, exec_lo, s2
	s_barrier
	buffer_gl0_inv
	s_cbranch_vccz .LBB189_110
; %bb.103:                              ;   in Loop: Header=BB189_102 Depth=1
	v_mov_b32_e32 v7, 0
	v_mov_b32_e32 v11, 0
	;; [unrolled: 1-line block ×6, first 2 shown]
	s_mov_b32 s12, exec_lo
	v_cmpx_gt_i32_e64 s3, v171
	s_cbranch_execz .LBB189_105
; %bb.104:                              ;   in Loop: Header=BB189_102 Depth=1
	flat_load_dwordx4 v[11:14], v[19:20]
.LBB189_105:                            ;   in Loop: Header=BB189_102 Depth=1
	s_or_b32 exec_lo, exec_lo, s12
	v_mov_b32_e32 v9, 0
	v_mov_b32_e32 v10, 0
	s_mov_b32 s12, exec_lo
	v_cmpx_gt_i32_e64 s3, v181
	s_cbranch_execz .LBB189_107
; %bb.106:                              ;   in Loop: Header=BB189_102 Depth=1
	v_add_co_u32 v7, vcc_lo, v204, v195
	v_add_co_ci_u32_e64 v8, null, v205, v196, vcc_lo
	flat_load_dwordx4 v[7:10], v[7:8]
.LBB189_107:                            ;   in Loop: Header=BB189_102 Depth=1
	s_or_b32 exec_lo, exec_lo, s12
	v_mov_b32_e32 v15, 0
	v_mov_b32_e32 v17, 0
	;; [unrolled: 1-line block ×4, first 2 shown]
	s_mov_b32 s12, exec_lo
	v_cmpx_gt_i32_e64 s3, v182
	s_cbranch_execz .LBB189_109
; %bb.108:                              ;   in Loop: Header=BB189_102 Depth=1
	v_add_co_u32 v15, vcc_lo, v210, v195
	v_add_co_ci_u32_e64 v16, null, v211, v196, vcc_lo
	flat_load_dwordx4 v[15:18], v[15:16]
.LBB189_109:                            ;   in Loop: Header=BB189_102 Depth=1
	s_or_b32 exec_lo, exec_lo, s12
	v_cmp_gt_i32_e64 s12, s3, v183
	s_branch .LBB189_112
.LBB189_110:                            ;   in Loop: Header=BB189_102 Depth=1
	s_mov_b32 s12, 0
                                        ; implicit-def: $vgpr17_vgpr18
                                        ; implicit-def: $vgpr9_vgpr10
                                        ; implicit-def: $vgpr13_vgpr14
	s_cbranch_execz .LBB189_112
; %bb.111:                              ;   in Loop: Header=BB189_102 Depth=1
	s_waitcnt vmcnt(0) lgkmcnt(0)
	v_add_co_u32 v7, vcc_lo, v204, v195
	v_add_co_ci_u32_e64 v8, null, v205, v196, vcc_lo
	v_add_co_u32 v15, vcc_lo, v200, v195
	v_add_co_ci_u32_e64 v16, null, v201, v196, vcc_lo
	flat_load_dwordx4 v[11:14], v[19:20]
	flat_load_dwordx4 v[7:10], v[7:8]
	;; [unrolled: 1-line block ×3, first 2 shown]
	s_or_b32 s12, s12, exec_lo
.LBB189_112:                            ;   in Loop: Header=BB189_102 Depth=1
	v_mov_b32_e32 v19, 0
	v_mov_b32_e32 v21, 0
	v_mov_b32_e32 v20, 0
	v_mov_b32_e32 v22, 0
	s_and_saveexec_b32 s13, s12
	s_cbranch_execz .LBB189_114
; %bb.113:                              ;   in Loop: Header=BB189_102 Depth=1
	v_add_co_u32 v19, vcc_lo, v214, v195
	v_add_co_ci_u32_e64 v20, null, v215, v196, vcc_lo
	flat_load_dwordx4 v[19:22], v[19:20]
.LBB189_114:                            ;   in Loop: Header=BB189_102 Depth=1
	s_or_b32 exec_lo, exec_lo, s13
	ds_read_b128 v[23:26], v176
	v_cndmask_b32_e64 v95, 0, 1, s2
	s_waitcnt vmcnt(0) lgkmcnt(0)
	v_mul_f64 v[27:28], v[13:14], v[25:26]
	v_mul_f64 v[29:30], v[11:12], v[25:26]
	;; [unrolled: 1-line block ×8, first 2 shown]
	v_fma_f64 v[39:40], v[11:12], v[23:24], -v[27:28]
	v_fma_f64 v[41:42], v[13:14], v[23:24], v[29:30]
	v_fma_f64 v[43:44], v[7:8], v[23:24], -v[31:32]
	v_fma_f64 v[45:46], v[9:10], v[23:24], v[33:34]
	;; [unrolled: 2-line block ×4, first 2 shown]
	ds_read_b128 v[35:38], v175
	ds_read_b128 v[31:34], v175 offset:16
	ds_read_b128 v[27:30], v175 offset:32
	;; [unrolled: 1-line block ×3, first 2 shown]
	ds_write_b128 v177, v[39:42]
	ds_write_b128 v177, v[43:46] offset:1072
	ds_write_b128 v177, v[47:50] offset:2144
	;; [unrolled: 1-line block ×3, first 2 shown]
	s_waitcnt lgkmcnt(0)
	s_barrier
	buffer_gl0_inv
	ds_read_b128 v[131:134], v178
	ds_read_b128 v[127:130], v178 offset:16
	ds_read_b128 v[123:126], v178 offset:32
	ds_read_b128 v[119:122], v178 offset:48
	v_add_co_u32 v51, vcc_lo, v226, v195
	v_add_co_ci_u32_e64 v52, null, v227, v196, vcc_lo
	s_andn2_b32 vcc_lo, exec_lo, s2
	s_waitcnt lgkmcnt(0)
	s_barrier
	buffer_gl0_inv
	s_cbranch_vccnz .LBB189_122
; %bb.115:                              ;   in Loop: Header=BB189_102 Depth=1
	v_mov_b32_e32 v39, 0
	v_mov_b32_e32 v43, 0
	;; [unrolled: 1-line block ×6, first 2 shown]
	s_mov_b32 s2, exec_lo
	v_cmpx_gt_i32_e64 s3, v184
	s_cbranch_execz .LBB189_117
; %bb.116:                              ;   in Loop: Header=BB189_102 Depth=1
	flat_load_dwordx4 v[43:46], v[51:52]
.LBB189_117:                            ;   in Loop: Header=BB189_102 Depth=1
	s_or_b32 exec_lo, exec_lo, s2
	v_mov_b32_e32 v41, 0
	v_mov_b32_e32 v42, 0
	s_mov_b32 s2, exec_lo
	v_cmpx_gt_i32_e64 s3, v185
	s_cbranch_execz .LBB189_119
; %bb.118:                              ;   in Loop: Header=BB189_102 Depth=1
	v_add_co_u32 v39, vcc_lo, v222, v195
	v_add_co_ci_u32_e64 v40, null, v223, v196, vcc_lo
	flat_load_dwordx4 v[39:42], v[39:40]
.LBB189_119:                            ;   in Loop: Header=BB189_102 Depth=1
	s_or_b32 exec_lo, exec_lo, s2
	v_mov_b32_e32 v47, 0
	v_mov_b32_e32 v49, 0
	;; [unrolled: 1-line block ×4, first 2 shown]
	s_mov_b32 s2, exec_lo
	v_cmpx_gt_i32_e64 s3, v186
	s_cbranch_execz .LBB189_121
; %bb.120:                              ;   in Loop: Header=BB189_102 Depth=1
	v_add_co_u32 v47, vcc_lo, v230, v195
	v_add_co_ci_u32_e64 v48, null, v231, v196, vcc_lo
	flat_load_dwordx4 v[47:50], v[47:48]
.LBB189_121:                            ;   in Loop: Header=BB189_102 Depth=1
	s_or_b32 exec_lo, exec_lo, s2
	v_cmp_gt_i32_e64 s2, s3, v187
	s_branch .LBB189_124
.LBB189_122:                            ;   in Loop: Header=BB189_102 Depth=1
	s_mov_b32 s2, 0
                                        ; implicit-def: $vgpr49_vgpr50
                                        ; implicit-def: $vgpr41_vgpr42
                                        ; implicit-def: $vgpr45_vgpr46
	s_cbranch_execz .LBB189_124
; %bb.123:                              ;   in Loop: Header=BB189_102 Depth=1
	s_waitcnt vmcnt(0) lgkmcnt(0)
	v_add_co_u32 v39, vcc_lo, v222, v195
	v_add_co_ci_u32_e64 v40, null, v223, v196, vcc_lo
	v_add_co_u32 v47, vcc_lo, v216, v195
	v_add_co_ci_u32_e64 v48, null, v217, v196, vcc_lo
	flat_load_dwordx4 v[43:46], v[51:52]
	flat_load_dwordx4 v[39:42], v[39:40]
	;; [unrolled: 1-line block ×3, first 2 shown]
	s_or_b32 s2, s2, exec_lo
.LBB189_124:                            ;   in Loop: Header=BB189_102 Depth=1
	v_mov_b32_e32 v51, 0
	v_mov_b32_e32 v53, 0
	;; [unrolled: 1-line block ×4, first 2 shown]
	s_and_saveexec_b32 s12, s2
	s_cbranch_execz .LBB189_126
; %bb.125:                              ;   in Loop: Header=BB189_102 Depth=1
	v_add_co_u32 v51, vcc_lo, v234, v195
	v_add_co_ci_u32_e64 v52, null, v235, v196, vcc_lo
	flat_load_dwordx4 v[51:54], v[51:52]
.LBB189_126:                            ;   in Loop: Header=BB189_102 Depth=1
	s_or_b32 exec_lo, exec_lo, s12
	ds_read_b128 v[55:58], v176
	v_cmp_ne_u32_e32 vcc_lo, 1, v95
	s_and_b32 vcc_lo, exec_lo, vcc_lo
	s_waitcnt vmcnt(0) lgkmcnt(0)
	v_mul_f64 v[59:60], v[45:46], v[57:58]
	v_mul_f64 v[61:62], v[43:44], v[57:58]
	;; [unrolled: 1-line block ×8, first 2 shown]
	v_fma_f64 v[71:72], v[43:44], v[55:56], -v[59:60]
	v_fma_f64 v[73:74], v[45:46], v[55:56], v[61:62]
	v_fma_f64 v[75:76], v[39:40], v[55:56], -v[63:64]
	v_fma_f64 v[77:78], v[41:42], v[55:56], v[65:66]
	;; [unrolled: 2-line block ×4, first 2 shown]
	ds_read_b128 v[67:70], v175 offset:256
	ds_read_b128 v[63:66], v175 offset:272
	ds_read_b128 v[59:62], v175 offset:288
	ds_read_b128 v[55:58], v175 offset:304
	ds_write_b128 v177, v[71:74]
	ds_write_b128 v177, v[75:78] offset:1072
	ds_write_b128 v177, v[79:82] offset:2144
	;; [unrolled: 1-line block ×3, first 2 shown]
	s_waitcnt lgkmcnt(0)
	s_barrier
	buffer_gl0_inv
	ds_read_b128 v[147:150], v178
	ds_read_b128 v[143:146], v178 offset:16
	ds_read_b128 v[139:142], v178 offset:32
	;; [unrolled: 1-line block ×3, first 2 shown]
	v_add_co_u32 v83, s2, v228, v195
	v_add_co_ci_u32_e64 v84, null, v229, v196, s2
	s_waitcnt lgkmcnt(0)
	s_barrier
	buffer_gl0_inv
	s_cbranch_vccnz .LBB189_134
; %bb.127:                              ;   in Loop: Header=BB189_102 Depth=1
	v_mov_b32_e32 v71, 0
	v_mov_b32_e32 v75, 0
	;; [unrolled: 1-line block ×6, first 2 shown]
	s_mov_b32 s2, exec_lo
	v_cmpx_gt_i32_e64 s3, v188
	s_cbranch_execz .LBB189_129
; %bb.128:                              ;   in Loop: Header=BB189_102 Depth=1
	flat_load_dwordx4 v[75:78], v[83:84]
.LBB189_129:                            ;   in Loop: Header=BB189_102 Depth=1
	s_or_b32 exec_lo, exec_lo, s2
	v_mov_b32_e32 v73, 0
	v_mov_b32_e32 v74, 0
	s_mov_b32 s2, exec_lo
	v_cmpx_gt_i32_e64 s3, v189
	s_cbranch_execz .LBB189_131
; %bb.130:                              ;   in Loop: Header=BB189_102 Depth=1
	v_add_co_u32 v71, vcc_lo, v232, v195
	v_add_co_ci_u32_e64 v72, null, v233, v196, vcc_lo
	flat_load_dwordx4 v[71:74], v[71:72]
.LBB189_131:                            ;   in Loop: Header=BB189_102 Depth=1
	s_or_b32 exec_lo, exec_lo, s2
	v_mov_b32_e32 v79, 0
	v_mov_b32_e32 v81, 0
	;; [unrolled: 1-line block ×4, first 2 shown]
	s_mov_b32 s2, exec_lo
	v_cmpx_gt_i32_e64 s3, v190
	s_cbranch_execz .LBB189_133
; %bb.132:                              ;   in Loop: Header=BB189_102 Depth=1
	v_add_co_u32 v79, vcc_lo, v224, v195
	v_add_co_ci_u32_e64 v80, null, v225, v196, vcc_lo
	flat_load_dwordx4 v[79:82], v[79:80]
.LBB189_133:                            ;   in Loop: Header=BB189_102 Depth=1
	s_or_b32 exec_lo, exec_lo, s2
	v_cmp_gt_i32_e64 s2, s3, v191
	s_branch .LBB189_136
.LBB189_134:                            ;   in Loop: Header=BB189_102 Depth=1
	s_mov_b32 s2, 0
                                        ; implicit-def: $vgpr81_vgpr82
                                        ; implicit-def: $vgpr73_vgpr74
                                        ; implicit-def: $vgpr77_vgpr78
	s_cbranch_execz .LBB189_136
; %bb.135:                              ;   in Loop: Header=BB189_102 Depth=1
	s_waitcnt vmcnt(0) lgkmcnt(0)
	v_add_co_u32 v71, vcc_lo, v232, v195
	v_add_co_ci_u32_e64 v72, null, v233, v196, vcc_lo
	v_add_co_u32 v79, vcc_lo, v236, v195
	v_add_co_ci_u32_e64 v80, null, v237, v196, vcc_lo
	flat_load_dwordx4 v[75:78], v[83:84]
	flat_load_dwordx4 v[71:74], v[71:72]
	;; [unrolled: 1-line block ×3, first 2 shown]
	s_or_b32 s2, s2, exec_lo
.LBB189_136:                            ;   in Loop: Header=BB189_102 Depth=1
	v_mov_b32_e32 v83, 0
	v_mov_b32_e32 v85, 0
	;; [unrolled: 1-line block ×4, first 2 shown]
	s_and_saveexec_b32 s12, s2
	s_cbranch_execz .LBB189_138
; %bb.137:                              ;   in Loop: Header=BB189_102 Depth=1
	v_add_co_u32 v83, vcc_lo, v220, v195
	v_add_co_ci_u32_e64 v84, null, v221, v196, vcc_lo
	flat_load_dwordx4 v[83:86], v[83:84]
.LBB189_138:                            ;   in Loop: Header=BB189_102 Depth=1
	s_or_b32 exec_lo, exec_lo, s12
	ds_read_b128 v[87:90], v176
	v_cmp_ne_u32_e32 vcc_lo, 1, v95
	s_and_b32 vcc_lo, exec_lo, vcc_lo
	s_waitcnt vmcnt(0) lgkmcnt(0)
	v_mul_f64 v[91:92], v[77:78], v[89:90]
	v_mul_f64 v[93:94], v[75:76], v[89:90]
	;; [unrolled: 1-line block ×8, first 2 shown]
	v_fma_f64 v[107:108], v[75:76], v[87:88], -v[91:92]
	v_fma_f64 v[109:110], v[77:78], v[87:88], v[93:94]
	v_fma_f64 v[111:112], v[71:72], v[87:88], -v[96:97]
	v_fma_f64 v[113:114], v[73:74], v[87:88], v[98:99]
	;; [unrolled: 2-line block ×4, first 2 shown]
	ds_read_b128 v[103:106], v175 offset:512
	ds_read_b128 v[99:102], v175 offset:528
	;; [unrolled: 1-line block ×4, first 2 shown]
	ds_write_b128 v177, v[107:110]
	ds_write_b128 v177, v[111:114] offset:1072
	ds_write_b128 v177, v[115:118] offset:2144
	;; [unrolled: 1-line block ×3, first 2 shown]
	s_waitcnt lgkmcnt(0)
	s_barrier
	buffer_gl0_inv
	ds_read_b128 v[163:166], v178
	ds_read_b128 v[159:162], v178 offset:16
	ds_read_b128 v[155:158], v178 offset:32
	;; [unrolled: 1-line block ×3, first 2 shown]
	v_add_co_u32 v115, s2, v197, v195
	v_add_co_ci_u32_e64 v116, null, v198, v196, s2
	s_waitcnt lgkmcnt(0)
	s_barrier
	buffer_gl0_inv
	s_cbranch_vccnz .LBB189_146
; %bb.139:                              ;   in Loop: Header=BB189_102 Depth=1
	v_mov_b32_e32 v95, 0
	v_mov_b32_e32 v107, 0
	;; [unrolled: 1-line block ×6, first 2 shown]
	s_mov_b32 s2, exec_lo
	v_cmpx_gt_i32_e64 s3, v192
	s_cbranch_execz .LBB189_141
; %bb.140:                              ;   in Loop: Header=BB189_102 Depth=1
	flat_load_dwordx4 v[107:110], v[115:116]
.LBB189_141:                            ;   in Loop: Header=BB189_102 Depth=1
	s_or_b32 exec_lo, exec_lo, s2
	v_mov_b32_e32 v97, 0
	v_mov_b32_e32 v98, 0
	s_mov_b32 s2, exec_lo
	v_cmpx_gt_i32_e64 s3, v193
	s_cbranch_execz .LBB189_143
; %bb.142:                              ;   in Loop: Header=BB189_102 Depth=1
	v_add_co_u32 v95, vcc_lo, v212, v195
	v_add_co_ci_u32_e64 v96, null, v213, v196, vcc_lo
	flat_load_dwordx4 v[95:98], v[95:96]
.LBB189_143:                            ;   in Loop: Header=BB189_102 Depth=1
	s_or_b32 exec_lo, exec_lo, s2
	v_mov_b32_e32 v111, 0
	v_mov_b32_e32 v113, 0
	;; [unrolled: 1-line block ×4, first 2 shown]
	s_mov_b32 s2, exec_lo
	v_cmpx_gt_i32_e64 s3, v194
	s_cbranch_execz .LBB189_145
; %bb.144:                              ;   in Loop: Header=BB189_102 Depth=1
	v_add_co_u32 v111, vcc_lo, v206, v195
	v_add_co_ci_u32_e64 v112, null, v207, v196, vcc_lo
	flat_load_dwordx4 v[111:114], v[111:112]
.LBB189_145:                            ;   in Loop: Header=BB189_102 Depth=1
	s_or_b32 exec_lo, exec_lo, s2
	v_cmp_gt_i32_e64 s2, s3, v199
	s_branch .LBB189_148
.LBB189_146:                            ;   in Loop: Header=BB189_102 Depth=1
	s_mov_b32 s2, 0
                                        ; implicit-def: $vgpr113_vgpr114
                                        ; implicit-def: $vgpr97_vgpr98
                                        ; implicit-def: $vgpr109_vgpr110
	s_cbranch_execz .LBB189_148
; %bb.147:                              ;   in Loop: Header=BB189_102 Depth=1
	s_waitcnt vmcnt(0) lgkmcnt(0)
	v_add_co_u32 v95, vcc_lo, v212, v195
	v_add_co_ci_u32_e64 v96, null, v213, v196, vcc_lo
	v_add_co_u32 v111, vcc_lo, v218, v195
	v_add_co_ci_u32_e64 v112, null, v219, v196, vcc_lo
	flat_load_dwordx4 v[107:110], v[115:116]
	flat_load_dwordx4 v[95:98], v[95:96]
	;; [unrolled: 1-line block ×3, first 2 shown]
	s_or_b32 s2, s2, exec_lo
.LBB189_148:                            ;   in Loop: Header=BB189_102 Depth=1
	v_mov_b32_e32 v115, 0
	v_mov_b32_e32 v117, 0
	;; [unrolled: 1-line block ×4, first 2 shown]
	s_and_saveexec_b32 s12, s2
	s_cbranch_execz .LBB189_150
; %bb.149:                              ;   in Loop: Header=BB189_102 Depth=1
	v_add_co_u32 v115, vcc_lo, v202, v195
	v_add_co_ci_u32_e64 v116, null, v203, v196, vcc_lo
	flat_load_dwordx4 v[115:118], v[115:116]
.LBB189_150:                            ;   in Loop: Header=BB189_102 Depth=1
	s_or_b32 exec_lo, exec_lo, s12
	v_add_f64 v[147:148], v[147:148], 0
	v_add_f64 v[149:150], v[149:150], 0
	;; [unrolled: 1-line block ×6, first 2 shown]
	v_cmp_gt_i32_e32 vcc_lo, s3, v0
	s_or_b32 s2, s5, vcc_lo
	s_and_b32 s3, s1, s2
	v_add_f64 v[143:144], v[147:148], v[143:144]
	v_add_f64 v[145:146], v[149:150], v[145:146]
	v_add_f64 v[127:128], v[131:132], v[127:128]
	v_add_f64 v[129:130], v[133:134], v[129:130]
	v_add_f64 v[159:160], v[163:164], v[159:160]
	v_add_f64 v[161:162], v[165:166], v[161:162]
	v_add_f64 v[139:140], v[143:144], v[139:140]
	v_add_f64 v[141:142], v[145:146], v[141:142]
	v_add_f64 v[123:124], v[127:128], v[123:124]
	v_add_f64 v[125:126], v[129:130], v[125:126]
	v_add_f64 v[155:156], v[159:160], v[155:156]
	v_add_f64 v[157:158], v[161:162], v[157:158]
	v_add_f64 v[135:136], v[139:140], v[135:136]
	v_add_f64 v[137:138], v[141:142], v[137:138]
	v_add_f64 v[139:140], v[123:124], v[119:120]
	v_add_f64 v[141:142], v[125:126], v[121:122]
	ds_read_b128 v[143:146], v176
	ds_read_b128 v[131:134], v175 offset:768
	ds_read_b128 v[127:130], v175 offset:784
	;; [unrolled: 1-line block ×4, first 2 shown]
	v_add_f64 v[151:152], v[155:156], v[151:152]
	v_add_f64 v[153:154], v[157:158], v[153:154]
	s_waitcnt vmcnt(0) lgkmcnt(4)
	v_mul_f64 v[147:148], v[109:110], v[145:146]
	v_mul_f64 v[149:150], v[107:108], v[145:146]
	v_fma_f64 v[147:148], v[107:108], v[143:144], -v[147:148]
	v_fma_f64 v[149:150], v[109:110], v[143:144], v[149:150]
	ds_write_b128 v177, v[147:150]
	v_mul_f64 v[147:148], v[97:98], v[145:146]
	v_mul_f64 v[149:150], v[95:96], v[145:146]
	v_fma_f64 v[147:148], v[95:96], v[143:144], -v[147:148]
	v_fma_f64 v[149:150], v[97:98], v[143:144], v[149:150]
	ds_write_b128 v177, v[147:150] offset:1072
	v_mul_f64 v[147:148], v[113:114], v[145:146]
	v_mul_f64 v[149:150], v[111:112], v[145:146]
	v_fma_f64 v[147:148], v[111:112], v[143:144], -v[147:148]
	v_fma_f64 v[149:150], v[113:114], v[143:144], v[149:150]
	ds_write_b128 v177, v[147:150] offset:2144
	;; [unrolled: 5-line block ×3, first 2 shown]
	s_waitcnt lgkmcnt(0)
	s_barrier
	buffer_gl0_inv
	ds_read_b128 v[143:146], v178
	ds_read_b128 v[147:150], v178 offset:16
	ds_read_b128 v[155:158], v178 offset:32
	ds_read_b128 v[159:162], v178 offset:48
	s_waitcnt lgkmcnt(0)
	s_barrier
	buffer_gl0_inv
	v_add_f64 v[143:144], v[143:144], 0
	v_add_f64 v[145:146], v[145:146], 0
	;; [unrolled: 1-line block ×8, first 2 shown]
	ds_write_b128 v238, v[139:142]
	ds_write_b128 v238, v[135:138] offset:256
	ds_write_b128 v238, v[151:154] offset:512
	;; [unrolled: 1-line block ×3, first 2 shown]
	s_waitcnt lgkmcnt(0)
	s_barrier
	buffer_gl0_inv
	s_and_saveexec_b32 s2, s3
	s_cbranch_execz .LBB189_152
; %bb.151:                              ;   in Loop: Header=BB189_102 Depth=1
	ds_read_b128 v[135:138], v179
	ds_read_b128 v[139:142], v179 offset:16
	v_ashrrev_i32_e32 v169, 31, v168
	s_waitcnt lgkmcnt(0)
	v_add_f64 v[143:144], v[139:140], v[135:136]
	v_add_f64 v[145:146], v[141:142], v[137:138]
	ds_read_b128 v[135:138], v179 offset:32
	ds_read_b128 v[139:142], v179 offset:48
	s_waitcnt lgkmcnt(1)
	v_add_f64 v[135:136], v[143:144], v[135:136]
	v_add_f64 v[137:138], v[145:146], v[137:138]
	s_waitcnt lgkmcnt(0)
	v_add_f64 v[143:144], v[135:136], v[139:140]
	v_add_f64 v[145:146], v[137:138], v[141:142]
	ds_read_b128 v[135:138], v179 offset:64
	ds_read_b128 v[139:142], v179 offset:80
	s_waitcnt lgkmcnt(1)
	v_add_f64 v[135:136], v[143:144], v[135:136]
	v_add_f64 v[137:138], v[145:146], v[137:138]
	s_waitcnt lgkmcnt(0)
	v_add_f64 v[143:144], v[135:136], v[139:140]
	v_add_f64 v[145:146], v[137:138], v[141:142]
	ds_read_b128 v[135:138], v179 offset:96
	ds_read_b128 v[139:142], v179 offset:112
	s_waitcnt lgkmcnt(1)
	v_add_f64 v[135:136], v[143:144], v[135:136]
	v_add_f64 v[137:138], v[145:146], v[137:138]
	s_waitcnt lgkmcnt(0)
	v_add_f64 v[143:144], v[135:136], v[139:140]
	v_add_f64 v[145:146], v[137:138], v[141:142]
	ds_read_b128 v[135:138], v179 offset:128
	ds_read_b128 v[139:142], v179 offset:144
	s_waitcnt lgkmcnt(1)
	v_add_f64 v[135:136], v[143:144], v[135:136]
	v_add_f64 v[137:138], v[145:146], v[137:138]
	s_waitcnt lgkmcnt(0)
	v_add_f64 v[143:144], v[135:136], v[139:140]
	v_add_f64 v[145:146], v[137:138], v[141:142]
	ds_read_b128 v[135:138], v179 offset:160
	ds_read_b128 v[139:142], v179 offset:176
	s_waitcnt lgkmcnt(1)
	v_add_f64 v[135:136], v[143:144], v[135:136]
	v_add_f64 v[137:138], v[145:146], v[137:138]
	s_waitcnt lgkmcnt(0)
	v_add_f64 v[143:144], v[135:136], v[139:140]
	v_add_f64 v[145:146], v[137:138], v[141:142]
	ds_read_b128 v[135:138], v179 offset:192
	ds_read_b128 v[139:142], v179 offset:208
	s_waitcnt lgkmcnt(1)
	v_add_f64 v[135:136], v[143:144], v[135:136]
	v_add_f64 v[137:138], v[145:146], v[137:138]
	s_waitcnt lgkmcnt(0)
	v_add_f64 v[143:144], v[135:136], v[139:140]
	v_add_f64 v[145:146], v[137:138], v[141:142]
	ds_read_b128 v[135:138], v179 offset:224
	ds_read_b128 v[139:142], v180
	s_waitcnt lgkmcnt(1)
	v_add_f64 v[135:136], v[143:144], v[135:136]
	v_add_f64 v[137:138], v[145:146], v[137:138]
	s_waitcnt lgkmcnt(0)
	v_add_f64 v[135:136], v[135:136], v[139:140]
	v_add_f64 v[137:138], v[137:138], v[141:142]
	v_lshlrev_b64 v[139:140], 4, v[168:169]
	v_add_co_u32 v139, vcc_lo, s7, v139
	v_add_co_ci_u32_e64 v140, null, s9, v140, vcc_lo
	global_store_dwordx4 v[139:140], v[135:138], off
.LBB189_152:                            ;   in Loop: Header=BB189_102 Depth=1
	s_or_b32 exec_lo, exec_lo, s2
	v_mul_f64 v[135:136], v[13:14], v[37:38]
	v_mul_f64 v[37:38], v[11:12], v[37:38]
	;; [unrolled: 1-line block ×4, first 2 shown]
	v_add_co_u32 v200, vcc_lo, v200, s10
	v_add_co_ci_u32_e64 v201, null, s11, v201, vcc_lo
	v_add_co_u32 v202, vcc_lo, v202, s10
	v_add_co_ci_u32_e64 v203, null, s11, v203, vcc_lo
	;; [unrolled: 2-line block ×4, first 2 shown]
	v_add_co_u32 v208, vcc_lo, v208, s10
	v_fma_f64 v[11:12], v[11:12], v[35:36], -v[135:136]
	v_fma_f64 v[13:14], v[13:14], v[35:36], v[37:38]
	v_mul_f64 v[35:36], v[17:18], v[29:30]
	v_mul_f64 v[29:30], v[15:16], v[29:30]
	v_fma_f64 v[7:8], v[7:8], v[31:32], -v[137:138]
	v_fma_f64 v[9:10], v[9:10], v[31:32], v[33:34]
	v_add_co_ci_u32_e64 v209, null, s11, v209, vcc_lo
	v_add_co_u32 v197, vcc_lo, v197, s10
	v_add_co_ci_u32_e64 v198, null, s11, v198, vcc_lo
	v_add_co_u32 v210, vcc_lo, v210, s10
	;; [unrolled: 2-line block ×4, first 2 shown]
	v_add_f64 v[2:3], v[2:3], v[11:12]
	v_add_f64 v[4:5], v[4:5], v[13:14]
	v_mul_f64 v[11:12], v[21:22], v[25:26]
	v_mul_f64 v[13:14], v[19:20], v[25:26]
	v_fma_f64 v[15:16], v[15:16], v[27:28], -v[35:36]
	v_fma_f64 v[17:18], v[17:18], v[27:28], v[29:30]
	v_add_co_ci_u32_e64 v215, null, s11, v215, vcc_lo
	v_add_co_u32 v216, vcc_lo, v216, s10
	v_add_co_ci_u32_e64 v217, null, s11, v217, vcc_lo
	v_add_co_u32 v218, vcc_lo, v218, s10
	;; [unrolled: 2-line block ×4, first 2 shown]
	v_add_f64 v[2:3], v[2:3], v[7:8]
	v_add_f64 v[4:5], v[4:5], v[9:10]
	v_mul_f64 v[7:8], v[45:46], v[69:70]
	v_mul_f64 v[9:10], v[43:44], v[69:70]
	v_fma_f64 v[11:12], v[19:20], v[23:24], -v[11:12]
	v_fma_f64 v[13:14], v[21:22], v[23:24], v[13:14]
	v_mul_f64 v[19:20], v[117:118], v[121:122]
	v_mul_f64 v[21:22], v[115:116], v[121:122]
	v_add_co_ci_u32_e64 v223, null, s11, v223, vcc_lo
	v_add_co_u32 v224, vcc_lo, v224, s10
	v_add_co_ci_u32_e64 v225, null, s11, v225, vcc_lo
	v_add_co_u32 v226, vcc_lo, v226, s10
	;; [unrolled: 2-line block ×3, first 2 shown]
	v_add_co_ci_u32_e64 v229, null, s11, v229, vcc_lo
	v_add_f64 v[2:3], v[2:3], v[15:16]
	v_add_f64 v[4:5], v[4:5], v[17:18]
	v_mul_f64 v[15:16], v[41:42], v[65:66]
	v_mul_f64 v[17:18], v[39:40], v[65:66]
	v_fma_f64 v[7:8], v[43:44], v[67:68], -v[7:8]
	v_fma_f64 v[9:10], v[45:46], v[67:68], v[9:10]
	v_add_co_u32 v230, vcc_lo, v230, s10
	v_add_co_ci_u32_e64 v231, null, s11, v231, vcc_lo
	v_add_co_u32 v232, vcc_lo, v232, s10
	v_add_co_ci_u32_e64 v233, null, s11, v233, vcc_lo
	;; [unrolled: 2-line block ×3, first 2 shown]
	v_add_co_u32 v236, vcc_lo, v236, s10
	v_add_nc_u32_e32 v168, 64, v168
	v_add_co_ci_u32_e64 v237, null, s11, v237, vcc_lo
	v_add_f64 v[2:3], v[2:3], v[11:12]
	v_add_f64 v[4:5], v[4:5], v[13:14]
	v_mul_f64 v[11:12], v[49:50], v[61:62]
	v_mul_f64 v[13:14], v[47:48], v[61:62]
	v_fma_f64 v[15:16], v[39:40], v[63:64], -v[15:16]
	v_fma_f64 v[17:18], v[41:42], v[63:64], v[17:18]
	s_add_i32 s3, s6, 2
	s_add_i32 s2, s6, 1
	;; [unrolled: 1-line block ×3, first 2 shown]
	s_cmp_ge_u32 s3, s24
	s_waitcnt_vscnt null, 0x0
	s_barrier
	buffer_gl0_inv
	v_add_f64 v[2:3], v[2:3], v[7:8]
	v_add_f64 v[4:5], v[4:5], v[9:10]
	v_mul_f64 v[7:8], v[53:54], v[57:58]
	v_mul_f64 v[9:10], v[51:52], v[57:58]
	v_fma_f64 v[11:12], v[47:48], v[59:60], -v[11:12]
	v_fma_f64 v[13:14], v[49:50], v[59:60], v[13:14]
	v_add_f64 v[2:3], v[2:3], v[15:16]
	v_add_f64 v[4:5], v[4:5], v[17:18]
	v_mul_f64 v[15:16], v[77:78], v[105:106]
	v_mul_f64 v[17:18], v[75:76], v[105:106]
	v_fma_f64 v[7:8], v[51:52], v[55:56], -v[7:8]
	v_fma_f64 v[9:10], v[53:54], v[55:56], v[9:10]
	;; [unrolled: 6-line block ×8, first 2 shown]
	v_add_f64 v[2:3], v[2:3], v[11:12]
	v_add_f64 v[4:5], v[4:5], v[13:14]
	v_fma_f64 v[11:12], v[111:112], v[123:124], -v[15:16]
	v_fma_f64 v[13:14], v[113:114], v[123:124], v[17:18]
	v_add_f64 v[2:3], v[2:3], v[7:8]
	v_add_f64 v[4:5], v[4:5], v[9:10]
	v_fma_f64 v[7:8], v[115:116], v[119:120], -v[19:20]
	v_fma_f64 v[9:10], v[117:118], v[119:120], v[21:22]
	v_add_f64 v[2:3], v[2:3], v[11:12]
	v_add_f64 v[4:5], v[4:5], v[13:14]
	v_add_f64 v[2:3], v[2:3], v[7:8]
	v_add_f64 v[4:5], v[4:5], v[9:10]
	s_cbranch_scc0 .LBB189_97
.LBB189_153:
	v_cmp_gt_i32_e32 vcc_lo, s8, v0
	v_mad_u32_u24 v1, 0x430, v1, v170
	s_or_b32 s1, s26, vcc_lo
	ds_write_b128 v1, v[2:5]
	s_and_b32 s0, s0, s1
	s_waitcnt lgkmcnt(0)
	s_barrier
	buffer_gl0_inv
	s_and_saveexec_b32 s1, s0
	s_cbranch_execz .LBB189_155
; %bb.154:
	ds_read_b128 v[0:3], v170 offset:1072
	ds_read_b128 v[4:7], v170
	v_ashrrev_i32_e32 v168, 31, v167
	s_waitcnt lgkmcnt(0)
	v_add_f64 v[8:9], v[0:1], v[4:5]
	v_add_f64 v[10:11], v[2:3], v[6:7]
	ds_read_b128 v[0:3], v170 offset:2144
	ds_read_b128 v[4:7], v170 offset:3216
	s_waitcnt lgkmcnt(1)
	v_add_f64 v[0:1], v[8:9], v[0:1]
	v_add_f64 v[2:3], v[10:11], v[2:3]
	s_waitcnt lgkmcnt(0)
	v_add_f64 v[0:1], v[0:1], v[4:5]
	v_add_f64 v[2:3], v[2:3], v[6:7]
	v_lshlrev_b64 v[4:5], 4, v[167:168]
	v_add_co_u32 v4, vcc_lo, s7, v4
	v_add_co_ci_u32_e64 v5, null, s9, v5, vcc_lo
	global_store_dwordx4 v[4:5], v[0:3], off
.LBB189_155:
	s_endpgm
	.section	.rodata,"a",@progbits
	.p2align	6, 0x0
	.amdhsa_kernel _ZL26rocblas_hemvn_kernel_upperILb0ELi64ELi4ELi33ELi32ELi16EiPK19rocblas_complex_numIdEPKS3_PS1_EviT6_lT7_lT5_lS8_lS9_lS7_lT8_i
		.amdhsa_group_segment_fixed_size 19200
		.amdhsa_private_segment_fixed_size 0
		.amdhsa_kernarg_size 376
		.amdhsa_user_sgpr_count 6
		.amdhsa_user_sgpr_private_segment_buffer 1
		.amdhsa_user_sgpr_dispatch_ptr 0
		.amdhsa_user_sgpr_queue_ptr 0
		.amdhsa_user_sgpr_kernarg_segment_ptr 1
		.amdhsa_user_sgpr_dispatch_id 0
		.amdhsa_user_sgpr_flat_scratch_init 0
		.amdhsa_user_sgpr_private_segment_size 0
		.amdhsa_wavefront_size32 1
		.amdhsa_uses_dynamic_stack 0
		.amdhsa_system_sgpr_private_segment_wavefront_offset 0
		.amdhsa_system_sgpr_workgroup_id_x 1
		.amdhsa_system_sgpr_workgroup_id_y 0
		.amdhsa_system_sgpr_workgroup_id_z 1
		.amdhsa_system_sgpr_workgroup_info 0
		.amdhsa_system_vgpr_workitem_id 1
		.amdhsa_next_free_vgpr 239
		.amdhsa_next_free_sgpr 37
		.amdhsa_reserve_vcc 1
		.amdhsa_reserve_flat_scratch 0
		.amdhsa_float_round_mode_32 0
		.amdhsa_float_round_mode_16_64 0
		.amdhsa_float_denorm_mode_32 3
		.amdhsa_float_denorm_mode_16_64 3
		.amdhsa_dx10_clamp 1
		.amdhsa_ieee_mode 1
		.amdhsa_fp16_overflow 0
		.amdhsa_workgroup_processor_mode 1
		.amdhsa_memory_ordered 1
		.amdhsa_forward_progress 1
		.amdhsa_shared_vgpr_count 0
		.amdhsa_exception_fp_ieee_invalid_op 0
		.amdhsa_exception_fp_denorm_src 0
		.amdhsa_exception_fp_ieee_div_zero 0
		.amdhsa_exception_fp_ieee_overflow 0
		.amdhsa_exception_fp_ieee_underflow 0
		.amdhsa_exception_fp_ieee_inexact 0
		.amdhsa_exception_int_div_zero 0
	.end_amdhsa_kernel
	.section	.text._ZL26rocblas_hemvn_kernel_upperILb0ELi64ELi4ELi33ELi32ELi16EiPK19rocblas_complex_numIdEPKS3_PS1_EviT6_lT7_lT5_lS8_lS9_lS7_lT8_i,"axG",@progbits,_ZL26rocblas_hemvn_kernel_upperILb0ELi64ELi4ELi33ELi32ELi16EiPK19rocblas_complex_numIdEPKS3_PS1_EviT6_lT7_lT5_lS8_lS9_lS7_lT8_i,comdat
.Lfunc_end189:
	.size	_ZL26rocblas_hemvn_kernel_upperILb0ELi64ELi4ELi33ELi32ELi16EiPK19rocblas_complex_numIdEPKS3_PS1_EviT6_lT7_lT5_lS8_lS9_lS7_lT8_i, .Lfunc_end189-_ZL26rocblas_hemvn_kernel_upperILb0ELi64ELi4ELi33ELi32ELi16EiPK19rocblas_complex_numIdEPKS3_PS1_EviT6_lT7_lT5_lS8_lS9_lS7_lT8_i
                                        ; -- End function
	.set _ZL26rocblas_hemvn_kernel_upperILb0ELi64ELi4ELi33ELi32ELi16EiPK19rocblas_complex_numIdEPKS3_PS1_EviT6_lT7_lT5_lS8_lS9_lS7_lT8_i.num_vgpr, 239
	.set _ZL26rocblas_hemvn_kernel_upperILb0ELi64ELi4ELi33ELi32ELi16EiPK19rocblas_complex_numIdEPKS3_PS1_EviT6_lT7_lT5_lS8_lS9_lS7_lT8_i.num_agpr, 0
	.set _ZL26rocblas_hemvn_kernel_upperILb0ELi64ELi4ELi33ELi32ELi16EiPK19rocblas_complex_numIdEPKS3_PS1_EviT6_lT7_lT5_lS8_lS9_lS7_lT8_i.numbered_sgpr, 37
	.set _ZL26rocblas_hemvn_kernel_upperILb0ELi64ELi4ELi33ELi32ELi16EiPK19rocblas_complex_numIdEPKS3_PS1_EviT6_lT7_lT5_lS8_lS9_lS7_lT8_i.num_named_barrier, 0
	.set _ZL26rocblas_hemvn_kernel_upperILb0ELi64ELi4ELi33ELi32ELi16EiPK19rocblas_complex_numIdEPKS3_PS1_EviT6_lT7_lT5_lS8_lS9_lS7_lT8_i.private_seg_size, 0
	.set _ZL26rocblas_hemvn_kernel_upperILb0ELi64ELi4ELi33ELi32ELi16EiPK19rocblas_complex_numIdEPKS3_PS1_EviT6_lT7_lT5_lS8_lS9_lS7_lT8_i.uses_vcc, 1
	.set _ZL26rocblas_hemvn_kernel_upperILb0ELi64ELi4ELi33ELi32ELi16EiPK19rocblas_complex_numIdEPKS3_PS1_EviT6_lT7_lT5_lS8_lS9_lS7_lT8_i.uses_flat_scratch, 0
	.set _ZL26rocblas_hemvn_kernel_upperILb0ELi64ELi4ELi33ELi32ELi16EiPK19rocblas_complex_numIdEPKS3_PS1_EviT6_lT7_lT5_lS8_lS9_lS7_lT8_i.has_dyn_sized_stack, 0
	.set _ZL26rocblas_hemvn_kernel_upperILb0ELi64ELi4ELi33ELi32ELi16EiPK19rocblas_complex_numIdEPKS3_PS1_EviT6_lT7_lT5_lS8_lS9_lS7_lT8_i.has_recursion, 0
	.set _ZL26rocblas_hemvn_kernel_upperILb0ELi64ELi4ELi33ELi32ELi16EiPK19rocblas_complex_numIdEPKS3_PS1_EviT6_lT7_lT5_lS8_lS9_lS7_lT8_i.has_indirect_call, 0
	.section	.AMDGPU.csdata,"",@progbits
; Kernel info:
; codeLenInByte = 11804
; TotalNumSgprs: 39
; NumVgprs: 239
; ScratchSize: 0
; MemoryBound: 1
; FloatMode: 240
; IeeeMode: 1
; LDSByteSize: 19200 bytes/workgroup (compile time only)
; SGPRBlocks: 0
; VGPRBlocks: 29
; NumSGPRsForWavesPerEU: 39
; NumVGPRsForWavesPerEU: 239
; Occupancy: 4
; WaveLimiterHint : 1
; COMPUTE_PGM_RSRC2:SCRATCH_EN: 0
; COMPUTE_PGM_RSRC2:USER_SGPR: 6
; COMPUTE_PGM_RSRC2:TRAP_HANDLER: 0
; COMPUTE_PGM_RSRC2:TGID_X_EN: 1
; COMPUTE_PGM_RSRC2:TGID_Y_EN: 0
; COMPUTE_PGM_RSRC2:TGID_Z_EN: 1
; COMPUTE_PGM_RSRC2:TIDIG_COMP_CNT: 1
	.section	.text._ZL26rocblas_hemvn_kernel_upperILb0ELi64ELi4ELi33ELi32ELi16El19rocblas_complex_numIdEPKPKS1_PS1_EviT6_lT7_lT5_lS8_lS9_lS7_lT8_i,"axG",@progbits,_ZL26rocblas_hemvn_kernel_upperILb0ELi64ELi4ELi33ELi32ELi16El19rocblas_complex_numIdEPKPKS1_PS1_EviT6_lT7_lT5_lS8_lS9_lS7_lT8_i,comdat
	.globl	_ZL26rocblas_hemvn_kernel_upperILb0ELi64ELi4ELi33ELi32ELi16El19rocblas_complex_numIdEPKPKS1_PS1_EviT6_lT7_lT5_lS8_lS9_lS7_lT8_i ; -- Begin function _ZL26rocblas_hemvn_kernel_upperILb0ELi64ELi4ELi33ELi32ELi16El19rocblas_complex_numIdEPKPKS1_PS1_EviT6_lT7_lT5_lS8_lS9_lS7_lT8_i
	.p2align	8
	.type	_ZL26rocblas_hemvn_kernel_upperILb0ELi64ELi4ELi33ELi32ELi16El19rocblas_complex_numIdEPKPKS1_PS1_EviT6_lT7_lT5_lS8_lS9_lS7_lT8_i,@function
_ZL26rocblas_hemvn_kernel_upperILb0ELi64ELi4ELi33ELi32ELi16El19rocblas_complex_numIdEPKPKS1_PS1_EviT6_lT7_lT5_lS8_lS9_lS7_lT8_i: ; @_ZL26rocblas_hemvn_kernel_upperILb0ELi64ELi4ELi33ELi32ELi16El19rocblas_complex_numIdEPKPKS1_PS1_EviT6_lT7_lT5_lS8_lS9_lS7_lT8_i
; %bb.0:
	s_load_dwordx2 s[0:1], s[4:5], 0x94
	s_add_u32 s8, s4, 0x88
	s_addc_u32 s9, s5, 0
	s_waitcnt lgkmcnt(0)
	s_lshr_b32 s2, s0, 16
	s_and_b32 s0, s0, 0xffff
	s_and_b32 s1, s1, 0xffff
	s_mul_i32 s0, s2, s0
	s_mul_i32 s0, s0, s1
	s_cmpk_lg_i32 s0, 0x100
	s_cbranch_scc1 .LBB190_155
; %bb.1:
	s_load_dwordx4 s[0:3], s[4:5], 0x8
	s_mov_b32 s18, s7
	s_waitcnt lgkmcnt(0)
	v_cmp_neq_f64_e64 s0, s[0:1], 0
	v_cmp_neq_f64_e64 s1, s[2:3], 0
	s_or_b32 s0, s0, s1
	s_and_b32 vcc_lo, exec_lo, s0
	s_mov_b32 s0, -1
	s_cbranch_vccnz .LBB190_3
; %bb.2:
	s_load_dwordx4 s[0:3], s[4:5], 0x60
	s_waitcnt lgkmcnt(0)
	v_cmp_eq_f64_e64 s0, s[0:1], 1.0
	v_cmp_eq_f64_e64 s1, s[2:3], 0
	s_and_b32 s0, s0, s1
	s_andn2_b32 vcc_lo, exec_lo, s0
	s_mov_b32 s0, 0
.LBB190_3:
	s_andn2_b32 vcc_lo, exec_lo, s0
	s_cbranch_vccnz .LBB190_155
; %bb.4:
	s_clause 0x1
	s_load_dwordx4 s[0:3], s[4:5], 0x20
	s_load_dwordx4 s[12:15], s[4:5], 0x40
	s_mov_b32 s19, 0
	s_lshl_b64 s[10:11], s[18:19], 3
	s_waitcnt lgkmcnt(0)
	s_add_u32 s0, s0, s10
	s_addc_u32 s1, s1, s11
	s_add_u32 s10, s12, s10
	s_addc_u32 s11, s13, s11
	s_lshl_b64 s[14:15], s[14:15], 4
	s_load_dwordx2 s[12:13], s[10:11], 0x0
	s_clause 0x1
	s_load_dwordx2 s[10:11], s[4:5], 0x50
	s_load_dword s24, s[4:5], 0x0
	s_load_dword s19, s[8:9], 0x0
	s_load_dwordx2 s[16:17], s[4:5], 0x30
	s_load_dwordx2 s[8:9], s[0:1], 0x0
	s_waitcnt lgkmcnt(0)
	s_add_u32 s7, s12, s14
	s_addc_u32 s12, s13, s15
	s_lshl_b32 s14, s6, 6
	s_ashr_i32 s25, s24, 31
	v_add_nc_u32_e32 v167, s14, v0
	s_lshr_b32 s0, s25, 26
	s_add_i32 s1, s19, -1
	s_add_i32 s0, s24, s0
	v_ashrrev_i32_e32 v168, 31, v167
	v_mul_lo_u32 v4, s11, v167
	v_mad_u64_u32 v[2:3], null, s10, v167, 0
	s_andn2_b32 s0, s0, 63
	v_mul_lo_u32 v5, s10, v168
	s_sub_i32 s22, s24, s0
	v_cmp_eq_u32_e64 s0, 0, v1
	s_cmp_eq_u32 s6, s1
	v_add3_u32 v3, v3, v5, v4
	v_lshlrev_b64 v[2:3], 4, v[2:3]
	v_add_co_u32 v40, vcc_lo, s7, v2
	v_add_co_ci_u32_e64 v41, null, s12, v3, vcc_lo
	s_mov_b32 s7, -1
	s_cselect_b32 s12, s22, 0
	s_and_saveexec_b32 s1, s0
	s_cbranch_execz .LBB190_9
; %bb.5:
	v_cmp_le_i32_e32 vcc_lo, s12, v0
	s_cmp_lg_u32 s12, 0
	v_lshl_add_u32 v2, v0, 4, 0x4700
	s_cselect_b32 s13, -1, 0
	s_and_b32 s13, s13, vcc_lo
	s_and_saveexec_b32 s15, s13
	s_xor_b32 s13, exec_lo, s15
	s_cbranch_execz .LBB190_7
; %bb.6:
	v_mov_b32_e32 v3, 0
	v_mov_b32_e32 v4, v3
	;; [unrolled: 1-line block ×4, first 2 shown]
	ds_write_b128 v2, v[3:6]
                                        ; implicit-def: $vgpr2
.LBB190_7:
	s_andn2_saveexec_b32 s13, s13
	s_cbranch_execz .LBB190_9
; %bb.8:
	flat_load_dwordx4 v[3:6], v[40:41]
	s_waitcnt vmcnt(0) lgkmcnt(0)
	ds_write2_b64 v2, v[3:4], v[5:6] offset1:1
.LBB190_9:
	s_or_b32 exec_lo, exec_lo, s1
	v_lshl_add_u32 v44, v1, 6, v0
	v_and_b32_e32 v6, 31, v0
	v_mov_b32_e32 v7, 0
	s_lshl_b64 s[2:3], s[2:3], 4
	s_mul_hi_u32 s1, s16, s14
	v_lshrrev_b32_e32 v11, 5, v44
	s_add_u32 s20, s8, s2
	s_addc_u32 s3, s9, s3
	s_ashr_i32 s15, s14, 31
	s_mul_i32 s13, s17, s14
	v_mad_u64_u32 v[2:3], null, s16, v11, v[6:7]
	s_lshl_b64 s[8:9], s[14:15], 4
	s_mul_i32 s21, s16, s15
	s_add_u32 s8, s20, s8
	s_addc_u32 s9, s3, s9
	s_add_i32 s1, s1, s21
	s_mul_i32 s2, s16, s14
	v_mad_u64_u32 v[3:4], null, s17, v11, v[3:4]
	s_add_i32 s3, s1, s13
	v_cmp_gt_i32_e64 s1, s12, v6
	s_lshl_b64 s[2:3], s[2:3], 4
	s_cmp_eq_u32 s12, 0
	v_lshlrev_b32_e32 v13, 4, v6
	s_cselect_b32 s23, -1, 0
	v_lshlrev_b64 v[38:39], 4, v[2:3]
	s_cmp_lg_u32 s12, 0
	v_lshlrev_b32_e32 v12, 4, v6
	s_cselect_b32 s26, -1, 0
                                        ; implicit-def: $vgpr7_vgpr8
	v_add_co_u32 v2, vcc_lo, s8, v38
	v_add_co_ci_u32_e64 v3, null, s9, v39, vcc_lo
	s_and_b32 vcc_lo, exec_lo, s26
	v_add_co_u32 v2, s2, v2, s2
	v_add_co_ci_u32_e64 v3, null, s3, v3, s2
	s_cbranch_vccz .LBB190_27
; %bb.10:
	v_sub_co_u32 v4, vcc_lo, v2, v13
	s_ashr_i32 s13, s12, 31
	v_subrev_co_ci_u32_e64 v5, null, 0, v3, vcc_lo
	s_lshl_b64 s[2:3], s[12:13], 4
	v_mad_u32_u24 v8, 0x210, v11, v12
	v_add_co_u32 v4, vcc_lo, v4, s2
	v_add_co_ci_u32_e64 v5, null, s3, v5, vcc_lo
	s_mov_b32 s7, exec_lo
	v_add_co_u32 v4, vcc_lo, v4, -16
	v_add_co_ci_u32_e64 v5, null, -1, v5, vcc_lo
	v_cndmask_b32_e64 v4, v4, v2, s1
	v_cndmask_b32_e64 v5, v5, v3, s1
	v_cmpx_le_i32_e64 s12, v11
	s_xor_b32 s7, exec_lo, s7
	s_cbranch_execz .LBB190_12
; %bb.11:
	v_mov_b32_e32 v14, 0
	v_mov_b32_e32 v15, v14
	;; [unrolled: 1-line block ×4, first 2 shown]
	ds_write_b128 v8, v[14:17]
                                        ; implicit-def: $vgpr8
.LBB190_12:
	s_or_saveexec_b32 s7, s7
	v_mul_u32_u24_e32 v7, 0x210, v11
	s_xor_b32 exec_lo, exec_lo, s7
	s_cbranch_execz .LBB190_14
; %bb.13:
	flat_load_dwordx4 v[14:17], v[4:5]
	s_waitcnt vmcnt(0) lgkmcnt(0)
	ds_write2_b64 v8, v[14:15], v[16:17] offset1:1
.LBB190_14:
	s_or_b32 exec_lo, exec_lo, s7
	v_add_nc_u32_e32 v8, 8, v11
	v_cmp_le_i32_e32 vcc_lo, s12, v8
	v_add_nc_u32_e32 v8, v7, v12
	s_and_saveexec_b32 s7, vcc_lo
	s_xor_b32 s7, exec_lo, s7
	s_cbranch_execz .LBB190_16
; %bb.15:
	v_mov_b32_e32 v14, 0
	v_mov_b32_e32 v15, v14
	;; [unrolled: 1-line block ×4, first 2 shown]
	ds_write_b128 v8, v[14:17] offset:4224
.LBB190_16:
	s_andn2_saveexec_b32 s7, s7
	s_cbranch_execz .LBB190_18
; %bb.17:
	s_lshl_b64 s[8:9], s[16:17], 7
	v_add_co_u32 v9, vcc_lo, v4, s8
	v_add_co_ci_u32_e64 v10, null, s9, v5, vcc_lo
	flat_load_dwordx4 v[14:17], v[9:10]
	v_add3_u32 v9, v7, v12, 0x1080
	s_waitcnt vmcnt(0) lgkmcnt(0)
	ds_write2_b64 v9, v[14:15], v[16:17] offset1:1
.LBB190_18:
	s_or_b32 exec_lo, exec_lo, s7
	v_add_nc_u32_e32 v9, 16, v11
	s_mov_b32 s7, exec_lo
	v_cmpx_le_i32_e64 s12, v9
	s_xor_b32 s7, exec_lo, s7
	s_cbranch_execz .LBB190_20
; %bb.19:
	v_mov_b32_e32 v14, 0
	v_mov_b32_e32 v15, v14
	;; [unrolled: 1-line block ×4, first 2 shown]
	ds_write_b128 v8, v[14:17] offset:8448
.LBB190_20:
	s_andn2_saveexec_b32 s7, s7
	s_cbranch_execz .LBB190_22
; %bb.21:
	s_lshl_b64 s[8:9], s[16:17], 8
	v_add_co_u32 v9, vcc_lo, v4, s8
	v_add_co_ci_u32_e64 v10, null, s9, v5, vcc_lo
	flat_load_dwordx4 v[14:17], v[9:10]
	v_add3_u32 v9, v7, v12, 0x2100
	s_waitcnt vmcnt(0) lgkmcnt(0)
	ds_write2_b64 v9, v[14:15], v[16:17] offset1:1
.LBB190_22:
	s_or_b32 exec_lo, exec_lo, s7
	v_add_nc_u32_e32 v9, 24, v11
	s_mov_b32 s7, exec_lo
	v_cmpx_le_i32_e64 s12, v9
	s_xor_b32 s7, exec_lo, s7
	s_cbranch_execz .LBB190_24
; %bb.23:
	v_mov_b32_e32 v14, 0
                                        ; implicit-def: $vgpr7
	v_mov_b32_e32 v15, v14
	v_mov_b32_e32 v16, v14
	;; [unrolled: 1-line block ×3, first 2 shown]
	ds_write_b128 v8, v[14:17] offset:12672
.LBB190_24:
	s_andn2_saveexec_b32 s7, s7
	s_cbranch_execz .LBB190_26
; %bb.25:
	v_mad_u64_u32 v[8:9], null, 0x180, s16, v[4:5]
	v_add3_u32 v7, v7, v12, 0x3180
	v_mad_u64_u32 v[9:10], null, 0x180, s17, v[9:10]
	flat_load_dwordx4 v[14:17], v[8:9]
	s_waitcnt vmcnt(0) lgkmcnt(0)
	ds_write2_b64 v7, v[14:15], v[16:17] offset1:1
.LBB190_26:
	s_or_b32 exec_lo, exec_lo, s7
	v_add_co_u32 v4, vcc_lo, v4, v13
	v_add_co_ci_u32_e64 v5, null, 0, v5, vcc_lo
	s_mov_b32 s7, 0
	v_sub_co_u32 v4, vcc_lo, v4, s2
	v_subrev_co_ci_u32_e64 v5, null, s3, v5, vcc_lo
	v_add_co_u32 v4, vcc_lo, v4, 16
	v_add_co_ci_u32_e64 v5, null, 0, v5, vcc_lo
	v_cndmask_b32_e64 v7, v4, v2, s1
	v_cndmask_b32_e64 v8, v5, v3, s1
.LBB190_27:
	s_and_b32 vcc_lo, exec_lo, s7
	s_cbranch_vccz .LBB190_29
; %bb.28:
	flat_load_dwordx4 v[7:10], v[2:3]
	v_mul_u32_u24_e32 v4, 0x210, v11
	s_lshl_b64 s[2:3], s[16:17], 7
	v_lshl_add_u32 v18, v6, 4, v4
	v_add_co_u32 v4, vcc_lo, v2, s2
	v_add_co_ci_u32_e64 v5, null, s3, v3, vcc_lo
	v_add_nc_u32_e32 v14, 0x1080, v18
	s_waitcnt vmcnt(0) lgkmcnt(0)
	ds_write2_b64 v18, v[7:8], v[9:10] offset1:1
	flat_load_dwordx4 v[7:10], v[4:5]
	v_add_co_u32 v4, vcc_lo, v4, s2
	v_add_co_ci_u32_e64 v5, null, s3, v5, vcc_lo
	s_waitcnt vmcnt(0) lgkmcnt(0)
	ds_write2_b64 v14, v[7:8], v[9:10] offset1:1
	flat_load_dwordx4 v[7:10], v[4:5]
	v_add_co_u32 v4, vcc_lo, v4, s2
	v_add_nc_u32_e32 v14, 0x2100, v18
	v_add_co_ci_u32_e64 v5, null, s3, v5, vcc_lo
	s_waitcnt vmcnt(0) lgkmcnt(0)
	ds_write2_b64 v14, v[7:8], v[9:10] offset1:1
	flat_load_dwordx4 v[14:17], v[4:5]
	v_mov_b32_e32 v8, v3
	v_add_nc_u32_e32 v4, 0x3180, v18
	v_mov_b32_e32 v7, v2
	s_waitcnt vmcnt(0) lgkmcnt(0)
	ds_write2_b64 v4, v[14:15], v[16:17] offset1:1
.LBB190_29:
	v_lshlrev_b32_e32 v18, 2, v11
	v_lshl_or_b32 v2, v6, 9, v12
	v_mad_u32_u24 v14, 0x840, v11, v12
	s_waitcnt lgkmcnt(0)
	s_barrier
	v_cmp_gt_u32_e64 s2, v18, v6
	v_lshl_add_u32 v3, v18, 4, v2
	buffer_gl0_inv
	s_and_saveexec_b32 s1, s2
	s_cbranch_execz .LBB190_31
; %bb.30:
	ds_read_b128 v[19:22], v14
	s_waitcnt lgkmcnt(0)
	ds_write_b128 v3, v[19:22]
.LBB190_31:
	s_or_b32 exec_lo, exec_lo, s1
	v_or_b32_e32 v2, 1, v18
	v_cmp_ge_u32_e64 s3, v18, v6
	v_mad_u32_u24 v15, 0x210, v2, v12
	s_and_saveexec_b32 s1, s3
	s_cbranch_execz .LBB190_33
; %bb.32:
	ds_read_b128 v[19:22], v15
	s_waitcnt lgkmcnt(0)
	ds_write_b128 v3, v[19:22] offset:16
.LBB190_33:
	s_or_b32 exec_lo, exec_lo, s1
	v_or_b32_e32 v2, 2, v18
	v_cmp_gt_u32_e64 s7, v2, v6
	s_and_saveexec_b32 s1, s7
	s_cbranch_execz .LBB190_35
; %bb.34:
	v_mad_u32_u24 v2, 0x210, v2, v12
	ds_read_b128 v[19:22], v2
	s_waitcnt lgkmcnt(0)
	ds_write_b128 v3, v[19:22] offset:32
.LBB190_35:
	s_or_b32 exec_lo, exec_lo, s1
	v_or_b32_e32 v4, 3, v18
	s_mov_b32 s1, exec_lo
	v_cmp_gt_u32_e64 s8, v4, v6
	v_mul_u32_u24_e32 v2, 0x210, v4
	v_cmpx_le_u32_e64 v4, v6
	s_xor_b32 s1, exec_lo, s1
; %bb.36:
	v_mul_u32_u24_e32 v2, 0x210, v4
                                        ; implicit-def: $vgpr4
                                        ; implicit-def: $vgpr3
; %bb.37:
	s_andn2_saveexec_b32 s1, s1
	s_cbranch_execz .LBB190_39
; %bb.38:
	v_mad_u32_u24 v4, 0x210, v4, v12
	ds_read_b128 v[19:22], v4
	s_waitcnt lgkmcnt(0)
	ds_write_b128 v3, v[19:22] offset:48
.LBB190_39:
	s_or_b32 exec_lo, exec_lo, s1
	v_lshlrev_b32_e32 v19, 4, v18
	s_waitcnt lgkmcnt(0)
	s_barrier
	buffer_gl0_inv
	ds_read_b128 v[20:23], v14
	ds_read_b128 v[24:27], v19 offset:18176
	v_add_nc_u32_e32 v16, v12, v2
	ds_read_b128 v[2:5], v15 offset:528
	ds_read_b128 v[28:31], v19 offset:18192
	ds_read_b128 v[32:35], v15
	ds_read_b128 v[45:48], v16
	ds_read_b128 v[49:52], v19 offset:18208
	v_cmp_gt_u32_e64 s1, 32, v44
	s_waitcnt lgkmcnt(5)
	v_mul_f64 v[9:10], v[26:27], v[22:23]
	v_mul_f64 v[22:23], v[24:25], v[22:23]
	s_waitcnt lgkmcnt(2)
	v_mul_f64 v[36:37], v[30:31], v[34:35]
	v_mul_f64 v[34:35], v[28:29], v[34:35]
	v_fma_f64 v[9:10], v[24:25], v[20:21], -v[9:10]
	v_fma_f64 v[24:25], v[26:27], v[20:21], v[22:23]
	ds_read_b128 v[20:23], v19 offset:18224
	s_waitcnt lgkmcnt(1)
	v_mul_f64 v[26:27], v[51:52], v[4:5]
	v_mul_f64 v[4:5], v[49:50], v[4:5]
	v_fma_f64 v[28:29], v[28:29], v[32:33], -v[36:37]
	v_fma_f64 v[30:31], v[30:31], v[32:33], v[34:35]
	s_waitcnt lgkmcnt(0)
	s_barrier
	buffer_gl0_inv
	v_mul_f64 v[32:33], v[22:23], v[47:48]
	v_add_f64 v[9:10], v[9:10], 0
	v_add_f64 v[24:25], v[24:25], 0
	v_mul_f64 v[34:35], v[20:21], v[47:48]
	v_fma_f64 v[26:27], v[49:50], v[2:3], -v[26:27]
	v_fma_f64 v[2:3], v[51:52], v[2:3], v[4:5]
	v_fma_f64 v[20:21], v[20:21], v[45:46], -v[32:33]
	v_add_f64 v[4:5], v[9:10], v[28:29]
	v_add_f64 v[9:10], v[24:25], v[30:31]
	v_fma_f64 v[22:23], v[22:23], v[45:46], v[34:35]
	v_add_f64 v[4:5], v[4:5], v[26:27]
	v_add_f64 v[2:3], v[9:10], v[2:3]
	;; [unrolled: 1-line block ×4, first 2 shown]
	v_mul_u32_u24_e32 v2, 33, v6
	v_mov_b32_e32 v4, 0
	v_mov_b32_e32 v5, 0
	v_lshlrev_b32_e32 v45, 4, v2
	v_mov_b32_e32 v2, 0
	v_mov_b32_e32 v3, 0
	v_lshl_add_u32 v46, v11, 4, v45
	ds_write_b128 v46, v[20:23]
	s_waitcnt lgkmcnt(0)
	s_barrier
	buffer_gl0_inv
	s_and_saveexec_b32 s9, s1
	s_cbranch_execz .LBB190_41
; %bb.40:
	ds_read_b128 v[2:5], v45
	ds_read_b128 v[20:23], v45 offset:16
	s_waitcnt lgkmcnt(0)
	v_add_f64 v[9:10], v[20:21], v[2:3]
	v_add_f64 v[24:25], v[22:23], v[4:5]
	ds_read_b128 v[2:5], v45 offset:32
	ds_read_b128 v[20:23], v45 offset:48
	s_waitcnt lgkmcnt(1)
	v_add_f64 v[2:3], v[9:10], v[2:3]
	v_add_f64 v[4:5], v[24:25], v[4:5]
	s_waitcnt lgkmcnt(0)
	v_add_f64 v[9:10], v[2:3], v[20:21]
	v_add_f64 v[24:25], v[4:5], v[22:23]
	ds_read_b128 v[2:5], v45 offset:64
	ds_read_b128 v[20:23], v45 offset:80
	s_waitcnt lgkmcnt(1)
	v_add_f64 v[2:3], v[9:10], v[2:3]
	v_add_f64 v[4:5], v[24:25], v[4:5]
	;; [unrolled: 8-line block ×3, first 2 shown]
	s_waitcnt lgkmcnt(0)
	v_add_f64 v[2:3], v[2:3], v[20:21]
	v_add_f64 v[4:5], v[4:5], v[22:23]
.LBB190_41:
	s_or_b32 exec_lo, exec_lo, s9
	s_lshl_b64 s[20:21], s[16:17], 9
	v_mad_u32_u24 v17, 0x210, v11, v12
	v_add_co_u32 v20, vcc_lo, v7, s20
	v_add_co_ci_u32_e64 v21, null, s21, v8, vcc_lo
	v_add_co_u32 v9, vcc_lo, 0x200, v20
	v_add_co_ci_u32_e64 v10, null, 0, v21, vcc_lo
	s_and_b32 vcc_lo, exec_lo, s26
	s_barrier
	buffer_gl0_inv
	s_cbranch_vccz .LBB190_59
; %bb.42:
	v_sub_co_u32 v7, vcc_lo, v20, v13
	s_ashr_i32 s13, s12, 31
	v_subrev_co_ci_u32_e64 v8, null, 0, v21, vcc_lo
	s_lshl_b64 s[20:21], s[12:13], 4
	v_or_b32_e32 v22, 32, v6
	v_add_co_u32 v7, vcc_lo, v7, s20
	v_add_co_ci_u32_e64 v8, null, s21, v8, vcc_lo
	s_sub_i32 s13, s12, 32
	v_add_co_u32 v7, vcc_lo, v7, -16
	v_add_co_ci_u32_e64 v8, null, -1, v8, vcc_lo
	v_cmp_gt_i32_e32 vcc_lo, s12, v22
	v_cmp_le_i32_e64 s9, s13, v11
	v_cndmask_b32_e32 v8, v8, v10, vcc_lo
	v_cndmask_b32_e32 v7, v7, v9, vcc_lo
	s_and_saveexec_b32 s27, s9
	s_xor_b32 s9, exec_lo, s27
	s_cbranch_execz .LBB190_44
; %bb.43:
	v_mov_b32_e32 v22, 0
	v_mov_b32_e32 v23, v22
	;; [unrolled: 1-line block ×4, first 2 shown]
	ds_write_b128 v17, v[22:25]
.LBB190_44:
	s_andn2_saveexec_b32 s9, s9
	s_cbranch_execz .LBB190_46
; %bb.45:
	flat_load_dwordx4 v[22:25], v[7:8]
	s_waitcnt vmcnt(0) lgkmcnt(0)
	ds_write2_b64 v17, v[22:23], v[24:25] offset1:1
.LBB190_46:
	s_or_b32 exec_lo, exec_lo, s9
	v_add_nc_u32_e32 v22, 8, v11
	v_cmp_le_i32_e64 s9, s13, v22
	v_mad_u32_u24 v22, 0x210, v22, v12
	s_and_saveexec_b32 s27, s9
	s_xor_b32 s9, exec_lo, s27
	s_cbranch_execz .LBB190_48
; %bb.47:
	v_mov_b32_e32 v23, 0
	v_mov_b32_e32 v24, v23
	;; [unrolled: 1-line block ×4, first 2 shown]
	ds_write_b128 v22, v[23:26]
                                        ; implicit-def: $vgpr22
.LBB190_48:
	s_andn2_saveexec_b32 s27, s9
	s_cbranch_execz .LBB190_50
; %bb.49:
	s_lshl_b64 s[28:29], s[16:17], 7
	v_add_co_u32 v23, s9, v7, s28
	v_add_co_ci_u32_e64 v24, null, s29, v8, s9
	flat_load_dwordx4 v[23:26], v[23:24]
	s_waitcnt vmcnt(0) lgkmcnt(0)
	ds_write2_b64 v22, v[23:24], v[25:26] offset1:1
.LBB190_50:
	s_or_b32 exec_lo, exec_lo, s27
	v_add_nc_u32_e32 v22, 16, v11
	v_cmp_le_i32_e64 s9, s13, v22
	v_mad_u32_u24 v22, 0x210, v22, v12
	s_and_saveexec_b32 s27, s9
	s_xor_b32 s9, exec_lo, s27
	s_cbranch_execz .LBB190_52
; %bb.51:
	v_mov_b32_e32 v23, 0
	v_mov_b32_e32 v24, v23
	;; [unrolled: 1-line block ×4, first 2 shown]
	ds_write_b128 v22, v[23:26]
                                        ; implicit-def: $vgpr22
.LBB190_52:
	s_andn2_saveexec_b32 s27, s9
	s_cbranch_execz .LBB190_54
; %bb.53:
	s_lshl_b64 s[28:29], s[16:17], 8
	v_add_co_u32 v23, s9, v7, s28
	v_add_co_ci_u32_e64 v24, null, s29, v8, s9
	flat_load_dwordx4 v[23:26], v[23:24]
	s_waitcnt vmcnt(0) lgkmcnt(0)
	ds_write2_b64 v22, v[23:24], v[25:26] offset1:1
.LBB190_54:
	s_or_b32 exec_lo, exec_lo, s27
	v_add_nc_u32_e32 v22, 24, v11
	v_cmp_le_i32_e64 s9, s13, v22
	v_mad_u32_u24 v22, 0x210, v22, v12
	s_and_saveexec_b32 s13, s9
	s_xor_b32 s9, exec_lo, s13
	s_cbranch_execz .LBB190_56
; %bb.55:
	v_mov_b32_e32 v23, 0
	v_mov_b32_e32 v24, v23
	;; [unrolled: 1-line block ×4, first 2 shown]
	ds_write_b128 v22, v[23:26]
                                        ; implicit-def: $vgpr22
.LBB190_56:
	s_andn2_saveexec_b32 s9, s9
	s_cbranch_execz .LBB190_58
; %bb.57:
	v_mad_u64_u32 v[23:24], null, 0x180, s16, v[7:8]
	v_mad_u64_u32 v[24:25], null, 0x180, s17, v[24:25]
	flat_load_dwordx4 v[23:26], v[23:24]
	s_waitcnt vmcnt(0) lgkmcnt(0)
	ds_write2_b64 v22, v[23:24], v[25:26] offset1:1
.LBB190_58:
	s_or_b32 exec_lo, exec_lo, s9
	v_add_co_u32 v7, s9, v7, v13
	v_add_co_ci_u32_e64 v8, null, 0, v8, s9
	v_sub_co_u32 v7, s9, v7, s20
	v_subrev_co_ci_u32_e64 v8, null, s21, v8, s9
	v_add_co_u32 v7, s9, 0x210, v7
	v_add_co_ci_u32_e64 v8, null, 0, v8, s9
	v_cndmask_b32_e32 v7, v7, v9, vcc_lo
	v_cndmask_b32_e32 v8, v8, v10, vcc_lo
	s_branch .LBB190_61
.LBB190_59:
                                        ; implicit-def: $vgpr7_vgpr8
	s_cbranch_execz .LBB190_61
; %bb.60:
	flat_load_dwordx4 v[22:25], v[9:10]
	s_lshl_b64 s[20:21], s[16:17], 7
	v_add_co_u32 v7, vcc_lo, v20, s20
	v_add_co_ci_u32_e64 v8, null, s21, v21, vcc_lo
	s_waitcnt vmcnt(0) lgkmcnt(0)
	ds_write2_b64 v17, v[22:23], v[24:25] offset1:1
	flat_load_dwordx4 v[20:23], v[7:8] offset:512
	v_add_co_u32 v7, vcc_lo, v7, s20
	v_add_nc_u32_e32 v24, 0x1080, v17
	v_add_co_ci_u32_e64 v8, null, s21, v8, vcc_lo
	s_waitcnt vmcnt(0) lgkmcnt(0)
	ds_write2_b64 v24, v[20:21], v[22:23] offset1:1
	flat_load_dwordx4 v[20:23], v[7:8] offset:512
	v_add_co_u32 v7, vcc_lo, v7, s20
	v_add_nc_u32_e32 v24, 0x2100, v17
	v_add_co_ci_u32_e64 v8, null, s21, v8, vcc_lo
	s_waitcnt vmcnt(0) lgkmcnt(0)
	ds_write2_b64 v24, v[20:21], v[22:23] offset1:1
	flat_load_dwordx4 v[20:23], v[7:8] offset:512
	v_mov_b32_e32 v7, v9
	v_add_nc_u32_e32 v24, 0x3180, v17
	v_mov_b32_e32 v8, v10
	s_waitcnt vmcnt(0) lgkmcnt(0)
	ds_write2_b64 v24, v[20:21], v[22:23] offset1:1
.LBB190_61:
	v_lshl_add_u32 v9, v18, 4, v45
	s_waitcnt lgkmcnt(0)
	s_barrier
	buffer_gl0_inv
	s_and_saveexec_b32 s9, s2
	s_cbranch_execz .LBB190_65
; %bb.62:
	ds_read_b128 v[20:23], v14
	s_waitcnt lgkmcnt(0)
	ds_write_b128 v9, v[20:23]
	s_or_b32 exec_lo, exec_lo, s9
	s_and_saveexec_b32 s2, s3
	s_cbranch_execnz .LBB190_66
.LBB190_63:
	s_or_b32 exec_lo, exec_lo, s2
	v_add_nc_u32_e32 v18, 0x210, v15
	s_and_saveexec_b32 s2, s7
	s_cbranch_execz .LBB190_67
.LBB190_64:
	ds_read_b128 v[20:23], v18
	s_waitcnt lgkmcnt(0)
	ds_write_b128 v9, v[20:23] offset:32
	s_or_b32 exec_lo, exec_lo, s2
	v_add_nc_u32_e32 v19, 0x4700, v19
	s_and_saveexec_b32 s2, s8
	s_cbranch_execnz .LBB190_68
	s_branch .LBB190_69
.LBB190_65:
	s_or_b32 exec_lo, exec_lo, s9
	s_and_saveexec_b32 s2, s3
	s_cbranch_execz .LBB190_63
.LBB190_66:
	ds_read_b128 v[20:23], v15
	s_waitcnt lgkmcnt(0)
	ds_write_b128 v9, v[20:23] offset:16
	s_or_b32 exec_lo, exec_lo, s2
	v_add_nc_u32_e32 v18, 0x210, v15
	s_and_saveexec_b32 s2, s7
	s_cbranch_execnz .LBB190_64
.LBB190_67:
	s_or_b32 exec_lo, exec_lo, s2
	v_add_nc_u32_e32 v19, 0x4700, v19
	s_and_saveexec_b32 s2, s8
	s_cbranch_execz .LBB190_69
.LBB190_68:
	ds_read_b128 v[20:23], v16
	s_waitcnt lgkmcnt(0)
	ds_write_b128 v9, v[20:23] offset:48
.LBB190_69:
	s_or_b32 exec_lo, exec_lo, s2
	s_waitcnt lgkmcnt(0)
	s_barrier
	buffer_gl0_inv
	ds_read_b128 v[20:23], v14
	ds_read_b128 v[24:27], v19 offset:512
	ds_read_b128 v[28:31], v19 offset:528
	ds_read_b128 v[32:35], v15
	ds_read_b128 v[47:50], v19 offset:544
	ds_read_b128 v[51:54], v18
	v_cmp_eq_u32_e64 s2, 1, v11
	s_waitcnt lgkmcnt(4)
	v_mul_f64 v[9:10], v[26:27], v[22:23]
	v_mul_f64 v[22:23], v[24:25], v[22:23]
	s_waitcnt lgkmcnt(2)
	v_mul_f64 v[36:37], v[30:31], v[34:35]
	v_mul_f64 v[34:35], v[28:29], v[34:35]
	;; [unrolled: 3-line block ×3, first 2 shown]
	v_fma_f64 v[9:10], v[24:25], v[20:21], -v[9:10]
	v_fma_f64 v[42:43], v[26:27], v[20:21], v[22:23]
	v_fma_f64 v[28:29], v[28:29], v[32:33], -v[36:37]
	v_fma_f64 v[30:31], v[30:31], v[32:33], v[34:35]
	ds_read_b128 v[20:23], v19 offset:560
	ds_read_b128 v[24:27], v16
	v_fma_f64 v[36:37], v[47:48], v[51:52], -v[55:56]
	s_waitcnt lgkmcnt(0)
	s_barrier
	buffer_gl0_inv
	v_add_f64 v[9:10], v[9:10], 0
	v_add_f64 v[32:33], v[42:43], 0
	v_mul_f64 v[34:35], v[22:23], v[26:27]
	v_mul_f64 v[26:27], v[20:21], v[26:27]
	v_fma_f64 v[42:43], v[49:50], v[51:52], v[53:54]
	v_add_f64 v[9:10], v[9:10], v[28:29]
	v_add_f64 v[28:29], v[32:33], v[30:31]
	v_fma_f64 v[20:21], v[20:21], v[24:25], -v[34:35]
	v_fma_f64 v[22:23], v[22:23], v[24:25], v[26:27]
	v_add_f64 v[9:10], v[9:10], v[36:37]
	v_add_f64 v[24:25], v[28:29], v[42:43]
	;; [unrolled: 1-line block ×4, first 2 shown]
	ds_write_b128 v46, v[20:23]
	s_waitcnt lgkmcnt(0)
	s_barrier
	buffer_gl0_inv
	s_and_saveexec_b32 s3, s2
	s_cbranch_execz .LBB190_71
; %bb.70:
	ds_read_b128 v[2:5], v45
	ds_read_b128 v[20:23], v45 offset:16
	s_waitcnt lgkmcnt(0)
	v_add_f64 v[9:10], v[20:21], v[2:3]
	v_add_f64 v[24:25], v[22:23], v[4:5]
	ds_read_b128 v[2:5], v45 offset:32
	ds_read_b128 v[20:23], v45 offset:48
	s_waitcnt lgkmcnt(1)
	v_add_f64 v[2:3], v[9:10], v[2:3]
	v_add_f64 v[4:5], v[24:25], v[4:5]
	s_waitcnt lgkmcnt(0)
	v_add_f64 v[9:10], v[2:3], v[20:21]
	v_add_f64 v[24:25], v[4:5], v[22:23]
	ds_read_b128 v[2:5], v45 offset:64
	ds_read_b128 v[20:23], v45 offset:80
	s_waitcnt lgkmcnt(1)
	v_add_f64 v[2:3], v[9:10], v[2:3]
	v_add_f64 v[4:5], v[24:25], v[4:5]
	;; [unrolled: 8-line block ×3, first 2 shown]
	s_waitcnt lgkmcnt(0)
	v_add_f64 v[2:3], v[2:3], v[20:21]
	v_add_f64 v[4:5], v[4:5], v[22:23]
.LBB190_71:
	s_or_b32 exec_lo, exec_lo, s3
	v_add_co_u32 v7, vcc_lo, 0xfffffe00, v7
	v_add_co_ci_u32_e64 v8, null, -1, v8, vcc_lo
	s_and_b32 vcc_lo, exec_lo, s26
	s_barrier
	buffer_gl0_inv
	s_cbranch_vccz .LBB190_89
; %bb.72:
	v_sub_co_u32 v9, vcc_lo, v7, v13
	s_ashr_i32 s13, s12, 31
	v_subrev_co_ci_u32_e64 v10, null, 0, v8, vcc_lo
	s_lshl_b64 s[8:9], s[12:13], 4
	s_sub_i32 s7, s12, 32
	v_add_co_u32 v9, vcc_lo, v9, s8
	v_add_co_ci_u32_e64 v10, null, s9, v10, vcc_lo
	v_cmp_le_i32_e64 s3, s7, v11
	v_add_co_u32 v9, vcc_lo, v9, -16
	v_add_co_ci_u32_e64 v10, null, -1, v10, vcc_lo
	v_cmp_gt_i32_e32 vcc_lo, s12, v6
	v_cndmask_b32_e32 v10, v10, v8, vcc_lo
	v_cndmask_b32_e32 v9, v9, v7, vcc_lo
	s_and_saveexec_b32 s13, s3
	s_xor_b32 s3, exec_lo, s13
	s_cbranch_execz .LBB190_74
; %bb.73:
	v_mov_b32_e32 v20, 0
	v_mov_b32_e32 v21, v20
	;; [unrolled: 1-line block ×4, first 2 shown]
	ds_write_b128 v17, v[20:23]
.LBB190_74:
	s_andn2_saveexec_b32 s3, s3
	s_cbranch_execz .LBB190_76
; %bb.75:
	flat_load_dwordx4 v[20:23], v[9:10]
	s_waitcnt vmcnt(0) lgkmcnt(0)
	ds_write2_b64 v17, v[20:21], v[22:23] offset1:1
.LBB190_76:
	s_or_b32 exec_lo, exec_lo, s3
	v_add_nc_u32_e32 v6, 8, v11
	v_cmp_le_i32_e64 s3, s7, v6
	v_mad_u32_u24 v20, 0x210, v6, v12
	s_and_saveexec_b32 s13, s3
	s_xor_b32 s3, exec_lo, s13
	s_cbranch_execz .LBB190_78
; %bb.77:
	v_mov_b32_e32 v21, 0
	v_mov_b32_e32 v22, v21
	;; [unrolled: 1-line block ×4, first 2 shown]
	ds_write_b128 v20, v[21:24]
                                        ; implicit-def: $vgpr20
.LBB190_78:
	s_andn2_saveexec_b32 s13, s3
	s_cbranch_execz .LBB190_80
; %bb.79:
	s_lshl_b64 s[20:21], s[16:17], 7
	v_add_co_u32 v21, s3, v9, s20
	v_add_co_ci_u32_e64 v22, null, s21, v10, s3
	flat_load_dwordx4 v[21:24], v[21:22]
	s_waitcnt vmcnt(0) lgkmcnt(0)
	ds_write2_b64 v20, v[21:22], v[23:24] offset1:1
.LBB190_80:
	s_or_b32 exec_lo, exec_lo, s13
	v_add_nc_u32_e32 v21, 16, v11
	v_cmp_le_i32_e64 s3, s7, v21
	v_mad_u32_u24 v20, 0x210, v21, v12
	s_and_saveexec_b32 s13, s3
	s_xor_b32 s3, exec_lo, s13
	s_cbranch_execz .LBB190_82
; %bb.81:
	v_mov_b32_e32 v22, 0
	v_mov_b32_e32 v23, v22
	;; [unrolled: 1-line block ×4, first 2 shown]
	ds_write_b128 v20, v[22:25]
                                        ; implicit-def: $vgpr20
.LBB190_82:
	s_andn2_saveexec_b32 s13, s3
	s_cbranch_execz .LBB190_84
; %bb.83:
	s_lshl_b64 s[20:21], s[16:17], 8
	v_add_co_u32 v22, s3, v9, s20
	v_add_co_ci_u32_e64 v23, null, s21, v10, s3
	flat_load_dwordx4 v[22:25], v[22:23]
	s_waitcnt vmcnt(0) lgkmcnt(0)
	ds_write2_b64 v20, v[22:23], v[24:25] offset1:1
.LBB190_84:
	s_or_b32 exec_lo, exec_lo, s13
	v_add_nc_u32_e32 v20, 24, v11
	v_cmp_le_i32_e64 s3, s7, v20
	v_mad_u32_u24 v22, 0x210, v20, v12
	s_and_saveexec_b32 s7, s3
	s_xor_b32 s3, exec_lo, s7
	s_cbranch_execz .LBB190_86
; %bb.85:
	v_mov_b32_e32 v23, 0
	v_mov_b32_e32 v24, v23
	v_mov_b32_e32 v25, v23
	v_mov_b32_e32 v26, v23
	ds_write_b128 v22, v[23:26]
                                        ; implicit-def: $vgpr22
.LBB190_86:
	s_andn2_saveexec_b32 s3, s3
	s_cbranch_execz .LBB190_88
; %bb.87:
	v_mad_u64_u32 v[23:24], null, 0x180, s16, v[9:10]
	v_mad_u64_u32 v[24:25], null, 0x180, s17, v[24:25]
	flat_load_dwordx4 v[23:26], v[23:24]
	s_waitcnt vmcnt(0) lgkmcnt(0)
	ds_write2_b64 v22, v[23:24], v[25:26] offset1:1
.LBB190_88:
	s_or_b32 exec_lo, exec_lo, s3
	v_add_co_u32 v9, s3, v9, v13
	v_add_co_ci_u32_e64 v10, null, 0, v10, s3
	v_sub_co_u32 v9, s3, v9, s8
	v_subrev_co_ci_u32_e64 v10, null, s9, v10, s3
	v_add_co_u32 v9, s3, v9, 16
	v_add_co_ci_u32_e64 v10, null, 0, v10, s3
	v_cndmask_b32_e32 v42, v9, v7, vcc_lo
	v_cndmask_b32_e32 v43, v10, v8, vcc_lo
	s_branch .LBB190_91
.LBB190_89:
                                        ; implicit-def: $vgpr42_vgpr43
                                        ; implicit-def: $vgpr6
                                        ; implicit-def: $vgpr21
                                        ; implicit-def: $vgpr20
	s_cbranch_execz .LBB190_91
; %bb.90:
	flat_load_dwordx4 v[20:23], v[7:8]
	s_lshl_b64 s[8:9], s[16:17], 7
	v_add_nc_u32_e32 v6, 8, v11
	v_add_co_u32 v9, vcc_lo, v7, s8
	v_add_co_ci_u32_e64 v10, null, s9, v8, vcc_lo
	v_mad_u32_u24 v12, 0x210, v6, v12
	v_mov_b32_e32 v43, v8
	v_mov_b32_e32 v42, v7
	v_add_nc_u32_e32 v13, 0x1080, v12
	s_waitcnt vmcnt(0) lgkmcnt(0)
	ds_write2_b64 v17, v[20:21], v[22:23] offset1:1
	flat_load_dwordx4 v[20:23], v[9:10]
	v_add_co_u32 v9, vcc_lo, v9, s8
	v_add_co_ci_u32_e64 v10, null, s9, v10, vcc_lo
	s_waitcnt vmcnt(0) lgkmcnt(0)
	ds_write2_b64 v12, v[20:21], v[22:23] offset1:1
	flat_load_dwordx4 v[20:23], v[9:10]
	v_add_co_u32 v9, vcc_lo, v9, s8
	v_add_co_ci_u32_e64 v10, null, s9, v10, vcc_lo
	s_waitcnt vmcnt(0) lgkmcnt(0)
	ds_write2_b64 v13, v[20:21], v[22:23] offset1:1
	flat_load_dwordx4 v[22:25], v[9:10]
	v_add_nc_u32_e32 v21, 16, v11
	v_add_nc_u32_e32 v20, 24, v11
	;; [unrolled: 1-line block ×3, first 2 shown]
	s_waitcnt vmcnt(0) lgkmcnt(0)
	ds_write2_b64 v9, v[22:23], v[24:25] offset1:1
.LBB190_91:
	v_lshlrev_b32_e32 v11, 4, v11
	s_waitcnt lgkmcnt(0)
	s_barrier
	buffer_gl0_inv
	v_lshlrev_b32_e32 v6, 4, v6
	v_add_nc_u32_e32 v7, v45, v11
	ds_read_b128 v[7:10], v7
	ds_read_b128 v[22:25], v11 offset:18176
	v_add_nc_u32_e32 v11, v45, v6
	ds_read_b128 v[26:29], v11
	ds_read_b128 v[30:33], v6 offset:18176
	v_lshlrev_b32_e32 v6, 4, v21
	v_add_nc_u32_e32 v13, v45, v6
	ds_read_b128 v[34:37], v13
	ds_read_b128 v[47:50], v6 offset:18176
	s_waitcnt lgkmcnt(4)
	v_mul_f64 v[11:12], v[9:10], v[24:25]
	v_mul_f64 v[24:25], v[7:8], v[24:25]
	s_waitcnt lgkmcnt(2)
	v_mul_f64 v[51:52], v[28:29], v[32:33]
	v_mul_f64 v[32:33], v[26:27], v[32:33]
	v_fma_f64 v[53:54], v[7:8], v[22:23], -v[11:12]
	v_fma_f64 v[21:22], v[9:10], v[22:23], v[24:25]
	v_lshlrev_b32_e32 v10, 4, v20
	s_waitcnt lgkmcnt(0)
	v_mul_f64 v[23:24], v[36:37], v[49:50]
	v_mul_f64 v[49:50], v[34:35], v[49:50]
	v_fma_f64 v[25:26], v[26:27], v[30:31], -v[51:52]
	v_add_nc_u32_e32 v6, v45, v10
	v_fma_f64 v[27:28], v[28:29], v[30:31], v[32:33]
	ds_read_b128 v[6:9], v6
	ds_read_b128 v[10:13], v10 offset:18176
	v_add_f64 v[29:30], v[53:54], 0
	v_add_f64 v[20:21], v[21:22], 0
	v_fma_f64 v[22:23], v[34:35], v[47:48], -v[23:24]
	v_fma_f64 v[33:34], v[36:37], v[47:48], v[49:50]
	s_waitcnt lgkmcnt(0)
	v_mul_f64 v[31:32], v[8:9], v[12:13]
	v_mul_f64 v[12:13], v[6:7], v[12:13]
	v_add_f64 v[24:25], v[29:30], v[25:26]
	v_add_f64 v[20:21], v[20:21], v[27:28]
	v_fma_f64 v[6:7], v[6:7], v[10:11], -v[31:32]
	v_fma_f64 v[8:9], v[8:9], v[10:11], v[12:13]
	v_add_f64 v[10:11], v[24:25], v[22:23]
	v_add_f64 v[12:13], v[20:21], v[33:34]
	ds_read_b128 v[30:33], v19 offset:512
	ds_read_b128 v[22:25], v19 offset:528
	v_add_f64 v[47:48], v[10:11], v[6:7]
	v_add_f64 v[49:50], v[12:13], v[8:9]
	ds_read_b128 v[10:13], v19 offset:544
	ds_read_b128 v[6:9], v19 offset:560
	ds_read_b128 v[34:37], v14
	ds_read_b128 v[26:29], v15
	;; [unrolled: 1-line block ×4, first 2 shown]
	s_waitcnt lgkmcnt(0)
	s_barrier
	buffer_gl0_inv
	ds_write_b128 v46, v[47:50]
	s_waitcnt lgkmcnt(0)
	s_barrier
	buffer_gl0_inv
	s_and_saveexec_b32 s3, s2
	s_cbranch_execz .LBB190_93
; %bb.92:
	ds_read_b128 v[47:50], v45
	ds_read_b128 v[51:54], v45 offset:16
	s_waitcnt lgkmcnt(1)
	v_add_f64 v[2:3], v[2:3], v[47:48]
	v_add_f64 v[4:5], v[4:5], v[49:50]
	s_waitcnt lgkmcnt(0)
	v_add_f64 v[51:52], v[2:3], v[51:52]
	v_add_f64 v[53:54], v[4:5], v[53:54]
	ds_read_b128 v[2:5], v45 offset:32
	ds_read_b128 v[47:50], v45 offset:48
	s_waitcnt lgkmcnt(1)
	v_add_f64 v[2:3], v[51:52], v[2:3]
	v_add_f64 v[4:5], v[53:54], v[4:5]
	s_waitcnt lgkmcnt(0)
	v_add_f64 v[51:52], v[2:3], v[47:48]
	v_add_f64 v[53:54], v[4:5], v[49:50]
	ds_read_b128 v[2:5], v45 offset:64
	;; [unrolled: 8-line block ×3, first 2 shown]
	ds_read_b128 v[47:50], v45 offset:112
	s_waitcnt lgkmcnt(1)
	v_add_f64 v[2:3], v[51:52], v[2:3]
	v_add_f64 v[4:5], v[53:54], v[4:5]
	s_waitcnt lgkmcnt(0)
	v_add_f64 v[2:3], v[2:3], v[47:48]
	v_add_f64 v[4:5], v[4:5], v[49:50]
.LBB190_93:
	s_or_b32 exec_lo, exec_lo, s3
	v_mul_f64 v[47:48], v[32:33], v[36:37]
	v_mul_f64 v[36:37], v[30:31], v[36:37]
	;; [unrolled: 1-line block ×4, first 2 shown]
	s_barrier
	buffer_gl0_inv
	v_fma_f64 v[30:31], v[30:31], v[34:35], -v[47:48]
	v_fma_f64 v[32:33], v[32:33], v[34:35], v[36:37]
	v_mul_f64 v[34:35], v[12:13], v[20:21]
	v_mul_f64 v[20:21], v[10:11], v[20:21]
	v_fma_f64 v[22:23], v[22:23], v[26:27], -v[49:50]
	v_fma_f64 v[24:25], v[24:25], v[26:27], v[28:29]
	v_add_f64 v[26:27], v[30:31], 0
	v_add_f64 v[28:29], v[32:33], 0
	v_mul_f64 v[30:31], v[8:9], v[16:17]
	v_mul_f64 v[16:17], v[6:7], v[16:17]
	v_fma_f64 v[10:11], v[10:11], v[18:19], -v[34:35]
	v_fma_f64 v[12:13], v[12:13], v[18:19], v[20:21]
	v_add_f64 v[18:19], v[26:27], v[22:23]
	v_add_f64 v[20:21], v[28:29], v[24:25]
	v_fma_f64 v[6:7], v[6:7], v[14:15], -v[30:31]
	v_fma_f64 v[8:9], v[8:9], v[14:15], v[16:17]
	v_add_f64 v[10:11], v[18:19], v[10:11]
	v_add_f64 v[12:13], v[20:21], v[12:13]
	;; [unrolled: 1-line block ×4, first 2 shown]
	ds_write_b128 v46, v[6:9]
	s_waitcnt lgkmcnt(0)
	s_barrier
	buffer_gl0_inv
	s_and_saveexec_b32 s2, s1
	s_cbranch_execz .LBB190_95
; %bb.94:
	ds_read_b128 v[6:9], v45
	ds_read_b128 v[10:13], v45 offset:16
	s_waitcnt lgkmcnt(1)
	v_add_f64 v[2:3], v[2:3], v[6:7]
	v_add_f64 v[4:5], v[4:5], v[8:9]
	s_waitcnt lgkmcnt(0)
	v_add_f64 v[10:11], v[2:3], v[10:11]
	v_add_f64 v[12:13], v[4:5], v[12:13]
	ds_read_b128 v[2:5], v45 offset:32
	ds_read_b128 v[6:9], v45 offset:48
	s_waitcnt lgkmcnt(1)
	v_add_f64 v[2:3], v[10:11], v[2:3]
	v_add_f64 v[4:5], v[12:13], v[4:5]
	s_waitcnt lgkmcnt(0)
	v_add_f64 v[10:11], v[2:3], v[6:7]
	v_add_f64 v[12:13], v[4:5], v[8:9]
	ds_read_b128 v[2:5], v45 offset:64
	ds_read_b128 v[6:9], v45 offset:80
	s_waitcnt lgkmcnt(1)
	v_add_f64 v[2:3], v[10:11], v[2:3]
	v_add_f64 v[4:5], v[12:13], v[4:5]
	s_waitcnt lgkmcnt(0)
	v_add_f64 v[10:11], v[2:3], v[6:7]
	v_add_f64 v[12:13], v[4:5], v[8:9]
	ds_read_b128 v[2:5], v45 offset:96
	ds_read_b128 v[6:9], v45 offset:112
	s_waitcnt lgkmcnt(1)
	v_add_f64 v[2:3], v[10:11], v[2:3]
	v_add_f64 v[4:5], v[12:13], v[4:5]
	s_waitcnt lgkmcnt(0)
	v_add_f64 v[2:3], v[2:3], v[6:7]
	v_add_f64 v[4:5], v[4:5], v[8:9]
.LBB190_95:
	s_or_b32 exec_lo, exec_lo, s2
	s_load_dwordx2 s[2:3], s[4:5], 0x78
	s_mul_hi_u32 s1, s24, s18
	s_mul_i32 s25, s25, s18
	s_mul_i32 s4, s24, s18
	s_add_i32 s1, s1, s25
	s_mul_hi_u32 s5, s4, s19
	s_mul_i32 s1, s1, s19
	s_mul_i32 s4, s4, s19
	s_add_i32 s5, s5, s1
	s_mul_hi_i32 s9, s24, s6
	s_lshl_b64 s[4:5], s[4:5], 4
	s_mul_i32 s8, s24, s6
	v_lshlrev_b32_e32 v169, 4, v0
	s_waitcnt lgkmcnt(0)
	s_barrier
	buffer_gl0_inv
	s_add_u32 s1, s2, s4
	s_addc_u32 s2, s3, s5
	s_lshl_b64 s[4:5], s[8:9], 4
	s_add_u32 s3, s1, s4
	s_addc_u32 s7, s2, s5
	s_add_i32 s1, s6, 1
	s_cmp_ge_u32 s1, s19
	s_cbranch_scc1 .LBB190_153
; %bb.96:
	v_lshlrev_b32_e32 v15, 6, v1
	v_lshrrev_b32_e32 v6, 4, v44
	v_and_b32_e32 v7, 15, v0
	v_and_b32_e32 v8, 48, v0
	v_or_b32_e32 v10, 0xf0, v169
	s_mul_i32 s1, s10, s15
	v_lshlrev_b32_e32 v9, 6, v6
	v_mul_i32_i24_e32 v16, 0xffffffd0, v6
	v_lshlrev_b32_e32 v8, 4, v8
	v_mad_u32_u24 v179, 0x430, v7, v10
	v_add_nc_u32_e32 v10, 0x220, v15
	v_mad_u32_u24 v177, 0x430, v7, v9
	s_mul_hi_u32 s2, s10, s14
	v_mad_u32_u24 v178, 0x430, v7, v8
	s_mul_i32 s4, s11, s14
	v_mad_u64_u32 v[7:8], null, s16, v10, 0
	s_add_i32 s1, s2, s1
	v_add_nc_u32_e32 v12, 0x530, v15
	s_add_i32 s5, s1, s4
	s_mul_i32 s4, s10, s14
	v_add_nc_u32_e32 v17, 0x210, v15
	s_lshl_b64 s[4:5], s[4:5], 4
	v_mov_b32_e32 v6, v8
	v_sub_co_u32 v171, vcc_lo, v40, s4
	v_subrev_co_ci_u32_e64 v172, null, s5, v41, vcc_lo
	v_mad_u64_u32 v[10:11], null, s17, v10, v[6:7]
	v_sub_co_u32 v7, vcc_lo, v7, v38
	v_mad_u64_u32 v[8:9], null, s16, v12, 0
	v_add_nc_u32_e32 v18, 0x500, v15
	v_add_nc_u32_e32 v174, 0x4300, v15
	v_sub_co_ci_u32_e64 v14, null, v10, v39, vcc_lo
	v_mad_u64_u32 v[10:11], null, s16, v17, 0
	v_add_co_u32 v195, vcc_lo, v42, v7
	v_add_co_ci_u32_e64 v196, null, v43, v14, vcc_lo
	v_lshlrev_b32_e32 v170, 2, v1
	v_add_nc_u32_e32 v173, 0x4300, v169
	v_mad_u64_u32 v[12:13], null, s17, v12, v[9:10]
	v_sub_co_u32 v9, vcc_lo, v8, v38
	v_mov_b32_e32 v7, v11
	v_mad_u64_u32 v[13:14], null, s16, v18, 0
	v_add_nc_u32_e32 v175, 0x4700, v169
	v_sub_co_ci_u32_e64 v11, null, v12, v39, vcc_lo
	v_add_nc_u32_e32 v12, 0x200, v15
	v_add_co_u32 v197, vcc_lo, v42, v9
	v_mad_u64_u32 v[7:8], null, s17, v17, v[7:8]
	v_add_co_ci_u32_e64 v198, null, v43, v11, vcc_lo
	v_sub_co_u32 v11, vcc_lo, v10, v38
	v_mad_u64_u32 v[9:10], null, s16, v12, 0
	v_mov_b32_e32 v8, v14
	v_sub_co_ci_u32_e64 v14, null, v7, v39, vcc_lo
	v_add_nc_u32_e32 v17, 0x510, v15
	v_add_co_u32 v199, vcc_lo, v42, v11
	v_mad_u64_u32 v[7:8], null, s17, v18, v[8:9]
	v_add_co_ci_u32_e64 v200, null, v43, v14, vcc_lo
	v_sub_co_u32 v13, vcc_lo, v13, v38
	v_mov_b32_e32 v8, v10
	v_mad_u64_u32 v[10:11], null, s16, v17, 0
	v_sub_co_ci_u32_e64 v14, null, v7, v39, vcc_lo
	v_add_co_u32 v201, vcc_lo, v42, v13
	v_mad_u64_u32 v[7:8], null, s17, v12, v[8:9]
	v_add_co_ci_u32_e64 v202, null, v43, v14, vcc_lo
	v_add_nc_u32_e32 v14, 0x230, v15
	v_mov_b32_e32 v8, v11
	v_sub_co_u32 v9, vcc_lo, v9, v38
	v_sub_co_ci_u32_e64 v13, null, v7, v39, vcc_lo
	v_mad_u64_u32 v[11:12], null, s16, v14, 0
	v_mad_u64_u32 v[7:8], null, s17, v17, v[8:9]
	v_add_nc_u32_e32 v17, 0x320, v15
	v_add_co_u32 v203, vcc_lo, v42, v9
	v_add_co_ci_u32_e64 v204, null, v43, v13, vcc_lo
	v_mov_b32_e32 v8, v12
	v_mad_u64_u32 v[12:13], null, s16, v17, 0
	v_sub_co_u32 v9, vcc_lo, v10, v38
	v_sub_co_ci_u32_e64 v10, null, v7, v39, vcc_lo
	v_mad_u32_u24 v176, 0x10c0, v1, v169
	v_mad_u64_u32 v[7:8], null, s17, v14, v[8:9]
	v_mov_b32_e32 v8, v13
	v_add_nc_u32_e32 v13, 0x520, v15
	v_add_co_u32 v205, vcc_lo, v42, v9
	v_add_co_ci_u32_e64 v206, null, v43, v10, vcc_lo
	v_mad_u64_u32 v[9:10], null, s16, v13, 0
	v_sub_co_u32 v11, vcc_lo, v11, v38
	v_sub_co_ci_u32_e64 v14, null, v7, v39, vcc_lo
	v_cmp_gt_u32_e64 s1, 64, v44
	v_add_co_u32 v207, vcc_lo, v42, v11
	v_mad_u64_u32 v[7:8], null, s17, v17, v[8:9]
	v_add_nc_u32_e32 v17, 0x430, v15
	v_add_co_ci_u32_e64 v208, null, v43, v14, vcc_lo
	v_sub_co_u32 v12, vcc_lo, v12, v38
	v_mov_b32_e32 v8, v10
	v_mad_u64_u32 v[10:11], null, s16, v17, 0
	v_sub_co_ci_u32_e64 v14, null, v7, v39, vcc_lo
	v_add_co_u32 v209, vcc_lo, v42, v12
	v_mad_u64_u32 v[7:8], null, s17, v13, v[8:9]
	v_add_co_ci_u32_e64 v210, null, v43, v14, vcc_lo
	v_add_nc_u32_e32 v14, 0x310, v15
	v_mov_b32_e32 v8, v11
	v_sub_co_u32 v9, vcc_lo, v9, v38
	v_sub_co_ci_u32_e64 v13, null, v7, v39, vcc_lo
	v_mad_u64_u32 v[11:12], null, s16, v14, 0
	v_mad_u64_u32 v[7:8], null, s17, v17, v[8:9]
	v_add_nc_u32_e32 v17, 0x400, v15
	v_add_co_u32 v211, vcc_lo, v42, v9
	v_add_co_ci_u32_e64 v212, null, v43, v13, vcc_lo
	v_mov_b32_e32 v8, v12
	v_mad_u64_u32 v[12:13], null, s16, v17, 0
	v_sub_co_u32 v9, vcc_lo, v10, v38
	v_sub_co_ci_u32_e64 v10, null, v7, v39, vcc_lo
	v_or_b32_e32 v180, 1, v170
	v_mad_u64_u32 v[7:8], null, s17, v14, v[8:9]
	v_mov_b32_e32 v8, v13
	v_add_nc_u32_e32 v13, 0x300, v15
	v_add_co_u32 v213, vcc_lo, v42, v9
	v_add_co_ci_u32_e64 v214, null, v43, v10, vcc_lo
	v_mad_u64_u32 v[9:10], null, s16, v13, 0
	v_sub_co_u32 v11, vcc_lo, v11, v38
	v_sub_co_ci_u32_e64 v14, null, v7, v39, vcc_lo
	v_or_b32_e32 v181, 2, v170
	v_add_co_u32 v215, vcc_lo, v42, v11
	v_mad_u64_u32 v[7:8], null, s17, v17, v[8:9]
	v_add_nc_u32_e32 v17, 0x410, v15
	v_mov_b32_e32 v8, v10
	v_add_co_ci_u32_e64 v216, null, v43, v14, vcc_lo
	v_sub_co_u32 v12, vcc_lo, v12, v38
	v_mad_u64_u32 v[10:11], null, s16, v17, 0
	v_sub_co_ci_u32_e64 v14, null, v7, v39, vcc_lo
	v_mad_u64_u32 v[7:8], null, s17, v13, v[8:9]
	v_add_co_u32 v217, vcc_lo, v42, v12
	v_add_co_ci_u32_e64 v218, null, v43, v14, vcc_lo
	v_mov_b32_e32 v8, v11
	v_sub_co_u32 v11, vcc_lo, v9, v38
	v_sub_co_ci_u32_e64 v12, null, v7, v39, vcc_lo
	v_add_nc_u32_e32 v14, 0x420, v15
	v_add_nc_u32_e32 v13, 0x330, v15
	v_add_co_u32 v219, vcc_lo, v42, v11
	v_mad_u64_u32 v[7:8], null, s17, v17, v[8:9]
	v_add_co_ci_u32_e64 v220, null, v43, v12, vcc_lo
	v_mad_u64_u32 v[11:12], null, s16, v14, 0
	v_mad_u64_u32 v[8:9], null, s16, v13, 0
	v_sub_co_u32 v15, vcc_lo, v10, v38
	v_sub_co_ci_u32_e64 v17, null, v7, v39, vcc_lo
	v_mov_b32_e32 v7, v12
	v_add_co_u32 v221, vcc_lo, v42, v15
	v_mad_u64_u32 v[9:10], null, s17, v13, v[9:10]
	v_mad_u64_u32 v[12:13], null, s17, v14, v[7:8]
	v_add_co_ci_u32_e64 v222, null, v43, v17, vcc_lo
	v_sub_co_u32 v7, vcc_lo, v8, v38
	v_sub_co_ci_u32_e64 v8, null, v9, v39, vcc_lo
	v_sub_co_u32 v9, vcc_lo, v11, v38
	v_sub_co_ci_u32_e64 v10, null, v12, v39, vcc_lo
	v_add_co_u32 v223, vcc_lo, v42, v7
	v_add_co_ci_u32_e64 v224, null, v43, v8, vcc_lo
	v_add_co_u32 v225, vcc_lo, v42, v9
	v_or_b32_e32 v182, 3, v170
	v_add_nc_u32_e32 v183, 16, v170
	v_add_nc_u32_e32 v184, 17, v170
	;; [unrolled: 1-line block ×12, first 2 shown]
	v_mov_b32_e32 v6, 0
	v_add_co_ci_u32_e64 v226, null, v43, v10, vcc_lo
	v_add_nc_u32_e32 v227, v177, v16
	s_add_i32 s8, s19, -2
	s_add_i32 s9, s14, 64
	s_lshl_b64 s[4:5], s[16:17], 10
	s_cmp_eq_u32 s8, s6
	s_cselect_b32 s13, s22, 0
	s_and_saveexec_b32 s2, s0
	s_cbranch_execz .LBB190_102
	s_branch .LBB190_98
.LBB190_97:                             ;   in Loop: Header=BB190_102 Depth=1
	s_mov_b32 s6, s2
	s_cmp_eq_u32 s8, s6
	s_cselect_b32 s13, s22, 0
	s_and_saveexec_b32 s2, s0
	s_cbranch_execz .LBB190_102
.LBB190_98:
	v_cmp_le_i32_e32 vcc_lo, s13, v0
	s_cmp_lg_u32 s13, 0
	s_cselect_b32 s14, -1, 0
	s_and_b32 s14, s14, vcc_lo
	s_and_saveexec_b32 s15, s14
	s_xor_b32 s14, exec_lo, s15
	s_cbranch_execz .LBB190_100
; %bb.99:
	v_mov_b32_e32 v7, v6
	v_mov_b32_e32 v8, v6
	;; [unrolled: 1-line block ×3, first 2 shown]
	ds_write_b128 v173, v[6:9]
.LBB190_100:
	s_andn2_saveexec_b32 s14, s14
	s_cbranch_execz .LBB190_102
; %bb.101:
	s_ashr_i32 s14, s9, 31
	s_mul_hi_u32 s15, s10, s9
	s_mul_i32 s14, s10, s14
	s_mul_i32 s16, s11, s9
	s_add_i32 s15, s15, s14
	s_mul_i32 s14, s10, s9
	s_add_i32 s15, s15, s16
	s_lshl_b64 s[14:15], s[14:15], 4
	v_add_co_u32 v7, vcc_lo, v171, s14
	v_add_co_ci_u32_e64 v8, null, s15, v172, vcc_lo
	flat_load_dwordx4 v[7:10], v[7:8]
	s_waitcnt vmcnt(0) lgkmcnt(0)
	ds_write2_b64 v173, v[7:8], v[9:10] offset1:1
.LBB190_102:                            ; =>This Inner Loop Header: Depth=1
	s_or_b32 exec_lo, exec_lo, s2
	s_cmp_eq_u32 s13, 0
	v_add_co_u32 v19, vcc_lo, v203, v169
	s_cselect_b32 s14, -1, 0
	s_cmp_lg_u32 s13, 0
	v_add_co_ci_u32_e64 v20, null, 0, v204, vcc_lo
	s_cselect_b32 s2, -1, 0
	s_waitcnt lgkmcnt(0)
	s_and_b32 vcc_lo, exec_lo, s2
	s_barrier
	buffer_gl0_inv
	s_cbranch_vccz .LBB190_110
; %bb.103:                              ;   in Loop: Header=BB190_102 Depth=1
	v_mov_b32_e32 v7, 0
	v_mov_b32_e32 v11, 0
	v_mov_b32_e32 v13, 0
	v_mov_b32_e32 v8, 0
	v_mov_b32_e32 v12, 0
	v_mov_b32_e32 v14, 0
	s_mov_b32 s15, exec_lo
	v_cmpx_gt_i32_e64 s13, v170
	s_cbranch_execz .LBB190_105
; %bb.104:                              ;   in Loop: Header=BB190_102 Depth=1
	flat_load_dwordx4 v[11:14], v[19:20]
.LBB190_105:                            ;   in Loop: Header=BB190_102 Depth=1
	s_or_b32 exec_lo, exec_lo, s15
	v_mov_b32_e32 v9, 0
	v_mov_b32_e32 v10, 0
	s_mov_b32 s15, exec_lo
	v_cmpx_gt_i32_e64 s13, v180
	s_cbranch_execz .LBB190_107
; %bb.106:                              ;   in Loop: Header=BB190_102 Depth=1
	v_add_co_u32 v7, vcc_lo, v199, v169
	v_add_co_ci_u32_e64 v8, null, 0, v200, vcc_lo
	flat_load_dwordx4 v[7:10], v[7:8]
.LBB190_107:                            ;   in Loop: Header=BB190_102 Depth=1
	s_or_b32 exec_lo, exec_lo, s15
	v_mov_b32_e32 v15, 0
	v_mov_b32_e32 v17, 0
	;; [unrolled: 1-line block ×4, first 2 shown]
	s_mov_b32 s15, exec_lo
	v_cmpx_gt_i32_e64 s13, v181
	s_cbranch_execz .LBB190_109
; %bb.108:                              ;   in Loop: Header=BB190_102 Depth=1
	v_add_co_u32 v15, vcc_lo, v195, v169
	v_add_co_ci_u32_e64 v16, null, 0, v196, vcc_lo
	flat_load_dwordx4 v[15:18], v[15:16]
.LBB190_109:                            ;   in Loop: Header=BB190_102 Depth=1
	s_or_b32 exec_lo, exec_lo, s15
	v_cmp_gt_i32_e64 s15, s13, v182
	s_branch .LBB190_112
.LBB190_110:                            ;   in Loop: Header=BB190_102 Depth=1
	s_mov_b32 s15, 0
                                        ; implicit-def: $vgpr17_vgpr18
                                        ; implicit-def: $vgpr9_vgpr10
                                        ; implicit-def: $vgpr13_vgpr14
	s_cbranch_execz .LBB190_112
; %bb.111:                              ;   in Loop: Header=BB190_102 Depth=1
	s_waitcnt vmcnt(0) lgkmcnt(0)
	v_add_co_u32 v7, vcc_lo, v199, v169
	v_add_co_ci_u32_e64 v8, null, 0, v200, vcc_lo
	v_add_co_u32 v15, vcc_lo, v195, v169
	v_add_co_ci_u32_e64 v16, null, 0, v196, vcc_lo
	flat_load_dwordx4 v[11:14], v[19:20]
	flat_load_dwordx4 v[7:10], v[7:8]
	;; [unrolled: 1-line block ×3, first 2 shown]
	s_or_b32 s15, s15, exec_lo
.LBB190_112:                            ;   in Loop: Header=BB190_102 Depth=1
	v_mov_b32_e32 v19, 0
	v_mov_b32_e32 v21, 0
	;; [unrolled: 1-line block ×4, first 2 shown]
	s_and_saveexec_b32 s16, s15
	s_cbranch_execz .LBB190_114
; %bb.113:                              ;   in Loop: Header=BB190_102 Depth=1
	v_add_co_u32 v19, vcc_lo, v207, v169
	v_add_co_ci_u32_e64 v20, null, 0, v208, vcc_lo
	flat_load_dwordx4 v[19:22], v[19:20]
.LBB190_114:                            ;   in Loop: Header=BB190_102 Depth=1
	s_or_b32 exec_lo, exec_lo, s16
	ds_read_b128 v[23:26], v175
	v_cndmask_b32_e64 v119, 0, 1, s2
	s_waitcnt vmcnt(0) lgkmcnt(0)
	v_mul_f64 v[27:28], v[13:14], v[25:26]
	v_mul_f64 v[29:30], v[11:12], v[25:26]
	;; [unrolled: 1-line block ×8, first 2 shown]
	v_fma_f64 v[39:40], v[11:12], v[23:24], -v[27:28]
	v_fma_f64 v[41:42], v[13:14], v[23:24], v[29:30]
	v_fma_f64 v[43:44], v[7:8], v[23:24], -v[31:32]
	v_fma_f64 v[45:46], v[9:10], v[23:24], v[33:34]
	;; [unrolled: 2-line block ×4, first 2 shown]
	ds_read_b128 v[35:38], v174
	ds_read_b128 v[31:34], v174 offset:16
	ds_read_b128 v[27:30], v174 offset:32
	;; [unrolled: 1-line block ×3, first 2 shown]
	ds_write_b128 v176, v[39:42]
	ds_write_b128 v176, v[43:46] offset:1072
	ds_write_b128 v176, v[47:50] offset:2144
	;; [unrolled: 1-line block ×3, first 2 shown]
	s_waitcnt lgkmcnt(0)
	s_barrier
	buffer_gl0_inv
	ds_read_b128 v[99:102], v177
	ds_read_b128 v[95:98], v177 offset:16
	ds_read_b128 v[91:94], v177 offset:32
	;; [unrolled: 1-line block ×3, first 2 shown]
	v_add_co_u32 v51, vcc_lo, v219, v169
	v_add_co_ci_u32_e64 v52, null, 0, v220, vcc_lo
	s_andn2_b32 vcc_lo, exec_lo, s2
	s_waitcnt lgkmcnt(0)
	s_barrier
	buffer_gl0_inv
	s_cbranch_vccnz .LBB190_122
; %bb.115:                              ;   in Loop: Header=BB190_102 Depth=1
	v_mov_b32_e32 v39, 0
	v_mov_b32_e32 v43, 0
	;; [unrolled: 1-line block ×6, first 2 shown]
	s_mov_b32 s2, exec_lo
	v_cmpx_gt_i32_e64 s13, v183
	s_cbranch_execz .LBB190_117
; %bb.116:                              ;   in Loop: Header=BB190_102 Depth=1
	flat_load_dwordx4 v[43:46], v[51:52]
.LBB190_117:                            ;   in Loop: Header=BB190_102 Depth=1
	s_or_b32 exec_lo, exec_lo, s2
	v_mov_b32_e32 v41, 0
	v_mov_b32_e32 v42, 0
	s_mov_b32 s2, exec_lo
	v_cmpx_gt_i32_e64 s13, v184
	s_cbranch_execz .LBB190_119
; %bb.118:                              ;   in Loop: Header=BB190_102 Depth=1
	v_add_co_u32 v39, vcc_lo, v215, v169
	v_add_co_ci_u32_e64 v40, null, 0, v216, vcc_lo
	flat_load_dwordx4 v[39:42], v[39:40]
.LBB190_119:                            ;   in Loop: Header=BB190_102 Depth=1
	s_or_b32 exec_lo, exec_lo, s2
	v_mov_b32_e32 v47, 0
	v_mov_b32_e32 v49, 0
	;; [unrolled: 1-line block ×4, first 2 shown]
	s_mov_b32 s2, exec_lo
	v_cmpx_gt_i32_e64 s13, v185
	s_cbranch_execz .LBB190_121
; %bb.120:                              ;   in Loop: Header=BB190_102 Depth=1
	v_add_co_u32 v47, vcc_lo, v209, v169
	v_add_co_ci_u32_e64 v48, null, 0, v210, vcc_lo
	flat_load_dwordx4 v[47:50], v[47:48]
.LBB190_121:                            ;   in Loop: Header=BB190_102 Depth=1
	s_or_b32 exec_lo, exec_lo, s2
	v_cmp_gt_i32_e64 s2, s13, v186
	s_branch .LBB190_124
.LBB190_122:                            ;   in Loop: Header=BB190_102 Depth=1
	s_mov_b32 s2, 0
                                        ; implicit-def: $vgpr49_vgpr50
                                        ; implicit-def: $vgpr41_vgpr42
                                        ; implicit-def: $vgpr45_vgpr46
	s_cbranch_execz .LBB190_124
; %bb.123:                              ;   in Loop: Header=BB190_102 Depth=1
	s_waitcnt vmcnt(0) lgkmcnt(0)
	v_add_co_u32 v39, vcc_lo, v215, v169
	v_add_co_ci_u32_e64 v40, null, 0, v216, vcc_lo
	v_add_co_u32 v47, vcc_lo, v209, v169
	v_add_co_ci_u32_e64 v48, null, 0, v210, vcc_lo
	flat_load_dwordx4 v[43:46], v[51:52]
	flat_load_dwordx4 v[39:42], v[39:40]
	;; [unrolled: 1-line block ×3, first 2 shown]
	s_or_b32 s2, s2, exec_lo
.LBB190_124:                            ;   in Loop: Header=BB190_102 Depth=1
	v_mov_b32_e32 v51, 0
	v_mov_b32_e32 v53, 0
	;; [unrolled: 1-line block ×4, first 2 shown]
	s_and_saveexec_b32 s15, s2
	s_cbranch_execz .LBB190_126
; %bb.125:                              ;   in Loop: Header=BB190_102 Depth=1
	v_add_co_u32 v51, vcc_lo, v223, v169
	v_add_co_ci_u32_e64 v52, null, 0, v224, vcc_lo
	flat_load_dwordx4 v[51:54], v[51:52]
.LBB190_126:                            ;   in Loop: Header=BB190_102 Depth=1
	s_or_b32 exec_lo, exec_lo, s15
	ds_read_b128 v[55:58], v175
	v_cmp_ne_u32_e32 vcc_lo, 1, v119
	s_and_b32 vcc_lo, exec_lo, vcc_lo
	s_waitcnt vmcnt(0) lgkmcnt(0)
	v_mul_f64 v[59:60], v[45:46], v[57:58]
	v_mul_f64 v[61:62], v[43:44], v[57:58]
	;; [unrolled: 1-line block ×8, first 2 shown]
	v_fma_f64 v[71:72], v[43:44], v[55:56], -v[59:60]
	v_fma_f64 v[73:74], v[45:46], v[55:56], v[61:62]
	v_fma_f64 v[75:76], v[39:40], v[55:56], -v[63:64]
	v_fma_f64 v[77:78], v[41:42], v[55:56], v[65:66]
	v_fma_f64 v[79:80], v[47:48], v[55:56], -v[67:68]
	v_fma_f64 v[81:82], v[49:50], v[55:56], v[69:70]
	v_fma_f64 v[87:88], v[51:52], v[55:56], -v[87:88]
	v_fma_f64 v[89:90], v[53:54], v[55:56], v[57:58]
	ds_read_b128 v[67:70], v174 offset:256
	ds_read_b128 v[63:66], v174 offset:272
	;; [unrolled: 1-line block ×4, first 2 shown]
	ds_write_b128 v176, v[71:74]
	ds_write_b128 v176, v[75:78] offset:1072
	ds_write_b128 v176, v[79:82] offset:2144
	;; [unrolled: 1-line block ×3, first 2 shown]
	s_waitcnt lgkmcnt(0)
	s_barrier
	buffer_gl0_inv
	ds_read_b128 v[147:150], v177
	ds_read_b128 v[143:146], v177 offset:16
	ds_read_b128 v[139:142], v177 offset:32
	;; [unrolled: 1-line block ×3, first 2 shown]
	v_add_co_u32 v87, s2, v217, v169
	v_add_co_ci_u32_e64 v88, null, 0, v218, s2
	s_waitcnt lgkmcnt(0)
	s_barrier
	buffer_gl0_inv
	s_cbranch_vccnz .LBB190_134
; %bb.127:                              ;   in Loop: Header=BB190_102 Depth=1
	v_mov_b32_e32 v71, 0
	v_mov_b32_e32 v75, 0
	;; [unrolled: 1-line block ×6, first 2 shown]
	s_mov_b32 s2, exec_lo
	v_cmpx_gt_i32_e64 s13, v187
	s_cbranch_execz .LBB190_129
; %bb.128:                              ;   in Loop: Header=BB190_102 Depth=1
	flat_load_dwordx4 v[75:78], v[87:88]
.LBB190_129:                            ;   in Loop: Header=BB190_102 Depth=1
	s_or_b32 exec_lo, exec_lo, s2
	v_mov_b32_e32 v73, 0
	v_mov_b32_e32 v74, 0
	s_mov_b32 s2, exec_lo
	v_cmpx_gt_i32_e64 s13, v188
	s_cbranch_execz .LBB190_131
; %bb.130:                              ;   in Loop: Header=BB190_102 Depth=1
	v_add_co_u32 v71, vcc_lo, v221, v169
	v_add_co_ci_u32_e64 v72, null, 0, v222, vcc_lo
	flat_load_dwordx4 v[71:74], v[71:72]
.LBB190_131:                            ;   in Loop: Header=BB190_102 Depth=1
	s_or_b32 exec_lo, exec_lo, s2
	v_mov_b32_e32 v79, 0
	v_mov_b32_e32 v81, 0
	;; [unrolled: 1-line block ×4, first 2 shown]
	s_mov_b32 s2, exec_lo
	v_cmpx_gt_i32_e64 s13, v189
	s_cbranch_execz .LBB190_133
; %bb.132:                              ;   in Loop: Header=BB190_102 Depth=1
	v_add_co_u32 v79, vcc_lo, v225, v169
	v_add_co_ci_u32_e64 v80, null, 0, v226, vcc_lo
	flat_load_dwordx4 v[79:82], v[79:80]
.LBB190_133:                            ;   in Loop: Header=BB190_102 Depth=1
	s_or_b32 exec_lo, exec_lo, s2
	v_cmp_gt_i32_e64 s2, s13, v190
	s_branch .LBB190_136
.LBB190_134:                            ;   in Loop: Header=BB190_102 Depth=1
	s_mov_b32 s2, 0
                                        ; implicit-def: $vgpr81_vgpr82
                                        ; implicit-def: $vgpr73_vgpr74
                                        ; implicit-def: $vgpr77_vgpr78
	s_cbranch_execz .LBB190_136
; %bb.135:                              ;   in Loop: Header=BB190_102 Depth=1
	s_waitcnt vmcnt(0) lgkmcnt(0)
	v_add_co_u32 v71, vcc_lo, v221, v169
	v_add_co_ci_u32_e64 v72, null, 0, v222, vcc_lo
	v_add_co_u32 v79, vcc_lo, v225, v169
	v_add_co_ci_u32_e64 v80, null, 0, v226, vcc_lo
	flat_load_dwordx4 v[75:78], v[87:88]
	flat_load_dwordx4 v[71:74], v[71:72]
	;; [unrolled: 1-line block ×3, first 2 shown]
	s_or_b32 s2, s2, exec_lo
.LBB190_136:                            ;   in Loop: Header=BB190_102 Depth=1
	v_mov_b32_e32 v87, 0
	v_mov_b32_e32 v89, 0
	;; [unrolled: 1-line block ×4, first 2 shown]
	s_and_saveexec_b32 s15, s2
	s_cbranch_execz .LBB190_138
; %bb.137:                              ;   in Loop: Header=BB190_102 Depth=1
	v_add_co_u32 v87, vcc_lo, v213, v169
	v_add_co_ci_u32_e64 v88, null, 0, v214, vcc_lo
	flat_load_dwordx4 v[87:90], v[87:88]
.LBB190_138:                            ;   in Loop: Header=BB190_102 Depth=1
	s_or_b32 exec_lo, exec_lo, s15
	ds_read_b128 v[103:106], v175
	v_cmp_ne_u32_e32 vcc_lo, 1, v119
	s_and_b32 vcc_lo, exec_lo, vcc_lo
	s_waitcnt vmcnt(0) lgkmcnt(0)
	v_mul_f64 v[107:108], v[77:78], v[105:106]
	v_mul_f64 v[109:110], v[75:76], v[105:106]
	;; [unrolled: 1-line block ×8, first 2 shown]
	v_fma_f64 v[120:121], v[75:76], v[103:104], -v[107:108]
	v_fma_f64 v[122:123], v[77:78], v[103:104], v[109:110]
	v_fma_f64 v[124:125], v[71:72], v[103:104], -v[111:112]
	v_fma_f64 v[126:127], v[73:74], v[103:104], v[113:114]
	;; [unrolled: 2-line block ×4, first 2 shown]
	ds_read_b128 v[115:118], v174 offset:512
	ds_read_b128 v[111:114], v174 offset:528
	;; [unrolled: 1-line block ×4, first 2 shown]
	ds_write_b128 v176, v[120:123]
	ds_write_b128 v176, v[124:127] offset:1072
	ds_write_b128 v176, v[128:131] offset:2144
	;; [unrolled: 1-line block ×3, first 2 shown]
	s_waitcnt lgkmcnt(0)
	s_barrier
	buffer_gl0_inv
	ds_read_b128 v[163:166], v177
	ds_read_b128 v[159:162], v177 offset:16
	ds_read_b128 v[155:158], v177 offset:32
	;; [unrolled: 1-line block ×3, first 2 shown]
	v_add_co_u32 v131, s2, v201, v169
	v_add_co_ci_u32_e64 v132, null, 0, v202, s2
	s_waitcnt lgkmcnt(0)
	s_barrier
	buffer_gl0_inv
	s_cbranch_vccnz .LBB190_146
; %bb.139:                              ;   in Loop: Header=BB190_102 Depth=1
	v_mov_b32_e32 v119, 0
	v_mov_b32_e32 v123, 0
	;; [unrolled: 1-line block ×6, first 2 shown]
	s_mov_b32 s2, exec_lo
	v_cmpx_gt_i32_e64 s13, v191
	s_cbranch_execz .LBB190_141
; %bb.140:                              ;   in Loop: Header=BB190_102 Depth=1
	flat_load_dwordx4 v[123:126], v[131:132]
.LBB190_141:                            ;   in Loop: Header=BB190_102 Depth=1
	s_or_b32 exec_lo, exec_lo, s2
	v_mov_b32_e32 v121, 0
	v_mov_b32_e32 v122, 0
	s_mov_b32 s2, exec_lo
	v_cmpx_gt_i32_e64 s13, v192
	s_cbranch_execz .LBB190_143
; %bb.142:                              ;   in Loop: Header=BB190_102 Depth=1
	v_add_co_u32 v119, vcc_lo, v205, v169
	v_add_co_ci_u32_e64 v120, null, 0, v206, vcc_lo
	flat_load_dwordx4 v[119:122], v[119:120]
.LBB190_143:                            ;   in Loop: Header=BB190_102 Depth=1
	s_or_b32 exec_lo, exec_lo, s2
	v_mov_b32_e32 v127, 0
	v_mov_b32_e32 v129, 0
	;; [unrolled: 1-line block ×4, first 2 shown]
	s_mov_b32 s2, exec_lo
	v_cmpx_gt_i32_e64 s13, v193
	s_cbranch_execz .LBB190_145
; %bb.144:                              ;   in Loop: Header=BB190_102 Depth=1
	v_add_co_u32 v127, vcc_lo, v211, v169
	v_add_co_ci_u32_e64 v128, null, 0, v212, vcc_lo
	flat_load_dwordx4 v[127:130], v[127:128]
.LBB190_145:                            ;   in Loop: Header=BB190_102 Depth=1
	s_or_b32 exec_lo, exec_lo, s2
	v_cmp_gt_i32_e64 s2, s13, v194
	s_branch .LBB190_148
.LBB190_146:                            ;   in Loop: Header=BB190_102 Depth=1
	s_mov_b32 s2, 0
                                        ; implicit-def: $vgpr129_vgpr130
                                        ; implicit-def: $vgpr121_vgpr122
                                        ; implicit-def: $vgpr125_vgpr126
	s_cbranch_execz .LBB190_148
; %bb.147:                              ;   in Loop: Header=BB190_102 Depth=1
	s_waitcnt vmcnt(0) lgkmcnt(0)
	v_add_co_u32 v119, vcc_lo, v205, v169
	v_add_co_ci_u32_e64 v120, null, 0, v206, vcc_lo
	v_add_co_u32 v127, vcc_lo, v211, v169
	v_add_co_ci_u32_e64 v128, null, 0, v212, vcc_lo
	flat_load_dwordx4 v[123:126], v[131:132]
	flat_load_dwordx4 v[119:122], v[119:120]
	;; [unrolled: 1-line block ×3, first 2 shown]
	s_or_b32 s2, s2, exec_lo
.LBB190_148:                            ;   in Loop: Header=BB190_102 Depth=1
	v_mov_b32_e32 v131, 0
	v_mov_b32_e32 v133, 0
	;; [unrolled: 1-line block ×4, first 2 shown]
	s_and_saveexec_b32 s15, s2
	s_cbranch_execz .LBB190_150
; %bb.149:                              ;   in Loop: Header=BB190_102 Depth=1
	v_add_co_u32 v131, vcc_lo, v197, v169
	v_add_co_ci_u32_e64 v132, null, 0, v198, vcc_lo
	flat_load_dwordx4 v[131:134], v[131:132]
.LBB190_150:                            ;   in Loop: Header=BB190_102 Depth=1
	s_or_b32 exec_lo, exec_lo, s15
	ds_read_b128 v[228:231], v175
	v_add_f64 v[163:164], v[163:164], 0
	v_add_f64 v[165:166], v[165:166], 0
	;; [unrolled: 1-line block ×6, first 2 shown]
	v_cmp_gt_i32_e32 vcc_lo, s13, v0
	s_or_b32 s2, s14, vcc_lo
	s_and_b32 s13, s1, s2
	s_waitcnt vmcnt(0) lgkmcnt(0)
	v_mul_f64 v[232:233], v[125:126], v[230:231]
	v_mul_f64 v[234:235], v[123:124], v[230:231]
	v_mul_f64 v[236:237], v[121:122], v[230:231]
	v_mul_f64 v[238:239], v[119:120], v[230:231]
	v_mul_f64 v[240:241], v[129:130], v[230:231]
	v_mul_f64 v[242:243], v[127:128], v[230:231]
	v_mul_f64 v[244:245], v[133:134], v[230:231]
	v_mul_f64 v[230:231], v[131:132], v[230:231]
	v_add_f64 v[159:160], v[163:164], v[159:160]
	v_add_f64 v[161:162], v[165:166], v[161:162]
	;; [unrolled: 1-line block ×6, first 2 shown]
	v_fma_f64 v[232:233], v[123:124], v[228:229], -v[232:233]
	v_fma_f64 v[234:235], v[125:126], v[228:229], v[234:235]
	v_fma_f64 v[236:237], v[119:120], v[228:229], -v[236:237]
	v_fma_f64 v[238:239], v[121:122], v[228:229], v[238:239]
	;; [unrolled: 2-line block ×4, first 2 shown]
	v_add_f64 v[147:148], v[159:160], v[155:156]
	v_add_f64 v[149:150], v[161:162], v[157:158]
	;; [unrolled: 1-line block ×6, first 2 shown]
	ds_write_b128 v176, v[232:235]
	ds_write_b128 v176, v[236:239] offset:1072
	ds_write_b128 v176, v[240:243] offset:2144
	ds_read_b128 v[139:142], v174 offset:768
	ds_read_b128 v[99:102], v174 offset:784
	ds_write_b128 v176, v[244:247] offset:3216
	v_add_f64 v[143:144], v[147:148], v[151:152]
	v_add_f64 v[145:146], v[149:150], v[153:154]
	ds_read_b128 v[95:98], v174 offset:800
	ds_read_b128 v[91:94], v174 offset:816
	s_waitcnt lgkmcnt(0)
	s_barrier
	buffer_gl0_inv
	ds_read_b128 v[147:150], v177
	ds_read_b128 v[151:154], v177 offset:16
	v_add_f64 v[135:136], v[155:156], v[135:136]
	v_add_f64 v[137:138], v[157:158], v[137:138]
	;; [unrolled: 1-line block ×4, first 2 shown]
	s_waitcnt lgkmcnt(1)
	v_add_f64 v[147:148], v[147:148], 0
	v_add_f64 v[149:150], v[149:150], 0
	s_waitcnt lgkmcnt(0)
	v_add_f64 v[155:156], v[147:148], v[151:152]
	v_add_f64 v[157:158], v[149:150], v[153:154]
	ds_read_b128 v[147:150], v177 offset:32
	ds_read_b128 v[151:154], v177 offset:48
	s_waitcnt lgkmcnt(0)
	s_barrier
	buffer_gl0_inv
	v_add_f64 v[147:148], v[155:156], v[147:148]
	v_add_f64 v[149:150], v[157:158], v[149:150]
	;; [unrolled: 1-line block ×4, first 2 shown]
	ds_write_b128 v227, v[83:86]
	ds_write_b128 v227, v[135:138] offset:256
	ds_write_b128 v227, v[143:146] offset:512
	;; [unrolled: 1-line block ×3, first 2 shown]
	s_waitcnt lgkmcnt(0)
	s_barrier
	buffer_gl0_inv
	s_and_saveexec_b32 s2, s13
	s_cbranch_execz .LBB190_152
; %bb.151:                              ;   in Loop: Header=BB190_102 Depth=1
	ds_read_b128 v[83:86], v178
	ds_read_b128 v[135:138], v178 offset:16
	s_waitcnt lgkmcnt(0)
	v_add_f64 v[143:144], v[135:136], v[83:84]
	v_add_f64 v[145:146], v[137:138], v[85:86]
	ds_read_b128 v[83:86], v178 offset:32
	ds_read_b128 v[135:138], v178 offset:48
	s_waitcnt lgkmcnt(1)
	v_add_f64 v[83:84], v[143:144], v[83:84]
	v_add_f64 v[85:86], v[145:146], v[85:86]
	s_waitcnt lgkmcnt(0)
	v_add_f64 v[143:144], v[83:84], v[135:136]
	v_add_f64 v[145:146], v[85:86], v[137:138]
	ds_read_b128 v[83:86], v178 offset:64
	ds_read_b128 v[135:138], v178 offset:80
	s_waitcnt lgkmcnt(1)
	v_add_f64 v[83:84], v[143:144], v[83:84]
	v_add_f64 v[85:86], v[145:146], v[85:86]
	s_waitcnt lgkmcnt(0)
	v_add_f64 v[143:144], v[83:84], v[135:136]
	v_add_f64 v[145:146], v[85:86], v[137:138]
	ds_read_b128 v[83:86], v178 offset:96
	ds_read_b128 v[135:138], v178 offset:112
	s_waitcnt lgkmcnt(1)
	v_add_f64 v[83:84], v[143:144], v[83:84]
	v_add_f64 v[85:86], v[145:146], v[85:86]
	s_waitcnt lgkmcnt(0)
	v_add_f64 v[143:144], v[83:84], v[135:136]
	v_add_f64 v[145:146], v[85:86], v[137:138]
	ds_read_b128 v[83:86], v178 offset:128
	ds_read_b128 v[135:138], v178 offset:144
	s_waitcnt lgkmcnt(1)
	v_add_f64 v[83:84], v[143:144], v[83:84]
	v_add_f64 v[85:86], v[145:146], v[85:86]
	s_waitcnt lgkmcnt(0)
	v_add_f64 v[143:144], v[83:84], v[135:136]
	v_add_f64 v[145:146], v[85:86], v[137:138]
	ds_read_b128 v[83:86], v178 offset:160
	ds_read_b128 v[135:138], v178 offset:176
	s_waitcnt lgkmcnt(1)
	v_add_f64 v[83:84], v[143:144], v[83:84]
	v_add_f64 v[85:86], v[145:146], v[85:86]
	s_waitcnt lgkmcnt(0)
	v_add_f64 v[143:144], v[83:84], v[135:136]
	v_add_f64 v[145:146], v[85:86], v[137:138]
	ds_read_b128 v[83:86], v178 offset:192
	ds_read_b128 v[135:138], v178 offset:208
	s_waitcnt lgkmcnt(1)
	v_add_f64 v[83:84], v[143:144], v[83:84]
	v_add_f64 v[85:86], v[145:146], v[85:86]
	s_waitcnt lgkmcnt(0)
	v_add_f64 v[143:144], v[83:84], v[135:136]
	v_add_f64 v[145:146], v[85:86], v[137:138]
	ds_read_b128 v[83:86], v178 offset:224
	ds_read_b128 v[135:138], v179
	s_waitcnt lgkmcnt(1)
	v_add_f64 v[83:84], v[143:144], v[83:84]
	v_add_f64 v[85:86], v[145:146], v[85:86]
	v_add_nc_u32_e32 v143, s9, v0
	v_ashrrev_i32_e32 v144, 31, v143
	s_waitcnt lgkmcnt(0)
	v_add_f64 v[83:84], v[83:84], v[135:136]
	v_add_f64 v[85:86], v[85:86], v[137:138]
	v_lshlrev_b64 v[135:136], 4, v[143:144]
	v_add_co_u32 v135, vcc_lo, s3, v135
	v_add_co_ci_u32_e64 v136, null, s7, v136, vcc_lo
	global_store_dwordx4 v[135:136], v[83:86], off
.LBB190_152:                            ;   in Loop: Header=BB190_102 Depth=1
	s_or_b32 exec_lo, exec_lo, s2
	v_mul_f64 v[83:84], v[13:14], v[37:38]
	v_mul_f64 v[37:38], v[11:12], v[37:38]
	;; [unrolled: 1-line block ×4, first 2 shown]
	v_add_co_u32 v195, vcc_lo, v195, s4
	v_add_co_ci_u32_e64 v196, null, s5, v196, vcc_lo
	v_add_co_u32 v197, vcc_lo, v197, s4
	v_add_co_ci_u32_e64 v198, null, s5, v198, vcc_lo
	;; [unrolled: 2-line block ×4, first 2 shown]
	v_add_co_u32 v203, vcc_lo, v203, s4
	v_fma_f64 v[11:12], v[11:12], v[35:36], -v[83:84]
	v_fma_f64 v[13:14], v[13:14], v[35:36], v[37:38]
	v_mul_f64 v[35:36], v[17:18], v[29:30]
	v_mul_f64 v[29:30], v[15:16], v[29:30]
	v_fma_f64 v[7:8], v[7:8], v[31:32], -v[85:86]
	v_fma_f64 v[9:10], v[9:10], v[31:32], v[33:34]
	v_add_co_ci_u32_e64 v204, null, s5, v204, vcc_lo
	v_add_co_u32 v205, vcc_lo, v205, s4
	v_add_co_ci_u32_e64 v206, null, s5, v206, vcc_lo
	v_add_co_u32 v207, vcc_lo, v207, s4
	;; [unrolled: 2-line block ×4, first 2 shown]
	v_add_f64 v[2:3], v[2:3], v[11:12]
	v_add_f64 v[4:5], v[4:5], v[13:14]
	v_mul_f64 v[11:12], v[21:22], v[25:26]
	v_mul_f64 v[13:14], v[19:20], v[25:26]
	v_fma_f64 v[15:16], v[15:16], v[27:28], -v[35:36]
	v_fma_f64 v[17:18], v[17:18], v[27:28], v[29:30]
	v_add_co_ci_u32_e64 v212, null, s5, v212, vcc_lo
	v_add_co_u32 v213, vcc_lo, v213, s4
	v_add_co_ci_u32_e64 v214, null, s5, v214, vcc_lo
	v_add_co_u32 v215, vcc_lo, v215, s4
	;; [unrolled: 2-line block ×4, first 2 shown]
	v_add_f64 v[2:3], v[2:3], v[7:8]
	v_add_f64 v[4:5], v[4:5], v[9:10]
	v_mul_f64 v[7:8], v[45:46], v[69:70]
	v_mul_f64 v[9:10], v[43:44], v[69:70]
	v_fma_f64 v[11:12], v[19:20], v[23:24], -v[11:12]
	v_fma_f64 v[13:14], v[21:22], v[23:24], v[13:14]
	v_add_co_ci_u32_e64 v220, null, s5, v220, vcc_lo
	v_add_co_u32 v221, vcc_lo, v221, s4
	v_add_co_ci_u32_e64 v222, null, s5, v222, vcc_lo
	v_add_co_u32 v223, vcc_lo, v223, s4
	;; [unrolled: 2-line block ×3, first 2 shown]
	v_add_co_ci_u32_e64 v226, null, s5, v226, vcc_lo
	s_add_i32 s2, s6, 1
	s_add_i32 s6, s6, 2
	v_add_f64 v[2:3], v[2:3], v[15:16]
	v_add_f64 v[4:5], v[4:5], v[17:18]
	v_mul_f64 v[15:16], v[41:42], v[65:66]
	v_mul_f64 v[17:18], v[39:40], v[65:66]
	v_fma_f64 v[7:8], v[43:44], v[67:68], -v[7:8]
	v_fma_f64 v[9:10], v[45:46], v[67:68], v[9:10]
	s_add_i32 s9, s9, 64
	s_cmp_ge_u32 s6, s19
	s_waitcnt_vscnt null, 0x0
	s_barrier
	buffer_gl0_inv
	v_add_f64 v[2:3], v[2:3], v[11:12]
	v_add_f64 v[4:5], v[4:5], v[13:14]
	v_mul_f64 v[11:12], v[49:50], v[61:62]
	v_mul_f64 v[13:14], v[47:48], v[61:62]
	v_fma_f64 v[15:16], v[39:40], v[63:64], -v[15:16]
	v_fma_f64 v[17:18], v[41:42], v[63:64], v[17:18]
	v_add_f64 v[2:3], v[2:3], v[7:8]
	v_add_f64 v[4:5], v[4:5], v[9:10]
	v_mul_f64 v[7:8], v[53:54], v[57:58]
	v_mul_f64 v[9:10], v[51:52], v[57:58]
	v_fma_f64 v[11:12], v[47:48], v[59:60], -v[11:12]
	v_fma_f64 v[13:14], v[49:50], v[59:60], v[13:14]
	;; [unrolled: 6-line block ×10, first 2 shown]
	v_add_f64 v[2:3], v[2:3], v[7:8]
	v_add_f64 v[4:5], v[4:5], v[9:10]
	v_fma_f64 v[7:8], v[131:132], v[91:92], -v[11:12]
	v_fma_f64 v[9:10], v[133:134], v[91:92], v[13:14]
	v_add_f64 v[2:3], v[2:3], v[15:16]
	v_add_f64 v[4:5], v[4:5], v[17:18]
	v_add_f64 v[2:3], v[2:3], v[7:8]
	v_add_f64 v[4:5], v[4:5], v[9:10]
	s_cbranch_scc0 .LBB190_97
.LBB190_153:
	v_cmp_gt_i32_e32 vcc_lo, s12, v0
	v_mad_u32_u24 v1, 0x430, v1, v169
	s_or_b32 s1, s23, vcc_lo
	ds_write_b128 v1, v[2:5]
	s_and_b32 s0, s0, s1
	s_waitcnt lgkmcnt(0)
	s_barrier
	buffer_gl0_inv
	s_and_saveexec_b32 s1, s0
	s_cbranch_execz .LBB190_155
; %bb.154:
	ds_read_b128 v[0:3], v169 offset:1072
	ds_read_b128 v[4:7], v169
	s_waitcnt lgkmcnt(0)
	v_add_f64 v[8:9], v[0:1], v[4:5]
	v_add_f64 v[10:11], v[2:3], v[6:7]
	ds_read_b128 v[0:3], v169 offset:2144
	ds_read_b128 v[4:7], v169 offset:3216
	s_waitcnt lgkmcnt(1)
	v_add_f64 v[0:1], v[8:9], v[0:1]
	v_add_f64 v[2:3], v[10:11], v[2:3]
	s_waitcnt lgkmcnt(0)
	v_add_f64 v[0:1], v[0:1], v[4:5]
	v_add_f64 v[2:3], v[2:3], v[6:7]
	v_lshlrev_b64 v[4:5], 4, v[167:168]
	v_add_co_u32 v4, vcc_lo, s3, v4
	v_add_co_ci_u32_e64 v5, null, s7, v5, vcc_lo
	global_store_dwordx4 v[4:5], v[0:3], off
.LBB190_155:
	s_endpgm
	.section	.rodata,"a",@progbits
	.p2align	6, 0x0
	.amdhsa_kernel _ZL26rocblas_hemvn_kernel_upperILb0ELi64ELi4ELi33ELi32ELi16El19rocblas_complex_numIdEPKPKS1_PS1_EviT6_lT7_lT5_lS8_lS9_lS7_lT8_i
		.amdhsa_group_segment_fixed_size 19200
		.amdhsa_private_segment_fixed_size 0
		.amdhsa_kernarg_size 392
		.amdhsa_user_sgpr_count 6
		.amdhsa_user_sgpr_private_segment_buffer 1
		.amdhsa_user_sgpr_dispatch_ptr 0
		.amdhsa_user_sgpr_queue_ptr 0
		.amdhsa_user_sgpr_kernarg_segment_ptr 1
		.amdhsa_user_sgpr_dispatch_id 0
		.amdhsa_user_sgpr_flat_scratch_init 0
		.amdhsa_user_sgpr_private_segment_size 0
		.amdhsa_wavefront_size32 1
		.amdhsa_uses_dynamic_stack 0
		.amdhsa_system_sgpr_private_segment_wavefront_offset 0
		.amdhsa_system_sgpr_workgroup_id_x 1
		.amdhsa_system_sgpr_workgroup_id_y 0
		.amdhsa_system_sgpr_workgroup_id_z 1
		.amdhsa_system_sgpr_workgroup_info 0
		.amdhsa_system_vgpr_workitem_id 1
		.amdhsa_next_free_vgpr 248
		.amdhsa_next_free_sgpr 30
		.amdhsa_reserve_vcc 1
		.amdhsa_reserve_flat_scratch 0
		.amdhsa_float_round_mode_32 0
		.amdhsa_float_round_mode_16_64 0
		.amdhsa_float_denorm_mode_32 3
		.amdhsa_float_denorm_mode_16_64 3
		.amdhsa_dx10_clamp 1
		.amdhsa_ieee_mode 1
		.amdhsa_fp16_overflow 0
		.amdhsa_workgroup_processor_mode 1
		.amdhsa_memory_ordered 1
		.amdhsa_forward_progress 1
		.amdhsa_shared_vgpr_count 0
		.amdhsa_exception_fp_ieee_invalid_op 0
		.amdhsa_exception_fp_denorm_src 0
		.amdhsa_exception_fp_ieee_div_zero 0
		.amdhsa_exception_fp_ieee_overflow 0
		.amdhsa_exception_fp_ieee_underflow 0
		.amdhsa_exception_fp_ieee_inexact 0
		.amdhsa_exception_int_div_zero 0
	.end_amdhsa_kernel
	.section	.text._ZL26rocblas_hemvn_kernel_upperILb0ELi64ELi4ELi33ELi32ELi16El19rocblas_complex_numIdEPKPKS1_PS1_EviT6_lT7_lT5_lS8_lS9_lS7_lT8_i,"axG",@progbits,_ZL26rocblas_hemvn_kernel_upperILb0ELi64ELi4ELi33ELi32ELi16El19rocblas_complex_numIdEPKPKS1_PS1_EviT6_lT7_lT5_lS8_lS9_lS7_lT8_i,comdat
.Lfunc_end190:
	.size	_ZL26rocblas_hemvn_kernel_upperILb0ELi64ELi4ELi33ELi32ELi16El19rocblas_complex_numIdEPKPKS1_PS1_EviT6_lT7_lT5_lS8_lS9_lS7_lT8_i, .Lfunc_end190-_ZL26rocblas_hemvn_kernel_upperILb0ELi64ELi4ELi33ELi32ELi16El19rocblas_complex_numIdEPKPKS1_PS1_EviT6_lT7_lT5_lS8_lS9_lS7_lT8_i
                                        ; -- End function
	.set _ZL26rocblas_hemvn_kernel_upperILb0ELi64ELi4ELi33ELi32ELi16El19rocblas_complex_numIdEPKPKS1_PS1_EviT6_lT7_lT5_lS8_lS9_lS7_lT8_i.num_vgpr, 248
	.set _ZL26rocblas_hemvn_kernel_upperILb0ELi64ELi4ELi33ELi32ELi16El19rocblas_complex_numIdEPKPKS1_PS1_EviT6_lT7_lT5_lS8_lS9_lS7_lT8_i.num_agpr, 0
	.set _ZL26rocblas_hemvn_kernel_upperILb0ELi64ELi4ELi33ELi32ELi16El19rocblas_complex_numIdEPKPKS1_PS1_EviT6_lT7_lT5_lS8_lS9_lS7_lT8_i.numbered_sgpr, 30
	.set _ZL26rocblas_hemvn_kernel_upperILb0ELi64ELi4ELi33ELi32ELi16El19rocblas_complex_numIdEPKPKS1_PS1_EviT6_lT7_lT5_lS8_lS9_lS7_lT8_i.num_named_barrier, 0
	.set _ZL26rocblas_hemvn_kernel_upperILb0ELi64ELi4ELi33ELi32ELi16El19rocblas_complex_numIdEPKPKS1_PS1_EviT6_lT7_lT5_lS8_lS9_lS7_lT8_i.private_seg_size, 0
	.set _ZL26rocblas_hemvn_kernel_upperILb0ELi64ELi4ELi33ELi32ELi16El19rocblas_complex_numIdEPKPKS1_PS1_EviT6_lT7_lT5_lS8_lS9_lS7_lT8_i.uses_vcc, 1
	.set _ZL26rocblas_hemvn_kernel_upperILb0ELi64ELi4ELi33ELi32ELi16El19rocblas_complex_numIdEPKPKS1_PS1_EviT6_lT7_lT5_lS8_lS9_lS7_lT8_i.uses_flat_scratch, 0
	.set _ZL26rocblas_hemvn_kernel_upperILb0ELi64ELi4ELi33ELi32ELi16El19rocblas_complex_numIdEPKPKS1_PS1_EviT6_lT7_lT5_lS8_lS9_lS7_lT8_i.has_dyn_sized_stack, 0
	.set _ZL26rocblas_hemvn_kernel_upperILb0ELi64ELi4ELi33ELi32ELi16El19rocblas_complex_numIdEPKPKS1_PS1_EviT6_lT7_lT5_lS8_lS9_lS7_lT8_i.has_recursion, 0
	.set _ZL26rocblas_hemvn_kernel_upperILb0ELi64ELi4ELi33ELi32ELi16El19rocblas_complex_numIdEPKPKS1_PS1_EviT6_lT7_lT5_lS8_lS9_lS7_lT8_i.has_indirect_call, 0
	.section	.AMDGPU.csdata,"",@progbits
; Kernel info:
; codeLenInByte = 11704
; TotalNumSgprs: 32
; NumVgprs: 248
; ScratchSize: 0
; MemoryBound: 1
; FloatMode: 240
; IeeeMode: 1
; LDSByteSize: 19200 bytes/workgroup (compile time only)
; SGPRBlocks: 0
; VGPRBlocks: 30
; NumSGPRsForWavesPerEU: 32
; NumVGPRsForWavesPerEU: 248
; Occupancy: 4
; WaveLimiterHint : 0
; COMPUTE_PGM_RSRC2:SCRATCH_EN: 0
; COMPUTE_PGM_RSRC2:USER_SGPR: 6
; COMPUTE_PGM_RSRC2:TRAP_HANDLER: 0
; COMPUTE_PGM_RSRC2:TGID_X_EN: 1
; COMPUTE_PGM_RSRC2:TGID_Y_EN: 0
; COMPUTE_PGM_RSRC2:TGID_Z_EN: 1
; COMPUTE_PGM_RSRC2:TIDIG_COMP_CNT: 1
	.section	.text._ZL26rocblas_hemvn_kernel_upperILb0ELi64ELi4ELi33ELi32ELi16Ei19rocblas_complex_numIdEPKPKS1_PS1_EviT6_lT7_lT5_lS8_lS9_lS7_lT8_i,"axG",@progbits,_ZL26rocblas_hemvn_kernel_upperILb0ELi64ELi4ELi33ELi32ELi16Ei19rocblas_complex_numIdEPKPKS1_PS1_EviT6_lT7_lT5_lS8_lS9_lS7_lT8_i,comdat
	.globl	_ZL26rocblas_hemvn_kernel_upperILb0ELi64ELi4ELi33ELi32ELi16Ei19rocblas_complex_numIdEPKPKS1_PS1_EviT6_lT7_lT5_lS8_lS9_lS7_lT8_i ; -- Begin function _ZL26rocblas_hemvn_kernel_upperILb0ELi64ELi4ELi33ELi32ELi16Ei19rocblas_complex_numIdEPKPKS1_PS1_EviT6_lT7_lT5_lS8_lS9_lS7_lT8_i
	.p2align	8
	.type	_ZL26rocblas_hemvn_kernel_upperILb0ELi64ELi4ELi33ELi32ELi16Ei19rocblas_complex_numIdEPKPKS1_PS1_EviT6_lT7_lT5_lS8_lS9_lS7_lT8_i,@function
_ZL26rocblas_hemvn_kernel_upperILb0ELi64ELi4ELi33ELi32ELi16Ei19rocblas_complex_numIdEPKPKS1_PS1_EviT6_lT7_lT5_lS8_lS9_lS7_lT8_i: ; @_ZL26rocblas_hemvn_kernel_upperILb0ELi64ELi4ELi33ELi32ELi16Ei19rocblas_complex_numIdEPKPKS1_PS1_EviT6_lT7_lT5_lS8_lS9_lS7_lT8_i
; %bb.0:
	s_load_dwordx2 s[0:1], s[4:5], 0x94
	s_add_u32 s8, s4, 0x88
	s_addc_u32 s9, s5, 0
	s_waitcnt lgkmcnt(0)
	s_lshr_b32 s2, s0, 16
	s_and_b32 s0, s0, 0xffff
	s_and_b32 s1, s1, 0xffff
	s_mul_i32 s0, s2, s0
	s_mul_i32 s0, s0, s1
	s_cmpk_lg_i32 s0, 0x100
	s_cbranch_scc1 .LBB191_155
; %bb.1:
	s_load_dwordx4 s[0:3], s[4:5], 0x8
	s_mov_b32 s12, s7
	s_waitcnt lgkmcnt(0)
	v_cmp_neq_f64_e64 s0, s[0:1], 0
	v_cmp_neq_f64_e64 s1, s[2:3], 0
	s_or_b32 s0, s0, s1
	s_and_b32 vcc_lo, exec_lo, s0
	s_mov_b32 s0, -1
	s_cbranch_vccnz .LBB191_3
; %bb.2:
	s_load_dwordx4 s[0:3], s[4:5], 0x60
	s_waitcnt lgkmcnt(0)
	v_cmp_eq_f64_e64 s0, s[0:1], 1.0
	v_cmp_eq_f64_e64 s1, s[2:3], 0
	s_and_b32 s0, s0, s1
	s_andn2_b32 vcc_lo, exec_lo, s0
	s_mov_b32 s0, 0
.LBB191_3:
	s_andn2_b32 vcc_lo, exec_lo, s0
	s_cbranch_vccnz .LBB191_155
; %bb.4:
	s_clause 0x1
	s_load_dwordx4 s[0:3], s[4:5], 0x20
	s_load_dwordx4 s[16:19], s[4:5], 0x40
	s_mov_b32 s13, 0
	s_load_dword s27, s[4:5], 0x50
	s_lshl_b64 s[10:11], s[12:13], 3
	s_waitcnt lgkmcnt(0)
	s_add_u32 s0, s0, s10
	s_addc_u32 s1, s1, s11
	s_add_u32 s10, s16, s10
	s_addc_u32 s11, s17, s11
	s_lshl_b64 s[14:15], s[18:19], 4
	s_load_dwordx2 s[10:11], s[10:11], 0x0
	s_load_dword s13, s[4:5], 0x0
	s_load_dword s24, s[8:9], 0x0
	s_load_dwordx2 s[8:9], s[0:1], 0x0
	s_waitcnt lgkmcnt(0)
	s_add_u32 s7, s10, s14
	s_addc_u32 s10, s11, s15
	s_lshl_b32 s16, s6, 6
	s_ashr_i32 s28, s13, 31
	v_add_nc_u32_e32 v167, s16, v0
	s_lshr_b32 s0, s28, 26
	s_add_i32 s1, s24, -1
	s_add_i32 s0, s13, s0
	v_mul_lo_u32 v2, s27, v167
	s_andn2_b32 s0, s0, 63
	s_sub_i32 s25, s13, s0
	v_cmp_eq_u32_e64 s0, 0, v1
	s_cmp_eq_u32 s6, s1
	v_ashrrev_i32_e32 v3, 31, v2
	v_lshlrev_b64 v[2:3], 4, v[2:3]
	v_add_co_u32 v38, vcc_lo, s7, v2
	v_add_co_ci_u32_e64 v39, null, s10, v3, vcc_lo
	s_mov_b32 s7, -1
	s_cselect_b32 s10, s25, 0
	s_and_saveexec_b32 s1, s0
	s_cbranch_execz .LBB191_9
; %bb.5:
	v_cmp_le_i32_e32 vcc_lo, s10, v0
	s_cmp_lg_u32 s10, 0
	v_lshl_add_u32 v2, v0, 4, 0x4700
	s_cselect_b32 s11, -1, 0
	s_and_b32 s11, s11, vcc_lo
	s_and_saveexec_b32 s14, s11
	s_xor_b32 s11, exec_lo, s14
	s_cbranch_execz .LBB191_7
; %bb.6:
	v_mov_b32_e32 v3, 0
	v_mov_b32_e32 v4, v3
	;; [unrolled: 1-line block ×4, first 2 shown]
	ds_write_b128 v2, v[3:6]
                                        ; implicit-def: $vgpr2
.LBB191_7:
	s_andn2_saveexec_b32 s11, s11
	s_cbranch_execz .LBB191_9
; %bb.8:
	flat_load_dwordx4 v[3:6], v[38:39]
	s_waitcnt vmcnt(0) lgkmcnt(0)
	ds_write2_b64 v2, v[3:4], v[5:6] offset1:1
.LBB191_9:
	s_or_b32 exec_lo, exec_lo, s1
	s_load_dword s14, s[4:5], 0x30
	v_lshl_add_u32 v44, v1, 6, v0
	v_and_b32_e32 v6, 31, v0
	s_lshl_b64 s[2:3], s[2:3], 4
	s_add_u32 s1, s8, s2
	v_lshrrev_b32_e32 v11, 5, v44
	s_addc_u32 s8, s9, s3
	s_ashr_i32 s17, s16, 31
	v_lshlrev_b32_e32 v12, 4, v6
	s_lshl_b64 s[2:3], s[16:17], 4
	s_add_u32 s9, s1, s2
	s_addc_u32 s8, s8, s3
	v_cmp_gt_i32_e64 s1, s10, v6
	s_waitcnt lgkmcnt(0)
	v_mad_u64_u32 v[2:3], null, s14, v11, v[6:7]
	s_mul_i32 s2, s14, s16
                                        ; implicit-def: $vgpr7_vgpr8
	s_ashr_i32 s3, s2, 31
	s_lshl_b64 s[2:3], s[2:3], 4
	s_cmp_eq_u32 s10, 0
	v_ashrrev_i32_e32 v3, 31, v2
	s_cselect_b32 s26, -1, 0
	s_cmp_lg_u32 s10, 0
	s_cselect_b32 s17, -1, 0
	v_lshlrev_b64 v[40:41], 4, v[2:3]
	v_add_co_u32 v2, vcc_lo, s9, v40
	v_add_co_ci_u32_e64 v3, null, s8, v41, vcc_lo
	s_and_b32 vcc_lo, exec_lo, s17
	v_add_co_u32 v2, s2, v2, s2
	v_add_co_ci_u32_e64 v3, null, s3, v3, s2
	s_cbranch_vccz .LBB191_27
; %bb.10:
	v_sub_co_u32 v4, vcc_lo, v2, v12
	s_ashr_i32 s11, s10, 31
	v_subrev_co_ci_u32_e64 v5, null, 0, v3, vcc_lo
	s_lshl_b64 s[2:3], s[10:11], 4
	v_mad_u32_u24 v8, 0x210, v11, v12
	v_add_co_u32 v4, vcc_lo, v4, s2
	v_add_co_ci_u32_e64 v5, null, s3, v5, vcc_lo
	s_mov_b32 s7, exec_lo
	v_add_co_u32 v4, vcc_lo, v4, -16
	v_add_co_ci_u32_e64 v5, null, -1, v5, vcc_lo
	v_cndmask_b32_e64 v4, v4, v2, s1
	v_cndmask_b32_e64 v5, v5, v3, s1
	v_cmpx_le_i32_e64 s10, v11
	s_xor_b32 s7, exec_lo, s7
	s_cbranch_execz .LBB191_12
; %bb.11:
	v_mov_b32_e32 v13, 0
	v_mov_b32_e32 v14, v13
	;; [unrolled: 1-line block ×4, first 2 shown]
	ds_write_b128 v8, v[13:16]
                                        ; implicit-def: $vgpr8
.LBB191_12:
	s_or_saveexec_b32 s7, s7
	v_mul_u32_u24_e32 v7, 0x210, v11
	s_xor_b32 exec_lo, exec_lo, s7
	s_cbranch_execz .LBB191_14
; %bb.13:
	flat_load_dwordx4 v[13:16], v[4:5]
	s_waitcnt vmcnt(0) lgkmcnt(0)
	ds_write2_b64 v8, v[13:14], v[15:16] offset1:1
.LBB191_14:
	s_or_b32 exec_lo, exec_lo, s7
	v_add_nc_u32_e32 v8, 8, v11
	v_cmp_le_i32_e32 vcc_lo, s10, v8
	v_add_nc_u32_e32 v8, v7, v12
	s_and_saveexec_b32 s7, vcc_lo
	s_xor_b32 s7, exec_lo, s7
	s_cbranch_execz .LBB191_16
; %bb.15:
	v_mov_b32_e32 v13, 0
	v_mov_b32_e32 v14, v13
	;; [unrolled: 1-line block ×4, first 2 shown]
	ds_write_b128 v8, v[13:16] offset:4224
.LBB191_16:
	s_andn2_saveexec_b32 s7, s7
	s_cbranch_execz .LBB191_18
; %bb.17:
	s_lshl_b32 s8, s14, 3
	s_ashr_i32 s9, s8, 31
	s_lshl_b64 s[8:9], s[8:9], 4
	v_add_co_u32 v9, vcc_lo, v4, s8
	v_add_co_ci_u32_e64 v10, null, s9, v5, vcc_lo
	flat_load_dwordx4 v[13:16], v[9:10]
	v_add3_u32 v9, v7, v12, 0x1080
	s_waitcnt vmcnt(0) lgkmcnt(0)
	ds_write2_b64 v9, v[13:14], v[15:16] offset1:1
.LBB191_18:
	s_or_b32 exec_lo, exec_lo, s7
	v_add_nc_u32_e32 v9, 16, v11
	s_mov_b32 s7, exec_lo
	v_cmpx_le_i32_e64 s10, v9
	s_xor_b32 s7, exec_lo, s7
	s_cbranch_execz .LBB191_20
; %bb.19:
	v_mov_b32_e32 v13, 0
	v_mov_b32_e32 v14, v13
	;; [unrolled: 1-line block ×4, first 2 shown]
	ds_write_b128 v8, v[13:16] offset:8448
.LBB191_20:
	s_andn2_saveexec_b32 s7, s7
	s_cbranch_execz .LBB191_22
; %bb.21:
	s_lshl_b32 s8, s14, 4
	s_ashr_i32 s9, s8, 31
	s_lshl_b64 s[8:9], s[8:9], 4
	v_add_co_u32 v9, vcc_lo, v4, s8
	v_add_co_ci_u32_e64 v10, null, s9, v5, vcc_lo
	flat_load_dwordx4 v[13:16], v[9:10]
	v_add3_u32 v9, v7, v12, 0x2100
	s_waitcnt vmcnt(0) lgkmcnt(0)
	ds_write2_b64 v9, v[13:14], v[15:16] offset1:1
.LBB191_22:
	s_or_b32 exec_lo, exec_lo, s7
	v_add_nc_u32_e32 v9, 24, v11
	s_mov_b32 s7, exec_lo
	v_cmpx_le_i32_e64 s10, v9
	s_xor_b32 s7, exec_lo, s7
	s_cbranch_execz .LBB191_24
; %bb.23:
	v_mov_b32_e32 v13, 0
                                        ; implicit-def: $vgpr7
	v_mov_b32_e32 v14, v13
	v_mov_b32_e32 v15, v13
	;; [unrolled: 1-line block ×3, first 2 shown]
	ds_write_b128 v8, v[13:16] offset:12672
.LBB191_24:
	s_andn2_saveexec_b32 s7, s7
	s_cbranch_execz .LBB191_26
; %bb.25:
	s_mul_i32 s8, s14, 24
	v_add3_u32 v7, v7, v12, 0x3180
	s_ashr_i32 s9, s8, 31
	s_lshl_b64 s[8:9], s[8:9], 4
	v_add_co_u32 v8, vcc_lo, v4, s8
	v_add_co_ci_u32_e64 v9, null, s9, v5, vcc_lo
	flat_load_dwordx4 v[13:16], v[8:9]
	s_waitcnt vmcnt(0) lgkmcnt(0)
	ds_write2_b64 v7, v[13:14], v[15:16] offset1:1
.LBB191_26:
	s_or_b32 exec_lo, exec_lo, s7
	v_add_co_u32 v4, vcc_lo, v4, v12
	v_add_co_ci_u32_e64 v5, null, 0, v5, vcc_lo
	s_mov_b32 s7, 0
	v_sub_co_u32 v4, vcc_lo, v4, s2
	v_subrev_co_ci_u32_e64 v5, null, s3, v5, vcc_lo
	v_add_co_u32 v4, vcc_lo, v4, 16
	v_add_co_ci_u32_e64 v5, null, 0, v5, vcc_lo
	v_cndmask_b32_e64 v7, v4, v2, s1
	v_cndmask_b32_e64 v8, v5, v3, s1
.LBB191_27:
	v_mul_u32_u24_e32 v13, 0x210, v11
	s_and_b32 vcc_lo, exec_lo, s7
	s_cbranch_vccz .LBB191_29
; %bb.28:
	flat_load_dwordx4 v[7:10], v[2:3]
	s_lshl_b32 s2, s14, 3
	v_lshl_add_u32 v18, v6, 4, v13
	s_ashr_i32 s3, s2, 31
	s_ashr_i32 s15, s14, 31
	s_lshl_b64 s[2:3], s[2:3], 4
	v_add_co_u32 v4, vcc_lo, v2, s2
	v_add_co_ci_u32_e64 v5, null, s3, v3, vcc_lo
	s_lshl_b64 s[2:3], s[14:15], 7
	v_add_nc_u32_e32 v14, 0x1080, v18
	s_waitcnt vmcnt(0) lgkmcnt(0)
	ds_write2_b64 v18, v[7:8], v[9:10] offset1:1
	flat_load_dwordx4 v[7:10], v[4:5]
	v_add_co_u32 v4, vcc_lo, v4, s2
	v_add_co_ci_u32_e64 v5, null, s3, v5, vcc_lo
	s_waitcnt vmcnt(0) lgkmcnt(0)
	ds_write2_b64 v14, v[7:8], v[9:10] offset1:1
	flat_load_dwordx4 v[7:10], v[4:5]
	v_add_co_u32 v4, vcc_lo, v4, s2
	v_add_nc_u32_e32 v14, 0x2100, v18
	v_add_co_ci_u32_e64 v5, null, s3, v5, vcc_lo
	s_waitcnt vmcnt(0) lgkmcnt(0)
	ds_write2_b64 v14, v[7:8], v[9:10] offset1:1
	flat_load_dwordx4 v[14:17], v[4:5]
	v_mov_b32_e32 v8, v3
	v_add_nc_u32_e32 v4, 0x3180, v18
	v_mov_b32_e32 v7, v2
	s_waitcnt vmcnt(0) lgkmcnt(0)
	ds_write2_b64 v4, v[14:15], v[16:17] offset1:1
.LBB191_29:
	v_lshlrev_b32_e32 v18, 2, v11
	v_lshl_or_b32 v2, v6, 9, v12
	v_mad_u32_u24 v14, 0x840, v11, v12
	s_waitcnt lgkmcnt(0)
	s_barrier
	v_cmp_gt_u32_e64 s2, v18, v6
	v_lshl_add_u32 v3, v18, 4, v2
	buffer_gl0_inv
	s_and_saveexec_b32 s1, s2
	s_cbranch_execz .LBB191_31
; %bb.30:
	ds_read_b128 v[19:22], v14
	s_waitcnt lgkmcnt(0)
	ds_write_b128 v3, v[19:22]
.LBB191_31:
	s_or_b32 exec_lo, exec_lo, s1
	v_or_b32_e32 v2, 1, v18
	v_cmp_ge_u32_e64 s3, v18, v6
	v_mad_u32_u24 v15, 0x210, v2, v12
	s_and_saveexec_b32 s1, s3
	s_cbranch_execz .LBB191_33
; %bb.32:
	ds_read_b128 v[19:22], v15
	s_waitcnt lgkmcnt(0)
	ds_write_b128 v3, v[19:22] offset:16
.LBB191_33:
	s_or_b32 exec_lo, exec_lo, s1
	v_or_b32_e32 v2, 2, v18
	v_cmp_gt_u32_e64 s7, v2, v6
	s_and_saveexec_b32 s1, s7
	s_cbranch_execz .LBB191_35
; %bb.34:
	v_mad_u32_u24 v2, 0x210, v2, v12
	ds_read_b128 v[19:22], v2
	s_waitcnt lgkmcnt(0)
	ds_write_b128 v3, v[19:22] offset:32
.LBB191_35:
	s_or_b32 exec_lo, exec_lo, s1
	v_or_b32_e32 v4, 3, v18
	s_mov_b32 s1, exec_lo
	v_cmp_gt_u32_e64 s8, v4, v6
	v_mul_u32_u24_e32 v2, 0x210, v4
	v_cmpx_le_u32_e64 v4, v6
	s_xor_b32 s1, exec_lo, s1
; %bb.36:
	v_mul_u32_u24_e32 v2, 0x210, v4
                                        ; implicit-def: $vgpr4
                                        ; implicit-def: $vgpr3
; %bb.37:
	s_andn2_saveexec_b32 s1, s1
	s_cbranch_execz .LBB191_39
; %bb.38:
	v_mad_u32_u24 v4, 0x210, v4, v12
	ds_read_b128 v[19:22], v4
	s_waitcnt lgkmcnt(0)
	ds_write_b128 v3, v[19:22] offset:48
.LBB191_39:
	s_or_b32 exec_lo, exec_lo, s1
	v_lshlrev_b32_e32 v19, 4, v18
	s_waitcnt lgkmcnt(0)
	s_barrier
	buffer_gl0_inv
	ds_read_b128 v[20:23], v14
	ds_read_b128 v[24:27], v19 offset:18176
	v_add_nc_u32_e32 v16, v12, v2
	ds_read_b128 v[2:5], v15 offset:528
	ds_read_b128 v[28:31], v19 offset:18192
	ds_read_b128 v[32:35], v15
	ds_read_b128 v[45:48], v16
	ds_read_b128 v[49:52], v19 offset:18208
	v_cmp_gt_u32_e64 s1, 32, v44
	s_waitcnt lgkmcnt(5)
	v_mul_f64 v[9:10], v[26:27], v[22:23]
	v_mul_f64 v[22:23], v[24:25], v[22:23]
	s_waitcnt lgkmcnt(2)
	v_mul_f64 v[36:37], v[30:31], v[34:35]
	v_mul_f64 v[34:35], v[28:29], v[34:35]
	v_fma_f64 v[9:10], v[24:25], v[20:21], -v[9:10]
	v_fma_f64 v[24:25], v[26:27], v[20:21], v[22:23]
	ds_read_b128 v[20:23], v19 offset:18224
	s_waitcnt lgkmcnt(1)
	v_mul_f64 v[26:27], v[51:52], v[4:5]
	v_mul_f64 v[4:5], v[49:50], v[4:5]
	v_fma_f64 v[28:29], v[28:29], v[32:33], -v[36:37]
	v_fma_f64 v[30:31], v[30:31], v[32:33], v[34:35]
	s_waitcnt lgkmcnt(0)
	s_barrier
	buffer_gl0_inv
	v_mul_f64 v[32:33], v[22:23], v[47:48]
	v_add_f64 v[9:10], v[9:10], 0
	v_add_f64 v[24:25], v[24:25], 0
	v_mul_f64 v[34:35], v[20:21], v[47:48]
	v_fma_f64 v[26:27], v[49:50], v[2:3], -v[26:27]
	v_fma_f64 v[2:3], v[51:52], v[2:3], v[4:5]
	v_fma_f64 v[20:21], v[20:21], v[45:46], -v[32:33]
	v_add_f64 v[4:5], v[9:10], v[28:29]
	v_add_f64 v[9:10], v[24:25], v[30:31]
	v_fma_f64 v[22:23], v[22:23], v[45:46], v[34:35]
	v_add_f64 v[4:5], v[4:5], v[26:27]
	v_add_f64 v[2:3], v[9:10], v[2:3]
	;; [unrolled: 1-line block ×4, first 2 shown]
	v_mul_u32_u24_e32 v2, 33, v6
	v_mov_b32_e32 v4, 0
	v_mov_b32_e32 v5, 0
	v_lshlrev_b32_e32 v45, 4, v2
	v_mov_b32_e32 v2, 0
	v_mov_b32_e32 v3, 0
	v_lshl_add_u32 v46, v11, 4, v45
	ds_write_b128 v46, v[20:23]
	s_waitcnt lgkmcnt(0)
	s_barrier
	buffer_gl0_inv
	s_and_saveexec_b32 s9, s1
	s_cbranch_execz .LBB191_41
; %bb.40:
	ds_read_b128 v[2:5], v45
	ds_read_b128 v[20:23], v45 offset:16
	s_waitcnt lgkmcnt(0)
	v_add_f64 v[9:10], v[20:21], v[2:3]
	v_add_f64 v[24:25], v[22:23], v[4:5]
	ds_read_b128 v[2:5], v45 offset:32
	ds_read_b128 v[20:23], v45 offset:48
	s_waitcnt lgkmcnt(1)
	v_add_f64 v[2:3], v[9:10], v[2:3]
	v_add_f64 v[4:5], v[24:25], v[4:5]
	s_waitcnt lgkmcnt(0)
	v_add_f64 v[9:10], v[2:3], v[20:21]
	v_add_f64 v[24:25], v[4:5], v[22:23]
	ds_read_b128 v[2:5], v45 offset:64
	ds_read_b128 v[20:23], v45 offset:80
	s_waitcnt lgkmcnt(1)
	v_add_f64 v[2:3], v[9:10], v[2:3]
	v_add_f64 v[4:5], v[24:25], v[4:5]
	;; [unrolled: 8-line block ×3, first 2 shown]
	s_waitcnt lgkmcnt(0)
	v_add_f64 v[2:3], v[2:3], v[20:21]
	v_add_f64 v[4:5], v[4:5], v[22:23]
.LBB191_41:
	s_or_b32 exec_lo, exec_lo, s9
	s_lshl_b32 s20, s14, 5
	v_mad_u32_u24 v17, 0x210, v11, v12
	s_ashr_i32 s21, s20, 31
	s_lshl_b64 s[18:19], s[20:21], 4
	s_barrier
	v_add_co_u32 v20, vcc_lo, v7, s18
	v_add_co_ci_u32_e64 v21, null, s19, v8, vcc_lo
	buffer_gl0_inv
	v_add_co_u32 v9, vcc_lo, 0x200, v20
	v_add_co_ci_u32_e64 v10, null, 0, v21, vcc_lo
	s_and_b32 vcc_lo, exec_lo, s17
	s_cbranch_vccz .LBB191_59
; %bb.42:
	v_sub_co_u32 v7, vcc_lo, v20, v12
	s_ashr_i32 s11, s10, 31
	v_subrev_co_ci_u32_e64 v8, null, 0, v21, vcc_lo
	s_lshl_b64 s[22:23], s[10:11], 4
	v_or_b32_e32 v22, 32, v6
	v_add_co_u32 v7, vcc_lo, v7, s22
	v_add_co_ci_u32_e64 v8, null, s23, v8, vcc_lo
	s_sub_i32 s11, s10, 32
	v_add_co_u32 v7, vcc_lo, v7, -16
	v_add_co_ci_u32_e64 v8, null, -1, v8, vcc_lo
	v_cmp_gt_i32_e32 vcc_lo, s10, v22
	v_cmp_le_i32_e64 s9, s11, v11
	v_cndmask_b32_e32 v8, v8, v10, vcc_lo
	v_cndmask_b32_e32 v7, v7, v9, vcc_lo
	s_and_saveexec_b32 s15, s9
	s_xor_b32 s9, exec_lo, s15
	s_cbranch_execz .LBB191_44
; %bb.43:
	v_mov_b32_e32 v22, 0
	v_mov_b32_e32 v23, v22
	v_mov_b32_e32 v24, v22
	v_mov_b32_e32 v25, v22
	ds_write_b128 v17, v[22:25]
.LBB191_44:
	s_andn2_saveexec_b32 s9, s9
	s_cbranch_execz .LBB191_46
; %bb.45:
	flat_load_dwordx4 v[22:25], v[7:8]
	s_waitcnt vmcnt(0) lgkmcnt(0)
	ds_write2_b64 v17, v[22:23], v[24:25] offset1:1
.LBB191_46:
	s_or_b32 exec_lo, exec_lo, s9
	v_add_nc_u32_e32 v22, 8, v11
	v_cmp_le_i32_e64 s9, s11, v22
	v_add_nc_u32_e32 v22, v13, v12
	s_and_saveexec_b32 s15, s9
	s_xor_b32 s9, exec_lo, s15
	s_cbranch_execz .LBB191_48
; %bb.47:
	v_mov_b32_e32 v23, 0
	v_mov_b32_e32 v24, v23
	;; [unrolled: 1-line block ×4, first 2 shown]
	ds_write_b128 v22, v[23:26] offset:4224
.LBB191_48:
	s_andn2_saveexec_b32 s15, s9
	s_cbranch_execz .LBB191_50
; %bb.49:
	s_lshl_b32 s30, s14, 3
	v_add3_u32 v27, v13, v12, 0x1080
	s_ashr_i32 s31, s30, 31
	s_lshl_b64 s[30:31], s[30:31], 4
	v_add_co_u32 v23, s9, v7, s30
	v_add_co_ci_u32_e64 v24, null, s31, v8, s9
	flat_load_dwordx4 v[23:26], v[23:24]
	s_waitcnt vmcnt(0) lgkmcnt(0)
	ds_write2_b64 v27, v[23:24], v[25:26] offset1:1
.LBB191_50:
	s_or_b32 exec_lo, exec_lo, s15
	v_add_nc_u32_e32 v23, 16, v11
	v_cmp_le_i32_e64 s9, s11, v23
	s_and_saveexec_b32 s15, s9
	s_xor_b32 s9, exec_lo, s15
	s_cbranch_execz .LBB191_52
; %bb.51:
	v_mov_b32_e32 v23, 0
	v_mov_b32_e32 v24, v23
	;; [unrolled: 1-line block ×4, first 2 shown]
	ds_write_b128 v22, v[23:26] offset:8448
.LBB191_52:
	s_andn2_saveexec_b32 s15, s9
	s_cbranch_execz .LBB191_54
; %bb.53:
	s_lshl_b32 s30, s14, 4
	v_add3_u32 v27, v13, v12, 0x2100
	s_ashr_i32 s31, s30, 31
	s_lshl_b64 s[30:31], s[30:31], 4
	v_add_co_u32 v23, s9, v7, s30
	v_add_co_ci_u32_e64 v24, null, s31, v8, s9
	flat_load_dwordx4 v[23:26], v[23:24]
	s_waitcnt vmcnt(0) lgkmcnt(0)
	ds_write2_b64 v27, v[23:24], v[25:26] offset1:1
.LBB191_54:
	s_or_b32 exec_lo, exec_lo, s15
	v_add_nc_u32_e32 v23, 24, v11
	v_cmp_le_i32_e64 s9, s11, v23
	s_and_saveexec_b32 s11, s9
	s_xor_b32 s9, exec_lo, s11
	s_cbranch_execz .LBB191_56
; %bb.55:
	v_mov_b32_e32 v23, 0
	v_mov_b32_e32 v24, v23
	;; [unrolled: 1-line block ×4, first 2 shown]
	ds_write_b128 v22, v[23:26] offset:12672
.LBB191_56:
	s_andn2_saveexec_b32 s11, s9
	s_cbranch_execz .LBB191_58
; %bb.57:
	s_mul_i32 s30, s14, 24
	v_add3_u32 v26, v13, v12, 0x3180
	s_ashr_i32 s31, s30, 31
	s_lshl_b64 s[30:31], s[30:31], 4
	v_add_co_u32 v22, s9, v7, s30
	v_add_co_ci_u32_e64 v23, null, s31, v8, s9
	flat_load_dwordx4 v[22:25], v[22:23]
	s_waitcnt vmcnt(0) lgkmcnt(0)
	ds_write2_b64 v26, v[22:23], v[24:25] offset1:1
.LBB191_58:
	s_or_b32 exec_lo, exec_lo, s11
	v_add_co_u32 v7, s9, v7, v12
	v_add_co_ci_u32_e64 v8, null, 0, v8, s9
	v_sub_co_u32 v7, s9, v7, s22
	v_subrev_co_ci_u32_e64 v8, null, s23, v8, s9
	v_add_co_u32 v7, s9, 0x210, v7
	v_add_co_ci_u32_e64 v8, null, 0, v8, s9
	v_cndmask_b32_e32 v7, v7, v9, vcc_lo
	v_cndmask_b32_e32 v8, v8, v10, vcc_lo
	s_branch .LBB191_61
.LBB191_59:
                                        ; implicit-def: $vgpr7_vgpr8
	s_cbranch_execz .LBB191_61
; %bb.60:
	flat_load_dwordx4 v[22:25], v[9:10]
	s_lshl_b32 s22, s14, 3
	s_ashr_i32 s15, s14, 31
	s_ashr_i32 s23, s22, 31
	s_lshl_b64 s[22:23], s[22:23], 4
	v_add_co_u32 v7, vcc_lo, v20, s22
	v_add_co_ci_u32_e64 v8, null, s23, v21, vcc_lo
	s_lshl_b64 s[22:23], s[14:15], 7
	s_waitcnt vmcnt(0) lgkmcnt(0)
	ds_write2_b64 v17, v[22:23], v[24:25] offset1:1
	flat_load_dwordx4 v[20:23], v[7:8] offset:512
	v_add_co_u32 v7, vcc_lo, v7, s22
	v_add_nc_u32_e32 v24, 0x1080, v17
	v_add_co_ci_u32_e64 v8, null, s23, v8, vcc_lo
	s_waitcnt vmcnt(0) lgkmcnt(0)
	ds_write2_b64 v24, v[20:21], v[22:23] offset1:1
	flat_load_dwordx4 v[20:23], v[7:8] offset:512
	v_add_co_u32 v7, vcc_lo, v7, s22
	v_add_nc_u32_e32 v24, 0x2100, v17
	v_add_co_ci_u32_e64 v8, null, s23, v8, vcc_lo
	s_waitcnt vmcnt(0) lgkmcnt(0)
	ds_write2_b64 v24, v[20:21], v[22:23] offset1:1
	flat_load_dwordx4 v[20:23], v[7:8] offset:512
	v_mov_b32_e32 v7, v9
	v_add_nc_u32_e32 v24, 0x3180, v17
	v_mov_b32_e32 v8, v10
	s_waitcnt vmcnt(0) lgkmcnt(0)
	ds_write2_b64 v24, v[20:21], v[22:23] offset1:1
.LBB191_61:
	v_lshl_add_u32 v9, v18, 4, v45
	s_waitcnt lgkmcnt(0)
	s_barrier
	buffer_gl0_inv
	s_and_saveexec_b32 s9, s2
	s_cbranch_execz .LBB191_65
; %bb.62:
	ds_read_b128 v[20:23], v14
	s_waitcnt lgkmcnt(0)
	ds_write_b128 v9, v[20:23]
	s_or_b32 exec_lo, exec_lo, s9
	s_and_saveexec_b32 s2, s3
	s_cbranch_execnz .LBB191_66
.LBB191_63:
	s_or_b32 exec_lo, exec_lo, s2
	v_add_nc_u32_e32 v18, 0x210, v15
	s_and_saveexec_b32 s2, s7
	s_cbranch_execz .LBB191_67
.LBB191_64:
	ds_read_b128 v[20:23], v18
	s_waitcnt lgkmcnt(0)
	ds_write_b128 v9, v[20:23] offset:32
	s_or_b32 exec_lo, exec_lo, s2
	v_add_nc_u32_e32 v19, 0x4700, v19
	s_and_saveexec_b32 s2, s8
	s_cbranch_execnz .LBB191_68
	s_branch .LBB191_69
.LBB191_65:
	s_or_b32 exec_lo, exec_lo, s9
	s_and_saveexec_b32 s2, s3
	s_cbranch_execz .LBB191_63
.LBB191_66:
	ds_read_b128 v[20:23], v15
	s_waitcnt lgkmcnt(0)
	ds_write_b128 v9, v[20:23] offset:16
	s_or_b32 exec_lo, exec_lo, s2
	v_add_nc_u32_e32 v18, 0x210, v15
	s_and_saveexec_b32 s2, s7
	s_cbranch_execnz .LBB191_64
.LBB191_67:
	s_or_b32 exec_lo, exec_lo, s2
	v_add_nc_u32_e32 v19, 0x4700, v19
	s_and_saveexec_b32 s2, s8
	s_cbranch_execz .LBB191_69
.LBB191_68:
	ds_read_b128 v[20:23], v16
	s_waitcnt lgkmcnt(0)
	ds_write_b128 v9, v[20:23] offset:48
.LBB191_69:
	s_or_b32 exec_lo, exec_lo, s2
	s_waitcnt lgkmcnt(0)
	s_barrier
	buffer_gl0_inv
	ds_read_b128 v[20:23], v14
	ds_read_b128 v[24:27], v19 offset:512
	ds_read_b128 v[28:31], v19 offset:528
	ds_read_b128 v[32:35], v15
	ds_read_b128 v[47:50], v19 offset:544
	ds_read_b128 v[51:54], v18
	v_cmp_eq_u32_e64 s2, 1, v11
	s_waitcnt lgkmcnt(4)
	v_mul_f64 v[9:10], v[26:27], v[22:23]
	v_mul_f64 v[22:23], v[24:25], v[22:23]
	s_waitcnt lgkmcnt(2)
	v_mul_f64 v[36:37], v[30:31], v[34:35]
	v_mul_f64 v[34:35], v[28:29], v[34:35]
	;; [unrolled: 3-line block ×3, first 2 shown]
	v_fma_f64 v[9:10], v[24:25], v[20:21], -v[9:10]
	v_fma_f64 v[42:43], v[26:27], v[20:21], v[22:23]
	v_fma_f64 v[28:29], v[28:29], v[32:33], -v[36:37]
	v_fma_f64 v[30:31], v[30:31], v[32:33], v[34:35]
	ds_read_b128 v[20:23], v19 offset:560
	ds_read_b128 v[24:27], v16
	v_fma_f64 v[36:37], v[47:48], v[51:52], -v[55:56]
	s_waitcnt lgkmcnt(0)
	s_barrier
	buffer_gl0_inv
	v_add_f64 v[9:10], v[9:10], 0
	v_add_f64 v[32:33], v[42:43], 0
	v_mul_f64 v[34:35], v[22:23], v[26:27]
	v_mul_f64 v[26:27], v[20:21], v[26:27]
	v_fma_f64 v[42:43], v[49:50], v[51:52], v[53:54]
	v_add_f64 v[9:10], v[9:10], v[28:29]
	v_add_f64 v[28:29], v[32:33], v[30:31]
	v_fma_f64 v[20:21], v[20:21], v[24:25], -v[34:35]
	v_fma_f64 v[22:23], v[22:23], v[24:25], v[26:27]
	v_add_f64 v[9:10], v[9:10], v[36:37]
	v_add_f64 v[24:25], v[28:29], v[42:43]
	v_add_f64 v[20:21], v[9:10], v[20:21]
	v_add_f64 v[22:23], v[24:25], v[22:23]
	ds_write_b128 v46, v[20:23]
	s_waitcnt lgkmcnt(0)
	s_barrier
	buffer_gl0_inv
	s_and_saveexec_b32 s3, s2
	s_cbranch_execz .LBB191_71
; %bb.70:
	ds_read_b128 v[2:5], v45
	ds_read_b128 v[20:23], v45 offset:16
	s_waitcnt lgkmcnt(0)
	v_add_f64 v[9:10], v[20:21], v[2:3]
	v_add_f64 v[24:25], v[22:23], v[4:5]
	ds_read_b128 v[2:5], v45 offset:32
	ds_read_b128 v[20:23], v45 offset:48
	s_waitcnt lgkmcnt(1)
	v_add_f64 v[2:3], v[9:10], v[2:3]
	v_add_f64 v[4:5], v[24:25], v[4:5]
	s_waitcnt lgkmcnt(0)
	v_add_f64 v[9:10], v[2:3], v[20:21]
	v_add_f64 v[24:25], v[4:5], v[22:23]
	ds_read_b128 v[2:5], v45 offset:64
	ds_read_b128 v[20:23], v45 offset:80
	s_waitcnt lgkmcnt(1)
	v_add_f64 v[2:3], v[9:10], v[2:3]
	v_add_f64 v[4:5], v[24:25], v[4:5]
	;; [unrolled: 8-line block ×3, first 2 shown]
	s_waitcnt lgkmcnt(0)
	v_add_f64 v[2:3], v[2:3], v[20:21]
	v_add_f64 v[4:5], v[4:5], v[22:23]
.LBB191_71:
	s_or_b32 exec_lo, exec_lo, s3
	v_add_co_u32 v7, vcc_lo, 0xfffffe00, v7
	v_add_co_ci_u32_e64 v8, null, -1, v8, vcc_lo
	s_and_b32 vcc_lo, exec_lo, s17
	s_barrier
	buffer_gl0_inv
	s_cbranch_vccz .LBB191_89
; %bb.72:
	v_sub_co_u32 v9, vcc_lo, v7, v12
	s_ashr_i32 s11, s10, 31
	v_subrev_co_ci_u32_e64 v10, null, 0, v8, vcc_lo
	s_lshl_b64 s[8:9], s[10:11], 4
	s_sub_i32 s7, s10, 32
	v_add_co_u32 v9, vcc_lo, v9, s8
	v_add_co_ci_u32_e64 v10, null, s9, v10, vcc_lo
	v_cmp_le_i32_e64 s3, s7, v11
	v_add_co_u32 v9, vcc_lo, v9, -16
	v_add_co_ci_u32_e64 v10, null, -1, v10, vcc_lo
	v_cmp_gt_i32_e32 vcc_lo, s10, v6
	v_cndmask_b32_e32 v10, v10, v8, vcc_lo
	v_cndmask_b32_e32 v9, v9, v7, vcc_lo
	s_and_saveexec_b32 s11, s3
	s_xor_b32 s3, exec_lo, s11
	s_cbranch_execz .LBB191_74
; %bb.73:
	v_mov_b32_e32 v20, 0
	v_mov_b32_e32 v21, v20
	;; [unrolled: 1-line block ×4, first 2 shown]
	ds_write_b128 v17, v[20:23]
.LBB191_74:
	s_andn2_saveexec_b32 s3, s3
	s_cbranch_execz .LBB191_76
; %bb.75:
	flat_load_dwordx4 v[20:23], v[9:10]
	s_waitcnt vmcnt(0) lgkmcnt(0)
	ds_write2_b64 v17, v[20:21], v[22:23] offset1:1
.LBB191_76:
	s_or_b32 exec_lo, exec_lo, s3
	v_add_nc_u32_e32 v6, 8, v11
	v_add_nc_u32_e32 v22, v13, v12
	v_cmp_le_i32_e64 s3, s7, v6
	s_and_saveexec_b32 s11, s3
	s_xor_b32 s3, exec_lo, s11
	s_cbranch_execz .LBB191_78
; %bb.77:
	v_mov_b32_e32 v23, 0
	v_mov_b32_e32 v24, v23
	v_mov_b32_e32 v25, v23
	v_mov_b32_e32 v26, v23
	ds_write_b128 v22, v[23:26] offset:4224
.LBB191_78:
	s_andn2_saveexec_b32 s11, s3
	s_cbranch_execz .LBB191_80
; %bb.79:
	s_lshl_b32 s22, s14, 3
	s_ashr_i32 s23, s22, 31
	s_lshl_b64 s[22:23], s[22:23], 4
	v_add_co_u32 v20, s3, v9, s22
	v_add_co_ci_u32_e64 v21, null, s23, v10, s3
	flat_load_dwordx4 v[23:26], v[20:21]
	v_add3_u32 v20, v13, v12, 0x1080
	s_waitcnt vmcnt(0) lgkmcnt(0)
	ds_write2_b64 v20, v[23:24], v[25:26] offset1:1
.LBB191_80:
	s_or_b32 exec_lo, exec_lo, s11
	v_add_nc_u32_e32 v21, 16, v11
	v_cmp_le_i32_e64 s3, s7, v21
	s_and_saveexec_b32 s11, s3
	s_xor_b32 s3, exec_lo, s11
	s_cbranch_execz .LBB191_82
; %bb.81:
	v_mov_b32_e32 v23, 0
	v_mov_b32_e32 v24, v23
	;; [unrolled: 1-line block ×4, first 2 shown]
	ds_write_b128 v22, v[23:26] offset:8448
.LBB191_82:
	s_andn2_saveexec_b32 s11, s3
	s_cbranch_execz .LBB191_84
; %bb.83:
	s_lshl_b32 s22, s14, 4
	v_add3_u32 v20, v13, v12, 0x2100
	s_ashr_i32 s23, s22, 31
	s_lshl_b64 s[22:23], s[22:23], 4
	v_add_co_u32 v23, s3, v9, s22
	v_add_co_ci_u32_e64 v24, null, s23, v10, s3
	flat_load_dwordx4 v[23:26], v[23:24]
	s_waitcnt vmcnt(0) lgkmcnt(0)
	ds_write2_b64 v20, v[23:24], v[25:26] offset1:1
.LBB191_84:
	s_or_b32 exec_lo, exec_lo, s11
	v_add_nc_u32_e32 v20, 24, v11
	v_cmp_le_i32_e64 s3, s7, v20
	s_and_saveexec_b32 s7, s3
	s_xor_b32 s3, exec_lo, s7
	s_cbranch_execz .LBB191_86
; %bb.85:
	v_mov_b32_e32 v23, 0
                                        ; implicit-def: $vgpr13
	v_mov_b32_e32 v24, v23
	v_mov_b32_e32 v25, v23
	;; [unrolled: 1-line block ×3, first 2 shown]
	ds_write_b128 v22, v[23:26] offset:12672
.LBB191_86:
	s_andn2_saveexec_b32 s7, s3
	s_cbranch_execz .LBB191_88
; %bb.87:
	s_mul_i32 s22, s14, 24
	v_add3_u32 v13, v13, v12, 0x3180
	s_ashr_i32 s23, s22, 31
	s_lshl_b64 s[22:23], s[22:23], 4
	v_add_co_u32 v22, s3, v9, s22
	v_add_co_ci_u32_e64 v23, null, s23, v10, s3
	flat_load_dwordx4 v[22:25], v[22:23]
	s_waitcnt vmcnt(0) lgkmcnt(0)
	ds_write2_b64 v13, v[22:23], v[24:25] offset1:1
.LBB191_88:
	s_or_b32 exec_lo, exec_lo, s7
	v_add_co_u32 v9, s3, v9, v12
	v_add_co_ci_u32_e64 v10, null, 0, v10, s3
	v_sub_co_u32 v9, s3, v9, s8
	v_subrev_co_ci_u32_e64 v10, null, s9, v10, s3
	v_add_co_u32 v9, s3, v9, 16
	v_add_co_ci_u32_e64 v10, null, 0, v10, s3
	v_cndmask_b32_e32 v42, v9, v7, vcc_lo
	v_cndmask_b32_e32 v43, v10, v8, vcc_lo
	s_branch .LBB191_91
.LBB191_89:
                                        ; implicit-def: $vgpr42_vgpr43
                                        ; implicit-def: $vgpr6
                                        ; implicit-def: $vgpr21
                                        ; implicit-def: $vgpr20
	s_cbranch_execz .LBB191_91
; %bb.90:
	flat_load_dwordx4 v[20:23], v[7:8]
	s_lshl_b32 s8, s14, 3
	s_ashr_i32 s15, s14, 31
	s_ashr_i32 s9, s8, 31
	v_add_nc_u32_e32 v6, 0x1080, v17
	s_lshl_b64 s[8:9], s[8:9], 4
	v_mov_b32_e32 v43, v8
	v_add_co_u32 v9, vcc_lo, v7, s8
	v_add_co_ci_u32_e64 v10, null, s9, v8, vcc_lo
	s_lshl_b64 s[8:9], s[14:15], 7
	v_mov_b32_e32 v42, v7
	s_waitcnt vmcnt(0) lgkmcnt(0)
	ds_write2_b64 v17, v[20:21], v[22:23] offset1:1
	flat_load_dwordx4 v[20:23], v[9:10]
	v_add_co_u32 v9, vcc_lo, v9, s8
	v_add_co_ci_u32_e64 v10, null, s9, v10, vcc_lo
	s_waitcnt vmcnt(0) lgkmcnt(0)
	ds_write2_b64 v6, v[20:21], v[22:23] offset1:1
	flat_load_dwordx4 v[20:23], v[9:10]
	v_add_co_u32 v9, vcc_lo, v9, s8
	v_add_nc_u32_e32 v6, 0x2100, v17
	v_add_co_ci_u32_e64 v10, null, s9, v10, vcc_lo
	s_waitcnt vmcnt(0) lgkmcnt(0)
	ds_write2_b64 v6, v[20:21], v[22:23] offset1:1
	flat_load_dwordx4 v[22:25], v[9:10]
	v_add_nc_u32_e32 v6, 8, v11
	v_add_nc_u32_e32 v21, 16, v11
	;; [unrolled: 1-line block ×4, first 2 shown]
	s_waitcnt vmcnt(0) lgkmcnt(0)
	ds_write2_b64 v9, v[22:23], v[24:25] offset1:1
.LBB191_91:
	v_lshlrev_b32_e32 v11, 4, v11
	s_waitcnt lgkmcnt(0)
	s_barrier
	buffer_gl0_inv
	v_lshlrev_b32_e32 v6, 4, v6
	v_add_nc_u32_e32 v7, v45, v11
	ds_read_b128 v[7:10], v7
	ds_read_b128 v[22:25], v11 offset:18176
	v_add_nc_u32_e32 v11, v45, v6
	ds_read_b128 v[26:29], v11
	ds_read_b128 v[30:33], v6 offset:18176
	v_lshlrev_b32_e32 v6, 4, v21
	v_add_nc_u32_e32 v13, v45, v6
	ds_read_b128 v[34:37], v13
	ds_read_b128 v[47:50], v6 offset:18176
	s_waitcnt lgkmcnt(4)
	v_mul_f64 v[11:12], v[9:10], v[24:25]
	v_mul_f64 v[24:25], v[7:8], v[24:25]
	s_waitcnt lgkmcnt(2)
	v_mul_f64 v[51:52], v[28:29], v[32:33]
	v_mul_f64 v[32:33], v[26:27], v[32:33]
	v_fma_f64 v[53:54], v[7:8], v[22:23], -v[11:12]
	v_fma_f64 v[21:22], v[9:10], v[22:23], v[24:25]
	v_lshlrev_b32_e32 v10, 4, v20
	s_waitcnt lgkmcnt(0)
	v_mul_f64 v[23:24], v[36:37], v[49:50]
	v_mul_f64 v[49:50], v[34:35], v[49:50]
	v_fma_f64 v[25:26], v[26:27], v[30:31], -v[51:52]
	v_add_nc_u32_e32 v6, v45, v10
	v_fma_f64 v[27:28], v[28:29], v[30:31], v[32:33]
	ds_read_b128 v[6:9], v6
	ds_read_b128 v[10:13], v10 offset:18176
	v_add_f64 v[29:30], v[53:54], 0
	v_add_f64 v[20:21], v[21:22], 0
	v_fma_f64 v[22:23], v[34:35], v[47:48], -v[23:24]
	v_fma_f64 v[33:34], v[36:37], v[47:48], v[49:50]
	s_waitcnt lgkmcnt(0)
	v_mul_f64 v[31:32], v[8:9], v[12:13]
	v_mul_f64 v[12:13], v[6:7], v[12:13]
	v_add_f64 v[24:25], v[29:30], v[25:26]
	v_add_f64 v[20:21], v[20:21], v[27:28]
	v_fma_f64 v[6:7], v[6:7], v[10:11], -v[31:32]
	v_fma_f64 v[8:9], v[8:9], v[10:11], v[12:13]
	v_add_f64 v[10:11], v[24:25], v[22:23]
	v_add_f64 v[12:13], v[20:21], v[33:34]
	ds_read_b128 v[30:33], v19 offset:512
	ds_read_b128 v[22:25], v19 offset:528
	v_add_f64 v[47:48], v[10:11], v[6:7]
	v_add_f64 v[49:50], v[12:13], v[8:9]
	ds_read_b128 v[10:13], v19 offset:544
	ds_read_b128 v[6:9], v19 offset:560
	ds_read_b128 v[34:37], v14
	ds_read_b128 v[26:29], v15
	;; [unrolled: 1-line block ×4, first 2 shown]
	s_waitcnt lgkmcnt(0)
	s_barrier
	buffer_gl0_inv
	ds_write_b128 v46, v[47:50]
	s_waitcnt lgkmcnt(0)
	s_barrier
	buffer_gl0_inv
	s_and_saveexec_b32 s3, s2
	s_cbranch_execz .LBB191_93
; %bb.92:
	ds_read_b128 v[47:50], v45
	ds_read_b128 v[51:54], v45 offset:16
	s_waitcnt lgkmcnt(1)
	v_add_f64 v[2:3], v[2:3], v[47:48]
	v_add_f64 v[4:5], v[4:5], v[49:50]
	s_waitcnt lgkmcnt(0)
	v_add_f64 v[51:52], v[2:3], v[51:52]
	v_add_f64 v[53:54], v[4:5], v[53:54]
	ds_read_b128 v[2:5], v45 offset:32
	ds_read_b128 v[47:50], v45 offset:48
	s_waitcnt lgkmcnt(1)
	v_add_f64 v[2:3], v[51:52], v[2:3]
	v_add_f64 v[4:5], v[53:54], v[4:5]
	s_waitcnt lgkmcnt(0)
	v_add_f64 v[51:52], v[2:3], v[47:48]
	v_add_f64 v[53:54], v[4:5], v[49:50]
	ds_read_b128 v[2:5], v45 offset:64
	;; [unrolled: 8-line block ×3, first 2 shown]
	ds_read_b128 v[47:50], v45 offset:112
	s_waitcnt lgkmcnt(1)
	v_add_f64 v[2:3], v[51:52], v[2:3]
	v_add_f64 v[4:5], v[53:54], v[4:5]
	s_waitcnt lgkmcnt(0)
	v_add_f64 v[2:3], v[2:3], v[47:48]
	v_add_f64 v[4:5], v[4:5], v[49:50]
.LBB191_93:
	s_or_b32 exec_lo, exec_lo, s3
	v_mul_f64 v[47:48], v[32:33], v[36:37]
	v_mul_f64 v[36:37], v[30:31], v[36:37]
	;; [unrolled: 1-line block ×4, first 2 shown]
	s_barrier
	buffer_gl0_inv
	v_fma_f64 v[30:31], v[30:31], v[34:35], -v[47:48]
	v_fma_f64 v[32:33], v[32:33], v[34:35], v[36:37]
	v_mul_f64 v[34:35], v[12:13], v[20:21]
	v_mul_f64 v[20:21], v[10:11], v[20:21]
	v_fma_f64 v[22:23], v[22:23], v[26:27], -v[49:50]
	v_fma_f64 v[24:25], v[24:25], v[26:27], v[28:29]
	v_add_f64 v[26:27], v[30:31], 0
	v_add_f64 v[28:29], v[32:33], 0
	v_mul_f64 v[30:31], v[8:9], v[16:17]
	v_mul_f64 v[16:17], v[6:7], v[16:17]
	v_fma_f64 v[10:11], v[10:11], v[18:19], -v[34:35]
	v_fma_f64 v[12:13], v[12:13], v[18:19], v[20:21]
	v_add_f64 v[18:19], v[26:27], v[22:23]
	v_add_f64 v[20:21], v[28:29], v[24:25]
	v_fma_f64 v[6:7], v[6:7], v[14:15], -v[30:31]
	v_fma_f64 v[8:9], v[8:9], v[14:15], v[16:17]
	v_add_f64 v[10:11], v[18:19], v[10:11]
	v_add_f64 v[12:13], v[20:21], v[12:13]
	v_add_f64 v[6:7], v[10:11], v[6:7]
	v_add_f64 v[8:9], v[12:13], v[8:9]
	ds_write_b128 v46, v[6:9]
	s_waitcnt lgkmcnt(0)
	s_barrier
	buffer_gl0_inv
	s_and_saveexec_b32 s2, s1
	s_cbranch_execz .LBB191_95
; %bb.94:
	ds_read_b128 v[6:9], v45
	ds_read_b128 v[10:13], v45 offset:16
	s_waitcnt lgkmcnt(1)
	v_add_f64 v[2:3], v[2:3], v[6:7]
	v_add_f64 v[4:5], v[4:5], v[8:9]
	s_waitcnt lgkmcnt(0)
	v_add_f64 v[10:11], v[2:3], v[10:11]
	v_add_f64 v[12:13], v[4:5], v[12:13]
	ds_read_b128 v[2:5], v45 offset:32
	ds_read_b128 v[6:9], v45 offset:48
	s_waitcnt lgkmcnt(1)
	v_add_f64 v[2:3], v[10:11], v[2:3]
	v_add_f64 v[4:5], v[12:13], v[4:5]
	s_waitcnt lgkmcnt(0)
	v_add_f64 v[10:11], v[2:3], v[6:7]
	v_add_f64 v[12:13], v[4:5], v[8:9]
	ds_read_b128 v[2:5], v45 offset:64
	;; [unrolled: 8-line block ×3, first 2 shown]
	ds_read_b128 v[6:9], v45 offset:112
	s_waitcnt lgkmcnt(1)
	v_add_f64 v[2:3], v[10:11], v[2:3]
	v_add_f64 v[4:5], v[12:13], v[4:5]
	s_waitcnt lgkmcnt(0)
	v_add_f64 v[2:3], v[2:3], v[6:7]
	v_add_f64 v[4:5], v[4:5], v[8:9]
.LBB191_95:
	s_or_b32 exec_lo, exec_lo, s2
	s_load_dwordx2 s[2:3], s[4:5], 0x78
	s_mul_hi_u32 s1, s13, s12
	s_mul_i32 s28, s28, s12
	s_mul_i32 s4, s13, s12
	s_add_i32 s1, s1, s28
	s_mul_hi_u32 s5, s4, s24
	s_mul_i32 s1, s1, s24
	s_mul_i32 s4, s4, s24
	s_add_i32 s5, s5, s1
	s_mul_hi_i32 s9, s13, s6
	s_lshl_b64 s[4:5], s[4:5], 4
	s_mul_i32 s8, s13, s6
	v_lshlrev_b32_e32 v170, 4, v0
	s_waitcnt lgkmcnt(0)
	s_barrier
	buffer_gl0_inv
	s_add_u32 s1, s2, s4
	s_addc_u32 s4, s3, s5
	s_lshl_b64 s[2:3], s[8:9], 4
	s_add_u32 s7, s1, s2
	s_addc_u32 s11, s4, s3
	s_add_i32 s2, s6, 1
	s_cmp_ge_u32 s2, s24
	s_cbranch_scc1 .LBB191_153
; %bb.96:
	v_lshlrev_b32_e32 v171, 2, v1
	v_lshrrev_b32_e32 v8, 4, v44
	s_mul_i32 s4, s27, s16
	v_and_b32_e32 v9, 15, v0
	v_and_b32_e32 v11, 48, v0
	v_mad_u64_u32 v[6:7], null, s14, v171, v[0:1]
	v_lshlrev_b32_e32 v10, 6, v8
	s_ashr_i32 s5, s4, 31
	v_mul_i32_i24_e32 v12, 0xffffffd0, v8
	s_lshl_b64 s[4:5], s[4:5], 4
	s_lshl_b32 s12, s14, 4
	v_mad_u32_u24 v178, 0x430, v9, v10
	v_ashrrev_i32_e32 v7, 31, v6
	v_lshlrev_b32_e32 v10, 4, v11
	v_or_b32_e32 v11, 0xf0, v170
	v_sub_co_u32 v172, vcc_lo, v38, s4
	v_subrev_co_ci_u32_e64 v173, null, s5, v39, vcc_lo
	v_add_co_u32 v8, vcc_lo, s20, v6
	v_mad_u32_u24 v179, 0x430, v9, v10
	v_mad_u32_u24 v180, 0x430, v9, v11
	v_add_co_ci_u32_e64 v9, null, s21, v7, vcc_lo
	s_ashr_i32 s15, s14, 31
	v_lshlrev_b64 v[6:7], 4, v[6:7]
	s_lshl_b32 s23, s27, 6
	v_lshlrev_b64 v[8:9], 4, v[8:9]
	s_lshl_b32 s16, s14, 1
	s_mul_i32 s28, s14, 3
	s_mul_i32 s27, s27, s2
	s_lshl_b64 s[20:21], s[14:15], 5
	s_add_i32 s22, s24, -2
	v_mad_i64_i32 v[10:11], null, s12, 48, v[8:9]
	s_ashr_i32 s13, s12, 31
	s_ashr_i32 s17, s16, 31
	;; [unrolled: 1-line block ×3, first 2 shown]
	s_lshl_b64 s[2:3], s[14:15], 4
	s_lshl_b32 s4, s27, 6
	v_sub_co_u32 v195, vcc_lo, 0, v40
	s_add_u32 s5, s20, s18
	v_sub_co_ci_u32_e64 v196, null, 0, v41, vcc_lo
	s_addc_u32 s27, s21, s19
	v_add_co_u32 v13, vcc_lo, s5, v6
	s_mul_i32 s30, s14, 0x300
	s_lshl_b64 s[14:15], s[28:29], 4
	s_lshl_b64 s[8:9], s[12:13], 6
	v_add_co_ci_u32_e64 v14, null, s27, v7, vcc_lo
	v_add_co_u32 v15, vcc_lo, v10, s14
	s_add_u32 s33, s2, s18
	v_add_co_ci_u32_e64 v16, null, s15, v11, vcc_lo
	s_addc_u32 s34, s3, s19
	v_add_co_u32 v17, vcc_lo, s33, v6
	s_lshl_b64 s[16:17], s[16:17], 4
	v_add_co_ci_u32_e64 v18, null, s34, v7, vcc_lo
	v_add_co_u32 v19, vcc_lo, v10, s16
	v_add_co_ci_u32_e64 v20, null, s17, v11, vcc_lo
	v_add_co_u32 v21, vcc_lo, s18, v6
	;; [unrolled: 2-line block ×3, first 2 shown]
	s_add_u32 s28, s18, s16
	v_add_co_ci_u32_e64 v198, null, v43, v11, vcc_lo
	s_addc_u32 s29, s19, s17
	v_add_co_u32 v23, vcc_lo, s28, v6
	v_add_co_ci_u32_e64 v24, null, s29, v7, vcc_lo
	v_add_co_u32 v10, vcc_lo, v10, s2
	s_add_u32 s35, s18, s14
	s_addc_u32 s36, s19, s15
	s_lshl_b64 s[28:29], s[12:13], 4
	v_add_co_ci_u32_e64 v11, null, s3, v11, vcc_lo
	v_add_co_u32 v25, vcc_lo, s35, v6
	s_add_u32 s35, s5, s28
	s_mul_hi_i32 s31, s12, 48
	v_add_co_ci_u32_e64 v26, null, s36, v7, vcc_lo
	s_addc_u32 s36, s27, s29
	v_add_co_u32 v27, vcc_lo, s35, v6
	s_add_u32 s20, s30, s20
	s_addc_u32 s21, s31, s21
	s_lshl_b64 s[12:13], s[12:13], 5
	v_add_co_ci_u32_e64 v28, null, s36, v7, vcc_lo
	v_add_co_u32 v8, vcc_lo, s20, v8
	s_add_u32 s20, s12, s18
	v_add_co_ci_u32_e64 v9, null, s21, v9, vcc_lo
	s_addc_u32 s21, s13, s19
	s_add_u32 s30, s20, s14
	s_addc_u32 s31, s21, s15
	v_add_co_u32 v29, vcc_lo, s30, v6
	s_add_u32 s30, s33, s28
	v_add_co_ci_u32_e64 v30, null, s31, v7, vcc_lo
	s_addc_u32 s31, s34, s29
	v_add_co_u32 v31, vcc_lo, s30, v6
	s_add_u32 s30, s20, s16
	v_add_co_ci_u32_e64 v32, null, s31, v7, vcc_lo
	;; [unrolled: 4-line block ×3, first 2 shown]
	s_addc_u32 s19, s19, s29
	v_add_co_u32 v35, vcc_lo, s18, v6
	v_add_co_ci_u32_e64 v36, null, s19, v7, vcc_lo
	v_add_co_u32 v37, vcc_lo, s20, v6
	s_add_u32 s16, s18, s16
	s_addc_u32 s17, s19, s17
	v_add_co_ci_u32_e64 v38, null, s21, v7, vcc_lo
	v_add_co_u32 v39, vcc_lo, s16, v6
	s_add_u32 s2, s20, s2
	v_add_co_ci_u32_e64 v40, null, s17, v7, vcc_lo
	s_addc_u32 s3, s21, s3
	v_add_co_u32 v41, vcc_lo, s2, v6
	s_add_u32 s2, s18, s14
	v_cmp_gt_u32_e64 s1, 64, v44
	v_add_co_ci_u32_e64 v44, null, s3, v7, vcc_lo
	s_addc_u32 s3, s19, s15
	v_add_co_u32 v45, vcc_lo, s2, v6
	s_add_u32 s2, s5, s12
	v_add_co_ci_u32_e64 v46, null, s3, v7, vcc_lo
	s_addc_u32 s3, s27, s13
	v_add_co_u32 v6, vcc_lo, s2, v6
	v_add_co_ci_u32_e64 v7, null, s3, v7, vcc_lo
	v_add_co_u32 v200, vcc_lo, v42, v13
	v_add_co_ci_u32_e64 v201, null, v43, v14, vcc_lo
	;; [unrolled: 2-line block ×19, first 2 shown]
	v_add_co_u32 v236, vcc_lo, v42, v6
	v_add_nc_u32_e32 v174, 0x4300, v170
	v_lshl_add_u32 v175, v1, 6, 0x4300
	v_add_nc_u32_e32 v176, 0x4700, v170
	v_mad_u32_u24 v177, 0x10c0, v1, v170
	v_or_b32_e32 v181, 1, v171
	v_or_b32_e32 v182, 2, v171
	v_or_b32_e32 v183, 3, v171
	v_add_nc_u32_e32 v184, 16, v171
	v_add_nc_u32_e32 v185, 17, v171
	;; [unrolled: 1-line block ×12, first 2 shown]
	v_add_co_ci_u32_e64 v237, null, v43, v7, vcc_lo
	v_add_nc_u32_e32 v168, 64, v167
	v_add_nc_u32_e32 v238, v178, v12
	v_mov_b32_e32 v6, 0
	s_cmp_eq_u32 s22, s6
	s_cselect_b32 s3, s25, 0
	s_and_saveexec_b32 s2, s0
	s_cbranch_execz .LBB191_102
	s_branch .LBB191_98
.LBB191_97:                             ;   in Loop: Header=BB191_102 Depth=1
	s_mov_b32 s6, s2
	s_cmp_eq_u32 s22, s6
	s_cselect_b32 s3, s25, 0
	s_and_saveexec_b32 s2, s0
	s_cbranch_execz .LBB191_102
.LBB191_98:
	v_cmp_le_i32_e32 vcc_lo, s3, v0
	s_cmp_lg_u32 s3, 0
	s_cselect_b32 s5, -1, 0
	s_and_b32 s5, s5, vcc_lo
	s_and_saveexec_b32 s12, s5
	s_xor_b32 s5, exec_lo, s12
	s_cbranch_execz .LBB191_100
; %bb.99:
	v_mov_b32_e32 v7, v6
	v_mov_b32_e32 v8, v6
	;; [unrolled: 1-line block ×3, first 2 shown]
	ds_write_b128 v174, v[6:9]
.LBB191_100:
	s_andn2_saveexec_b32 s5, s5
	s_cbranch_execz .LBB191_102
; %bb.101:
	s_ashr_i32 s5, s4, 31
	s_lshl_b64 s[12:13], s[4:5], 4
	v_add_co_u32 v7, vcc_lo, v172, s12
	v_add_co_ci_u32_e64 v8, null, s13, v173, vcc_lo
	flat_load_dwordx4 v[7:10], v[7:8]
	s_waitcnt vmcnt(0) lgkmcnt(0)
	ds_write2_b64 v174, v[7:8], v[9:10] offset1:1
.LBB191_102:                            ; =>This Inner Loop Header: Depth=1
	s_or_b32 exec_lo, exec_lo, s2
	s_cmp_eq_u32 s3, 0
	v_add_co_u32 v19, vcc_lo, v208, v195
	s_cselect_b32 s5, -1, 0
	s_cmp_lg_u32 s3, 0
	v_add_co_ci_u32_e64 v20, null, v209, v196, vcc_lo
	s_cselect_b32 s2, -1, 0
	s_waitcnt lgkmcnt(0)
	s_and_b32 vcc_lo, exec_lo, s2
	s_barrier
	buffer_gl0_inv
	s_cbranch_vccz .LBB191_110
; %bb.103:                              ;   in Loop: Header=BB191_102 Depth=1
	v_mov_b32_e32 v7, 0
	v_mov_b32_e32 v11, 0
	v_mov_b32_e32 v13, 0
	v_mov_b32_e32 v8, 0
	v_mov_b32_e32 v12, 0
	v_mov_b32_e32 v14, 0
	s_mov_b32 s12, exec_lo
	v_cmpx_gt_i32_e64 s3, v171
	s_cbranch_execz .LBB191_105
; %bb.104:                              ;   in Loop: Header=BB191_102 Depth=1
	flat_load_dwordx4 v[11:14], v[19:20]
.LBB191_105:                            ;   in Loop: Header=BB191_102 Depth=1
	s_or_b32 exec_lo, exec_lo, s12
	v_mov_b32_e32 v9, 0
	v_mov_b32_e32 v10, 0
	s_mov_b32 s12, exec_lo
	v_cmpx_gt_i32_e64 s3, v181
	s_cbranch_execz .LBB191_107
; %bb.106:                              ;   in Loop: Header=BB191_102 Depth=1
	v_add_co_u32 v7, vcc_lo, v204, v195
	v_add_co_ci_u32_e64 v8, null, v205, v196, vcc_lo
	flat_load_dwordx4 v[7:10], v[7:8]
.LBB191_107:                            ;   in Loop: Header=BB191_102 Depth=1
	s_or_b32 exec_lo, exec_lo, s12
	v_mov_b32_e32 v15, 0
	v_mov_b32_e32 v17, 0
	;; [unrolled: 1-line block ×4, first 2 shown]
	s_mov_b32 s12, exec_lo
	v_cmpx_gt_i32_e64 s3, v182
	s_cbranch_execz .LBB191_109
; %bb.108:                              ;   in Loop: Header=BB191_102 Depth=1
	v_add_co_u32 v15, vcc_lo, v210, v195
	v_add_co_ci_u32_e64 v16, null, v211, v196, vcc_lo
	flat_load_dwordx4 v[15:18], v[15:16]
.LBB191_109:                            ;   in Loop: Header=BB191_102 Depth=1
	s_or_b32 exec_lo, exec_lo, s12
	v_cmp_gt_i32_e64 s12, s3, v183
	s_branch .LBB191_112
.LBB191_110:                            ;   in Loop: Header=BB191_102 Depth=1
	s_mov_b32 s12, 0
                                        ; implicit-def: $vgpr17_vgpr18
                                        ; implicit-def: $vgpr9_vgpr10
                                        ; implicit-def: $vgpr13_vgpr14
	s_cbranch_execz .LBB191_112
; %bb.111:                              ;   in Loop: Header=BB191_102 Depth=1
	s_waitcnt vmcnt(0) lgkmcnt(0)
	v_add_co_u32 v7, vcc_lo, v204, v195
	v_add_co_ci_u32_e64 v8, null, v205, v196, vcc_lo
	v_add_co_u32 v15, vcc_lo, v200, v195
	v_add_co_ci_u32_e64 v16, null, v201, v196, vcc_lo
	flat_load_dwordx4 v[11:14], v[19:20]
	flat_load_dwordx4 v[7:10], v[7:8]
	;; [unrolled: 1-line block ×3, first 2 shown]
	s_or_b32 s12, s12, exec_lo
.LBB191_112:                            ;   in Loop: Header=BB191_102 Depth=1
	v_mov_b32_e32 v19, 0
	v_mov_b32_e32 v21, 0
	;; [unrolled: 1-line block ×4, first 2 shown]
	s_and_saveexec_b32 s13, s12
	s_cbranch_execz .LBB191_114
; %bb.113:                              ;   in Loop: Header=BB191_102 Depth=1
	v_add_co_u32 v19, vcc_lo, v214, v195
	v_add_co_ci_u32_e64 v20, null, v215, v196, vcc_lo
	flat_load_dwordx4 v[19:22], v[19:20]
.LBB191_114:                            ;   in Loop: Header=BB191_102 Depth=1
	s_or_b32 exec_lo, exec_lo, s13
	ds_read_b128 v[23:26], v176
	v_cndmask_b32_e64 v95, 0, 1, s2
	s_waitcnt vmcnt(0) lgkmcnt(0)
	v_mul_f64 v[27:28], v[13:14], v[25:26]
	v_mul_f64 v[29:30], v[11:12], v[25:26]
	;; [unrolled: 1-line block ×8, first 2 shown]
	v_fma_f64 v[39:40], v[11:12], v[23:24], -v[27:28]
	v_fma_f64 v[41:42], v[13:14], v[23:24], v[29:30]
	v_fma_f64 v[43:44], v[7:8], v[23:24], -v[31:32]
	v_fma_f64 v[45:46], v[9:10], v[23:24], v[33:34]
	;; [unrolled: 2-line block ×4, first 2 shown]
	ds_read_b128 v[35:38], v175
	ds_read_b128 v[31:34], v175 offset:16
	ds_read_b128 v[27:30], v175 offset:32
	;; [unrolled: 1-line block ×3, first 2 shown]
	ds_write_b128 v177, v[39:42]
	ds_write_b128 v177, v[43:46] offset:1072
	ds_write_b128 v177, v[47:50] offset:2144
	;; [unrolled: 1-line block ×3, first 2 shown]
	s_waitcnt lgkmcnt(0)
	s_barrier
	buffer_gl0_inv
	ds_read_b128 v[131:134], v178
	ds_read_b128 v[127:130], v178 offset:16
	ds_read_b128 v[123:126], v178 offset:32
	;; [unrolled: 1-line block ×3, first 2 shown]
	v_add_co_u32 v51, vcc_lo, v226, v195
	v_add_co_ci_u32_e64 v52, null, v227, v196, vcc_lo
	s_andn2_b32 vcc_lo, exec_lo, s2
	s_waitcnt lgkmcnt(0)
	s_barrier
	buffer_gl0_inv
	s_cbranch_vccnz .LBB191_122
; %bb.115:                              ;   in Loop: Header=BB191_102 Depth=1
	v_mov_b32_e32 v39, 0
	v_mov_b32_e32 v43, 0
	;; [unrolled: 1-line block ×6, first 2 shown]
	s_mov_b32 s2, exec_lo
	v_cmpx_gt_i32_e64 s3, v184
	s_cbranch_execz .LBB191_117
; %bb.116:                              ;   in Loop: Header=BB191_102 Depth=1
	flat_load_dwordx4 v[43:46], v[51:52]
.LBB191_117:                            ;   in Loop: Header=BB191_102 Depth=1
	s_or_b32 exec_lo, exec_lo, s2
	v_mov_b32_e32 v41, 0
	v_mov_b32_e32 v42, 0
	s_mov_b32 s2, exec_lo
	v_cmpx_gt_i32_e64 s3, v185
	s_cbranch_execz .LBB191_119
; %bb.118:                              ;   in Loop: Header=BB191_102 Depth=1
	v_add_co_u32 v39, vcc_lo, v222, v195
	v_add_co_ci_u32_e64 v40, null, v223, v196, vcc_lo
	flat_load_dwordx4 v[39:42], v[39:40]
.LBB191_119:                            ;   in Loop: Header=BB191_102 Depth=1
	s_or_b32 exec_lo, exec_lo, s2
	v_mov_b32_e32 v47, 0
	v_mov_b32_e32 v49, 0
	;; [unrolled: 1-line block ×4, first 2 shown]
	s_mov_b32 s2, exec_lo
	v_cmpx_gt_i32_e64 s3, v186
	s_cbranch_execz .LBB191_121
; %bb.120:                              ;   in Loop: Header=BB191_102 Depth=1
	v_add_co_u32 v47, vcc_lo, v230, v195
	v_add_co_ci_u32_e64 v48, null, v231, v196, vcc_lo
	flat_load_dwordx4 v[47:50], v[47:48]
.LBB191_121:                            ;   in Loop: Header=BB191_102 Depth=1
	s_or_b32 exec_lo, exec_lo, s2
	v_cmp_gt_i32_e64 s2, s3, v187
	s_branch .LBB191_124
.LBB191_122:                            ;   in Loop: Header=BB191_102 Depth=1
	s_mov_b32 s2, 0
                                        ; implicit-def: $vgpr49_vgpr50
                                        ; implicit-def: $vgpr41_vgpr42
                                        ; implicit-def: $vgpr45_vgpr46
	s_cbranch_execz .LBB191_124
; %bb.123:                              ;   in Loop: Header=BB191_102 Depth=1
	s_waitcnt vmcnt(0) lgkmcnt(0)
	v_add_co_u32 v39, vcc_lo, v222, v195
	v_add_co_ci_u32_e64 v40, null, v223, v196, vcc_lo
	v_add_co_u32 v47, vcc_lo, v216, v195
	v_add_co_ci_u32_e64 v48, null, v217, v196, vcc_lo
	flat_load_dwordx4 v[43:46], v[51:52]
	flat_load_dwordx4 v[39:42], v[39:40]
	;; [unrolled: 1-line block ×3, first 2 shown]
	s_or_b32 s2, s2, exec_lo
.LBB191_124:                            ;   in Loop: Header=BB191_102 Depth=1
	v_mov_b32_e32 v51, 0
	v_mov_b32_e32 v53, 0
	v_mov_b32_e32 v52, 0
	v_mov_b32_e32 v54, 0
	s_and_saveexec_b32 s12, s2
	s_cbranch_execz .LBB191_126
; %bb.125:                              ;   in Loop: Header=BB191_102 Depth=1
	v_add_co_u32 v51, vcc_lo, v234, v195
	v_add_co_ci_u32_e64 v52, null, v235, v196, vcc_lo
	flat_load_dwordx4 v[51:54], v[51:52]
.LBB191_126:                            ;   in Loop: Header=BB191_102 Depth=1
	s_or_b32 exec_lo, exec_lo, s12
	ds_read_b128 v[55:58], v176
	v_cmp_ne_u32_e32 vcc_lo, 1, v95
	s_and_b32 vcc_lo, exec_lo, vcc_lo
	s_waitcnt vmcnt(0) lgkmcnt(0)
	v_mul_f64 v[59:60], v[45:46], v[57:58]
	v_mul_f64 v[61:62], v[43:44], v[57:58]
	v_mul_f64 v[63:64], v[41:42], v[57:58]
	v_mul_f64 v[65:66], v[39:40], v[57:58]
	v_mul_f64 v[67:68], v[49:50], v[57:58]
	v_mul_f64 v[69:70], v[47:48], v[57:58]
	v_mul_f64 v[83:84], v[53:54], v[57:58]
	v_mul_f64 v[57:58], v[51:52], v[57:58]
	v_fma_f64 v[71:72], v[43:44], v[55:56], -v[59:60]
	v_fma_f64 v[73:74], v[45:46], v[55:56], v[61:62]
	v_fma_f64 v[75:76], v[39:40], v[55:56], -v[63:64]
	v_fma_f64 v[77:78], v[41:42], v[55:56], v[65:66]
	;; [unrolled: 2-line block ×4, first 2 shown]
	ds_read_b128 v[67:70], v175 offset:256
	ds_read_b128 v[63:66], v175 offset:272
	;; [unrolled: 1-line block ×4, first 2 shown]
	ds_write_b128 v177, v[71:74]
	ds_write_b128 v177, v[75:78] offset:1072
	ds_write_b128 v177, v[79:82] offset:2144
	;; [unrolled: 1-line block ×3, first 2 shown]
	s_waitcnt lgkmcnt(0)
	s_barrier
	buffer_gl0_inv
	ds_read_b128 v[147:150], v178
	ds_read_b128 v[143:146], v178 offset:16
	ds_read_b128 v[139:142], v178 offset:32
	;; [unrolled: 1-line block ×3, first 2 shown]
	v_add_co_u32 v83, s2, v228, v195
	v_add_co_ci_u32_e64 v84, null, v229, v196, s2
	s_waitcnt lgkmcnt(0)
	s_barrier
	buffer_gl0_inv
	s_cbranch_vccnz .LBB191_134
; %bb.127:                              ;   in Loop: Header=BB191_102 Depth=1
	v_mov_b32_e32 v71, 0
	v_mov_b32_e32 v75, 0
	;; [unrolled: 1-line block ×6, first 2 shown]
	s_mov_b32 s2, exec_lo
	v_cmpx_gt_i32_e64 s3, v188
	s_cbranch_execz .LBB191_129
; %bb.128:                              ;   in Loop: Header=BB191_102 Depth=1
	flat_load_dwordx4 v[75:78], v[83:84]
.LBB191_129:                            ;   in Loop: Header=BB191_102 Depth=1
	s_or_b32 exec_lo, exec_lo, s2
	v_mov_b32_e32 v73, 0
	v_mov_b32_e32 v74, 0
	s_mov_b32 s2, exec_lo
	v_cmpx_gt_i32_e64 s3, v189
	s_cbranch_execz .LBB191_131
; %bb.130:                              ;   in Loop: Header=BB191_102 Depth=1
	v_add_co_u32 v71, vcc_lo, v232, v195
	v_add_co_ci_u32_e64 v72, null, v233, v196, vcc_lo
	flat_load_dwordx4 v[71:74], v[71:72]
.LBB191_131:                            ;   in Loop: Header=BB191_102 Depth=1
	s_or_b32 exec_lo, exec_lo, s2
	v_mov_b32_e32 v79, 0
	v_mov_b32_e32 v81, 0
	;; [unrolled: 1-line block ×4, first 2 shown]
	s_mov_b32 s2, exec_lo
	v_cmpx_gt_i32_e64 s3, v190
	s_cbranch_execz .LBB191_133
; %bb.132:                              ;   in Loop: Header=BB191_102 Depth=1
	v_add_co_u32 v79, vcc_lo, v224, v195
	v_add_co_ci_u32_e64 v80, null, v225, v196, vcc_lo
	flat_load_dwordx4 v[79:82], v[79:80]
.LBB191_133:                            ;   in Loop: Header=BB191_102 Depth=1
	s_or_b32 exec_lo, exec_lo, s2
	v_cmp_gt_i32_e64 s2, s3, v191
	s_branch .LBB191_136
.LBB191_134:                            ;   in Loop: Header=BB191_102 Depth=1
	s_mov_b32 s2, 0
                                        ; implicit-def: $vgpr81_vgpr82
                                        ; implicit-def: $vgpr73_vgpr74
                                        ; implicit-def: $vgpr77_vgpr78
	s_cbranch_execz .LBB191_136
; %bb.135:                              ;   in Loop: Header=BB191_102 Depth=1
	s_waitcnt vmcnt(0) lgkmcnt(0)
	v_add_co_u32 v71, vcc_lo, v232, v195
	v_add_co_ci_u32_e64 v72, null, v233, v196, vcc_lo
	v_add_co_u32 v79, vcc_lo, v236, v195
	v_add_co_ci_u32_e64 v80, null, v237, v196, vcc_lo
	flat_load_dwordx4 v[75:78], v[83:84]
	flat_load_dwordx4 v[71:74], v[71:72]
	;; [unrolled: 1-line block ×3, first 2 shown]
	s_or_b32 s2, s2, exec_lo
.LBB191_136:                            ;   in Loop: Header=BB191_102 Depth=1
	v_mov_b32_e32 v83, 0
	v_mov_b32_e32 v85, 0
	;; [unrolled: 1-line block ×4, first 2 shown]
	s_and_saveexec_b32 s12, s2
	s_cbranch_execz .LBB191_138
; %bb.137:                              ;   in Loop: Header=BB191_102 Depth=1
	v_add_co_u32 v83, vcc_lo, v220, v195
	v_add_co_ci_u32_e64 v84, null, v221, v196, vcc_lo
	flat_load_dwordx4 v[83:86], v[83:84]
.LBB191_138:                            ;   in Loop: Header=BB191_102 Depth=1
	s_or_b32 exec_lo, exec_lo, s12
	ds_read_b128 v[87:90], v176
	v_cmp_ne_u32_e32 vcc_lo, 1, v95
	s_and_b32 vcc_lo, exec_lo, vcc_lo
	s_waitcnt vmcnt(0) lgkmcnt(0)
	v_mul_f64 v[91:92], v[77:78], v[89:90]
	v_mul_f64 v[93:94], v[75:76], v[89:90]
	v_mul_f64 v[96:97], v[73:74], v[89:90]
	v_mul_f64 v[98:99], v[71:72], v[89:90]
	v_mul_f64 v[100:101], v[81:82], v[89:90]
	v_mul_f64 v[102:103], v[79:80], v[89:90]
	v_mul_f64 v[104:105], v[85:86], v[89:90]
	v_mul_f64 v[89:90], v[83:84], v[89:90]
	v_fma_f64 v[107:108], v[75:76], v[87:88], -v[91:92]
	v_fma_f64 v[109:110], v[77:78], v[87:88], v[93:94]
	v_fma_f64 v[111:112], v[71:72], v[87:88], -v[96:97]
	v_fma_f64 v[113:114], v[73:74], v[87:88], v[98:99]
	;; [unrolled: 2-line block ×4, first 2 shown]
	ds_read_b128 v[103:106], v175 offset:512
	ds_read_b128 v[99:102], v175 offset:528
	;; [unrolled: 1-line block ×4, first 2 shown]
	ds_write_b128 v177, v[107:110]
	ds_write_b128 v177, v[111:114] offset:1072
	ds_write_b128 v177, v[115:118] offset:2144
	;; [unrolled: 1-line block ×3, first 2 shown]
	s_waitcnt lgkmcnt(0)
	s_barrier
	buffer_gl0_inv
	ds_read_b128 v[163:166], v178
	ds_read_b128 v[159:162], v178 offset:16
	ds_read_b128 v[155:158], v178 offset:32
	;; [unrolled: 1-line block ×3, first 2 shown]
	v_add_co_u32 v115, s2, v197, v195
	v_add_co_ci_u32_e64 v116, null, v198, v196, s2
	s_waitcnt lgkmcnt(0)
	s_barrier
	buffer_gl0_inv
	s_cbranch_vccnz .LBB191_146
; %bb.139:                              ;   in Loop: Header=BB191_102 Depth=1
	v_mov_b32_e32 v95, 0
	v_mov_b32_e32 v107, 0
	v_mov_b32_e32 v109, 0
	v_mov_b32_e32 v96, 0
	v_mov_b32_e32 v108, 0
	v_mov_b32_e32 v110, 0
	s_mov_b32 s2, exec_lo
	v_cmpx_gt_i32_e64 s3, v192
	s_cbranch_execz .LBB191_141
; %bb.140:                              ;   in Loop: Header=BB191_102 Depth=1
	flat_load_dwordx4 v[107:110], v[115:116]
.LBB191_141:                            ;   in Loop: Header=BB191_102 Depth=1
	s_or_b32 exec_lo, exec_lo, s2
	v_mov_b32_e32 v97, 0
	v_mov_b32_e32 v98, 0
	s_mov_b32 s2, exec_lo
	v_cmpx_gt_i32_e64 s3, v193
	s_cbranch_execz .LBB191_143
; %bb.142:                              ;   in Loop: Header=BB191_102 Depth=1
	v_add_co_u32 v95, vcc_lo, v212, v195
	v_add_co_ci_u32_e64 v96, null, v213, v196, vcc_lo
	flat_load_dwordx4 v[95:98], v[95:96]
.LBB191_143:                            ;   in Loop: Header=BB191_102 Depth=1
	s_or_b32 exec_lo, exec_lo, s2
	v_mov_b32_e32 v111, 0
	v_mov_b32_e32 v113, 0
	;; [unrolled: 1-line block ×4, first 2 shown]
	s_mov_b32 s2, exec_lo
	v_cmpx_gt_i32_e64 s3, v194
	s_cbranch_execz .LBB191_145
; %bb.144:                              ;   in Loop: Header=BB191_102 Depth=1
	v_add_co_u32 v111, vcc_lo, v206, v195
	v_add_co_ci_u32_e64 v112, null, v207, v196, vcc_lo
	flat_load_dwordx4 v[111:114], v[111:112]
.LBB191_145:                            ;   in Loop: Header=BB191_102 Depth=1
	s_or_b32 exec_lo, exec_lo, s2
	v_cmp_gt_i32_e64 s2, s3, v199
	s_branch .LBB191_148
.LBB191_146:                            ;   in Loop: Header=BB191_102 Depth=1
	s_mov_b32 s2, 0
                                        ; implicit-def: $vgpr113_vgpr114
                                        ; implicit-def: $vgpr97_vgpr98
                                        ; implicit-def: $vgpr109_vgpr110
	s_cbranch_execz .LBB191_148
; %bb.147:                              ;   in Loop: Header=BB191_102 Depth=1
	s_waitcnt vmcnt(0) lgkmcnt(0)
	v_add_co_u32 v95, vcc_lo, v212, v195
	v_add_co_ci_u32_e64 v96, null, v213, v196, vcc_lo
	v_add_co_u32 v111, vcc_lo, v218, v195
	v_add_co_ci_u32_e64 v112, null, v219, v196, vcc_lo
	flat_load_dwordx4 v[107:110], v[115:116]
	flat_load_dwordx4 v[95:98], v[95:96]
	;; [unrolled: 1-line block ×3, first 2 shown]
	s_or_b32 s2, s2, exec_lo
.LBB191_148:                            ;   in Loop: Header=BB191_102 Depth=1
	v_mov_b32_e32 v115, 0
	v_mov_b32_e32 v117, 0
	v_mov_b32_e32 v116, 0
	v_mov_b32_e32 v118, 0
	s_and_saveexec_b32 s12, s2
	s_cbranch_execz .LBB191_150
; %bb.149:                              ;   in Loop: Header=BB191_102 Depth=1
	v_add_co_u32 v115, vcc_lo, v202, v195
	v_add_co_ci_u32_e64 v116, null, v203, v196, vcc_lo
	flat_load_dwordx4 v[115:118], v[115:116]
.LBB191_150:                            ;   in Loop: Header=BB191_102 Depth=1
	s_or_b32 exec_lo, exec_lo, s12
	v_add_f64 v[147:148], v[147:148], 0
	v_add_f64 v[149:150], v[149:150], 0
	v_add_f64 v[131:132], v[131:132], 0
	v_add_f64 v[133:134], v[133:134], 0
	v_add_f64 v[163:164], v[163:164], 0
	v_add_f64 v[165:166], v[165:166], 0
	v_cmp_gt_i32_e32 vcc_lo, s3, v0
	s_or_b32 s2, s5, vcc_lo
	s_and_b32 s3, s1, s2
	v_add_f64 v[143:144], v[147:148], v[143:144]
	v_add_f64 v[145:146], v[149:150], v[145:146]
	;; [unrolled: 1-line block ×16, first 2 shown]
	ds_read_b128 v[143:146], v176
	ds_read_b128 v[131:134], v175 offset:768
	ds_read_b128 v[127:130], v175 offset:784
	;; [unrolled: 1-line block ×4, first 2 shown]
	v_add_f64 v[151:152], v[155:156], v[151:152]
	v_add_f64 v[153:154], v[157:158], v[153:154]
	s_waitcnt vmcnt(0) lgkmcnt(4)
	v_mul_f64 v[147:148], v[109:110], v[145:146]
	v_mul_f64 v[149:150], v[107:108], v[145:146]
	v_fma_f64 v[147:148], v[107:108], v[143:144], -v[147:148]
	v_fma_f64 v[149:150], v[109:110], v[143:144], v[149:150]
	ds_write_b128 v177, v[147:150]
	v_mul_f64 v[147:148], v[97:98], v[145:146]
	v_mul_f64 v[149:150], v[95:96], v[145:146]
	v_fma_f64 v[147:148], v[95:96], v[143:144], -v[147:148]
	v_fma_f64 v[149:150], v[97:98], v[143:144], v[149:150]
	ds_write_b128 v177, v[147:150] offset:1072
	v_mul_f64 v[147:148], v[113:114], v[145:146]
	v_mul_f64 v[149:150], v[111:112], v[145:146]
	v_fma_f64 v[147:148], v[111:112], v[143:144], -v[147:148]
	v_fma_f64 v[149:150], v[113:114], v[143:144], v[149:150]
	ds_write_b128 v177, v[147:150] offset:2144
	;; [unrolled: 5-line block ×3, first 2 shown]
	s_waitcnt lgkmcnt(0)
	s_barrier
	buffer_gl0_inv
	ds_read_b128 v[143:146], v178
	ds_read_b128 v[147:150], v178 offset:16
	ds_read_b128 v[155:158], v178 offset:32
	;; [unrolled: 1-line block ×3, first 2 shown]
	s_waitcnt lgkmcnt(0)
	s_barrier
	buffer_gl0_inv
	v_add_f64 v[143:144], v[143:144], 0
	v_add_f64 v[145:146], v[145:146], 0
	;; [unrolled: 1-line block ×8, first 2 shown]
	ds_write_b128 v238, v[139:142]
	ds_write_b128 v238, v[135:138] offset:256
	ds_write_b128 v238, v[151:154] offset:512
	;; [unrolled: 1-line block ×3, first 2 shown]
	s_waitcnt lgkmcnt(0)
	s_barrier
	buffer_gl0_inv
	s_and_saveexec_b32 s2, s3
	s_cbranch_execz .LBB191_152
; %bb.151:                              ;   in Loop: Header=BB191_102 Depth=1
	ds_read_b128 v[135:138], v179
	ds_read_b128 v[139:142], v179 offset:16
	v_ashrrev_i32_e32 v169, 31, v168
	s_waitcnt lgkmcnt(0)
	v_add_f64 v[143:144], v[139:140], v[135:136]
	v_add_f64 v[145:146], v[141:142], v[137:138]
	ds_read_b128 v[135:138], v179 offset:32
	ds_read_b128 v[139:142], v179 offset:48
	s_waitcnt lgkmcnt(1)
	v_add_f64 v[135:136], v[143:144], v[135:136]
	v_add_f64 v[137:138], v[145:146], v[137:138]
	s_waitcnt lgkmcnt(0)
	v_add_f64 v[143:144], v[135:136], v[139:140]
	v_add_f64 v[145:146], v[137:138], v[141:142]
	ds_read_b128 v[135:138], v179 offset:64
	ds_read_b128 v[139:142], v179 offset:80
	s_waitcnt lgkmcnt(1)
	v_add_f64 v[135:136], v[143:144], v[135:136]
	v_add_f64 v[137:138], v[145:146], v[137:138]
	;; [unrolled: 8-line block ×6, first 2 shown]
	s_waitcnt lgkmcnt(0)
	v_add_f64 v[143:144], v[135:136], v[139:140]
	v_add_f64 v[145:146], v[137:138], v[141:142]
	ds_read_b128 v[135:138], v179 offset:224
	ds_read_b128 v[139:142], v180
	s_waitcnt lgkmcnt(1)
	v_add_f64 v[135:136], v[143:144], v[135:136]
	v_add_f64 v[137:138], v[145:146], v[137:138]
	s_waitcnt lgkmcnt(0)
	v_add_f64 v[135:136], v[135:136], v[139:140]
	v_add_f64 v[137:138], v[137:138], v[141:142]
	v_lshlrev_b64 v[139:140], 4, v[168:169]
	v_add_co_u32 v139, vcc_lo, s7, v139
	v_add_co_ci_u32_e64 v140, null, s11, v140, vcc_lo
	global_store_dwordx4 v[139:140], v[135:138], off
.LBB191_152:                            ;   in Loop: Header=BB191_102 Depth=1
	s_or_b32 exec_lo, exec_lo, s2
	v_mul_f64 v[135:136], v[13:14], v[37:38]
	v_mul_f64 v[37:38], v[11:12], v[37:38]
	;; [unrolled: 1-line block ×4, first 2 shown]
	v_add_co_u32 v200, vcc_lo, v200, s8
	v_add_co_ci_u32_e64 v201, null, s9, v201, vcc_lo
	v_add_co_u32 v202, vcc_lo, v202, s8
	v_add_co_ci_u32_e64 v203, null, s9, v203, vcc_lo
	;; [unrolled: 2-line block ×4, first 2 shown]
	v_add_co_u32 v208, vcc_lo, v208, s8
	v_fma_f64 v[11:12], v[11:12], v[35:36], -v[135:136]
	v_fma_f64 v[13:14], v[13:14], v[35:36], v[37:38]
	v_mul_f64 v[35:36], v[17:18], v[29:30]
	v_mul_f64 v[29:30], v[15:16], v[29:30]
	v_fma_f64 v[7:8], v[7:8], v[31:32], -v[137:138]
	v_fma_f64 v[9:10], v[9:10], v[31:32], v[33:34]
	v_add_co_ci_u32_e64 v209, null, s9, v209, vcc_lo
	v_add_co_u32 v197, vcc_lo, v197, s8
	v_add_co_ci_u32_e64 v198, null, s9, v198, vcc_lo
	v_add_co_u32 v210, vcc_lo, v210, s8
	;; [unrolled: 2-line block ×4, first 2 shown]
	v_add_f64 v[2:3], v[2:3], v[11:12]
	v_add_f64 v[4:5], v[4:5], v[13:14]
	v_mul_f64 v[11:12], v[21:22], v[25:26]
	v_mul_f64 v[13:14], v[19:20], v[25:26]
	v_fma_f64 v[15:16], v[15:16], v[27:28], -v[35:36]
	v_fma_f64 v[17:18], v[17:18], v[27:28], v[29:30]
	v_add_co_ci_u32_e64 v215, null, s9, v215, vcc_lo
	v_add_co_u32 v216, vcc_lo, v216, s8
	v_add_co_ci_u32_e64 v217, null, s9, v217, vcc_lo
	v_add_co_u32 v218, vcc_lo, v218, s8
	;; [unrolled: 2-line block ×4, first 2 shown]
	v_add_f64 v[2:3], v[2:3], v[7:8]
	v_add_f64 v[4:5], v[4:5], v[9:10]
	v_mul_f64 v[7:8], v[45:46], v[69:70]
	v_mul_f64 v[9:10], v[43:44], v[69:70]
	v_fma_f64 v[11:12], v[19:20], v[23:24], -v[11:12]
	v_fma_f64 v[13:14], v[21:22], v[23:24], v[13:14]
	v_mul_f64 v[19:20], v[117:118], v[121:122]
	v_mul_f64 v[21:22], v[115:116], v[121:122]
	v_add_co_ci_u32_e64 v223, null, s9, v223, vcc_lo
	v_add_co_u32 v224, vcc_lo, v224, s8
	v_add_co_ci_u32_e64 v225, null, s9, v225, vcc_lo
	v_add_co_u32 v226, vcc_lo, v226, s8
	;; [unrolled: 2-line block ×3, first 2 shown]
	v_add_co_ci_u32_e64 v229, null, s9, v229, vcc_lo
	v_add_f64 v[2:3], v[2:3], v[15:16]
	v_add_f64 v[4:5], v[4:5], v[17:18]
	v_mul_f64 v[15:16], v[41:42], v[65:66]
	v_mul_f64 v[17:18], v[39:40], v[65:66]
	v_fma_f64 v[7:8], v[43:44], v[67:68], -v[7:8]
	v_fma_f64 v[9:10], v[45:46], v[67:68], v[9:10]
	v_add_co_u32 v230, vcc_lo, v230, s8
	v_add_co_ci_u32_e64 v231, null, s9, v231, vcc_lo
	v_add_co_u32 v232, vcc_lo, v232, s8
	v_add_co_ci_u32_e64 v233, null, s9, v233, vcc_lo
	;; [unrolled: 2-line block ×3, first 2 shown]
	v_add_co_u32 v236, vcc_lo, v236, s8
	v_add_nc_u32_e32 v168, 64, v168
	v_add_co_ci_u32_e64 v237, null, s9, v237, vcc_lo
	v_add_f64 v[2:3], v[2:3], v[11:12]
	v_add_f64 v[4:5], v[4:5], v[13:14]
	v_mul_f64 v[11:12], v[49:50], v[61:62]
	v_mul_f64 v[13:14], v[47:48], v[61:62]
	v_fma_f64 v[15:16], v[39:40], v[63:64], -v[15:16]
	v_fma_f64 v[17:18], v[41:42], v[63:64], v[17:18]
	s_add_i32 s3, s6, 2
	s_add_i32 s2, s6, 1
	;; [unrolled: 1-line block ×3, first 2 shown]
	s_cmp_ge_u32 s3, s24
	s_waitcnt_vscnt null, 0x0
	s_barrier
	buffer_gl0_inv
	v_add_f64 v[2:3], v[2:3], v[7:8]
	v_add_f64 v[4:5], v[4:5], v[9:10]
	v_mul_f64 v[7:8], v[53:54], v[57:58]
	v_mul_f64 v[9:10], v[51:52], v[57:58]
	v_fma_f64 v[11:12], v[47:48], v[59:60], -v[11:12]
	v_fma_f64 v[13:14], v[49:50], v[59:60], v[13:14]
	v_add_f64 v[2:3], v[2:3], v[15:16]
	v_add_f64 v[4:5], v[4:5], v[17:18]
	v_mul_f64 v[15:16], v[77:78], v[105:106]
	v_mul_f64 v[17:18], v[75:76], v[105:106]
	v_fma_f64 v[7:8], v[51:52], v[55:56], -v[7:8]
	v_fma_f64 v[9:10], v[53:54], v[55:56], v[9:10]
	;; [unrolled: 6-line block ×8, first 2 shown]
	v_add_f64 v[2:3], v[2:3], v[11:12]
	v_add_f64 v[4:5], v[4:5], v[13:14]
	v_fma_f64 v[11:12], v[111:112], v[123:124], -v[15:16]
	v_fma_f64 v[13:14], v[113:114], v[123:124], v[17:18]
	v_add_f64 v[2:3], v[2:3], v[7:8]
	v_add_f64 v[4:5], v[4:5], v[9:10]
	v_fma_f64 v[7:8], v[115:116], v[119:120], -v[19:20]
	v_fma_f64 v[9:10], v[117:118], v[119:120], v[21:22]
	v_add_f64 v[2:3], v[2:3], v[11:12]
	v_add_f64 v[4:5], v[4:5], v[13:14]
	;; [unrolled: 1-line block ×4, first 2 shown]
	s_cbranch_scc0 .LBB191_97
.LBB191_153:
	v_cmp_gt_i32_e32 vcc_lo, s10, v0
	v_mad_u32_u24 v1, 0x430, v1, v170
	s_or_b32 s1, s26, vcc_lo
	ds_write_b128 v1, v[2:5]
	s_and_b32 s0, s0, s1
	s_waitcnt lgkmcnt(0)
	s_barrier
	buffer_gl0_inv
	s_and_saveexec_b32 s1, s0
	s_cbranch_execz .LBB191_155
; %bb.154:
	ds_read_b128 v[0:3], v170 offset:1072
	ds_read_b128 v[4:7], v170
	v_ashrrev_i32_e32 v168, 31, v167
	s_waitcnt lgkmcnt(0)
	v_add_f64 v[8:9], v[0:1], v[4:5]
	v_add_f64 v[10:11], v[2:3], v[6:7]
	ds_read_b128 v[0:3], v170 offset:2144
	ds_read_b128 v[4:7], v170 offset:3216
	s_waitcnt lgkmcnt(1)
	v_add_f64 v[0:1], v[8:9], v[0:1]
	v_add_f64 v[2:3], v[10:11], v[2:3]
	s_waitcnt lgkmcnt(0)
	v_add_f64 v[0:1], v[0:1], v[4:5]
	v_add_f64 v[2:3], v[2:3], v[6:7]
	v_lshlrev_b64 v[4:5], 4, v[167:168]
	v_add_co_u32 v4, vcc_lo, s7, v4
	v_add_co_ci_u32_e64 v5, null, s11, v5, vcc_lo
	global_store_dwordx4 v[4:5], v[0:3], off
.LBB191_155:
	s_endpgm
	.section	.rodata,"a",@progbits
	.p2align	6, 0x0
	.amdhsa_kernel _ZL26rocblas_hemvn_kernel_upperILb0ELi64ELi4ELi33ELi32ELi16Ei19rocblas_complex_numIdEPKPKS1_PS1_EviT6_lT7_lT5_lS8_lS9_lS7_lT8_i
		.amdhsa_group_segment_fixed_size 19200
		.amdhsa_private_segment_fixed_size 0
		.amdhsa_kernarg_size 392
		.amdhsa_user_sgpr_count 6
		.amdhsa_user_sgpr_private_segment_buffer 1
		.amdhsa_user_sgpr_dispatch_ptr 0
		.amdhsa_user_sgpr_queue_ptr 0
		.amdhsa_user_sgpr_kernarg_segment_ptr 1
		.amdhsa_user_sgpr_dispatch_id 0
		.amdhsa_user_sgpr_flat_scratch_init 0
		.amdhsa_user_sgpr_private_segment_size 0
		.amdhsa_wavefront_size32 1
		.amdhsa_uses_dynamic_stack 0
		.amdhsa_system_sgpr_private_segment_wavefront_offset 0
		.amdhsa_system_sgpr_workgroup_id_x 1
		.amdhsa_system_sgpr_workgroup_id_y 0
		.amdhsa_system_sgpr_workgroup_id_z 1
		.amdhsa_system_sgpr_workgroup_info 0
		.amdhsa_system_vgpr_workitem_id 1
		.amdhsa_next_free_vgpr 239
		.amdhsa_next_free_sgpr 37
		.amdhsa_reserve_vcc 1
		.amdhsa_reserve_flat_scratch 0
		.amdhsa_float_round_mode_32 0
		.amdhsa_float_round_mode_16_64 0
		.amdhsa_float_denorm_mode_32 3
		.amdhsa_float_denorm_mode_16_64 3
		.amdhsa_dx10_clamp 1
		.amdhsa_ieee_mode 1
		.amdhsa_fp16_overflow 0
		.amdhsa_workgroup_processor_mode 1
		.amdhsa_memory_ordered 1
		.amdhsa_forward_progress 1
		.amdhsa_shared_vgpr_count 0
		.amdhsa_exception_fp_ieee_invalid_op 0
		.amdhsa_exception_fp_denorm_src 0
		.amdhsa_exception_fp_ieee_div_zero 0
		.amdhsa_exception_fp_ieee_overflow 0
		.amdhsa_exception_fp_ieee_underflow 0
		.amdhsa_exception_fp_ieee_inexact 0
		.amdhsa_exception_int_div_zero 0
	.end_amdhsa_kernel
	.section	.text._ZL26rocblas_hemvn_kernel_upperILb0ELi64ELi4ELi33ELi32ELi16Ei19rocblas_complex_numIdEPKPKS1_PS1_EviT6_lT7_lT5_lS8_lS9_lS7_lT8_i,"axG",@progbits,_ZL26rocblas_hemvn_kernel_upperILb0ELi64ELi4ELi33ELi32ELi16Ei19rocblas_complex_numIdEPKPKS1_PS1_EviT6_lT7_lT5_lS8_lS9_lS7_lT8_i,comdat
.Lfunc_end191:
	.size	_ZL26rocblas_hemvn_kernel_upperILb0ELi64ELi4ELi33ELi32ELi16Ei19rocblas_complex_numIdEPKPKS1_PS1_EviT6_lT7_lT5_lS8_lS9_lS7_lT8_i, .Lfunc_end191-_ZL26rocblas_hemvn_kernel_upperILb0ELi64ELi4ELi33ELi32ELi16Ei19rocblas_complex_numIdEPKPKS1_PS1_EviT6_lT7_lT5_lS8_lS9_lS7_lT8_i
                                        ; -- End function
	.set _ZL26rocblas_hemvn_kernel_upperILb0ELi64ELi4ELi33ELi32ELi16Ei19rocblas_complex_numIdEPKPKS1_PS1_EviT6_lT7_lT5_lS8_lS9_lS7_lT8_i.num_vgpr, 239
	.set _ZL26rocblas_hemvn_kernel_upperILb0ELi64ELi4ELi33ELi32ELi16Ei19rocblas_complex_numIdEPKPKS1_PS1_EviT6_lT7_lT5_lS8_lS9_lS7_lT8_i.num_agpr, 0
	.set _ZL26rocblas_hemvn_kernel_upperILb0ELi64ELi4ELi33ELi32ELi16Ei19rocblas_complex_numIdEPKPKS1_PS1_EviT6_lT7_lT5_lS8_lS9_lS7_lT8_i.numbered_sgpr, 37
	.set _ZL26rocblas_hemvn_kernel_upperILb0ELi64ELi4ELi33ELi32ELi16Ei19rocblas_complex_numIdEPKPKS1_PS1_EviT6_lT7_lT5_lS8_lS9_lS7_lT8_i.num_named_barrier, 0
	.set _ZL26rocblas_hemvn_kernel_upperILb0ELi64ELi4ELi33ELi32ELi16Ei19rocblas_complex_numIdEPKPKS1_PS1_EviT6_lT7_lT5_lS8_lS9_lS7_lT8_i.private_seg_size, 0
	.set _ZL26rocblas_hemvn_kernel_upperILb0ELi64ELi4ELi33ELi32ELi16Ei19rocblas_complex_numIdEPKPKS1_PS1_EviT6_lT7_lT5_lS8_lS9_lS7_lT8_i.uses_vcc, 1
	.set _ZL26rocblas_hemvn_kernel_upperILb0ELi64ELi4ELi33ELi32ELi16Ei19rocblas_complex_numIdEPKPKS1_PS1_EviT6_lT7_lT5_lS8_lS9_lS7_lT8_i.uses_flat_scratch, 0
	.set _ZL26rocblas_hemvn_kernel_upperILb0ELi64ELi4ELi33ELi32ELi16Ei19rocblas_complex_numIdEPKPKS1_PS1_EviT6_lT7_lT5_lS8_lS9_lS7_lT8_i.has_dyn_sized_stack, 0
	.set _ZL26rocblas_hemvn_kernel_upperILb0ELi64ELi4ELi33ELi32ELi16Ei19rocblas_complex_numIdEPKPKS1_PS1_EviT6_lT7_lT5_lS8_lS9_lS7_lT8_i.has_recursion, 0
	.set _ZL26rocblas_hemvn_kernel_upperILb0ELi64ELi4ELi33ELi32ELi16Ei19rocblas_complex_numIdEPKPKS1_PS1_EviT6_lT7_lT5_lS8_lS9_lS7_lT8_i.has_indirect_call, 0
	.section	.AMDGPU.csdata,"",@progbits
; Kernel info:
; codeLenInByte = 11728
; TotalNumSgprs: 39
; NumVgprs: 239
; ScratchSize: 0
; MemoryBound: 1
; FloatMode: 240
; IeeeMode: 1
; LDSByteSize: 19200 bytes/workgroup (compile time only)
; SGPRBlocks: 0
; VGPRBlocks: 29
; NumSGPRsForWavesPerEU: 39
; NumVGPRsForWavesPerEU: 239
; Occupancy: 4
; WaveLimiterHint : 0
; COMPUTE_PGM_RSRC2:SCRATCH_EN: 0
; COMPUTE_PGM_RSRC2:USER_SGPR: 6
; COMPUTE_PGM_RSRC2:TRAP_HANDLER: 0
; COMPUTE_PGM_RSRC2:TGID_X_EN: 1
; COMPUTE_PGM_RSRC2:TGID_Y_EN: 0
; COMPUTE_PGM_RSRC2:TGID_Z_EN: 1
; COMPUTE_PGM_RSRC2:TIDIG_COMP_CNT: 1
	.section	.text._ZL26rocblas_hemvn_kernel_lowerILb0ELi64ELi4ELi33ELi32ELi16ElPK19rocblas_complex_numIdEPKS3_PS1_EviT6_lT7_lT5_lS8_lS9_lS7_lT8_i,"axG",@progbits,_ZL26rocblas_hemvn_kernel_lowerILb0ELi64ELi4ELi33ELi32ELi16ElPK19rocblas_complex_numIdEPKS3_PS1_EviT6_lT7_lT5_lS8_lS9_lS7_lT8_i,comdat
	.globl	_ZL26rocblas_hemvn_kernel_lowerILb0ELi64ELi4ELi33ELi32ELi16ElPK19rocblas_complex_numIdEPKS3_PS1_EviT6_lT7_lT5_lS8_lS9_lS7_lT8_i ; -- Begin function _ZL26rocblas_hemvn_kernel_lowerILb0ELi64ELi4ELi33ELi32ELi16ElPK19rocblas_complex_numIdEPKS3_PS1_EviT6_lT7_lT5_lS8_lS9_lS7_lT8_i
	.p2align	8
	.type	_ZL26rocblas_hemvn_kernel_lowerILb0ELi64ELi4ELi33ELi32ELi16ElPK19rocblas_complex_numIdEPKS3_PS1_EviT6_lT7_lT5_lS8_lS9_lS7_lT8_i,@function
_ZL26rocblas_hemvn_kernel_lowerILb0ELi64ELi4ELi33ELi32ELi16ElPK19rocblas_complex_numIdEPKS3_PS1_EviT6_lT7_lT5_lS8_lS9_lS7_lT8_i: ; @_ZL26rocblas_hemvn_kernel_lowerILb0ELi64ELi4ELi33ELi32ELi16ElPK19rocblas_complex_numIdEPKS3_PS1_EviT6_lT7_lT5_lS8_lS9_lS7_lT8_i
; %bb.0:
	s_load_dwordx2 s[0:1], s[4:5], 0x84
	s_add_u32 s22, s4, 0x78
	s_addc_u32 s23, s5, 0
	s_waitcnt lgkmcnt(0)
	s_lshr_b32 s2, s0, 16
	s_and_b32 s0, s0, 0xffff
	s_and_b32 s1, s1, 0xffff
	s_mul_i32 s0, s2, s0
	s_mul_i32 s0, s0, s1
	s_cmpk_lg_i32 s0, 0x100
	s_cbranch_scc1 .LBB192_104
; %bb.1:
	s_load_dwordx8 s[8:15], s[4:5], 0x8
	s_mov_b32 s16, s7
	s_mov_b32 s17, 0
	s_waitcnt lgkmcnt(0)
	s_mul_i32 s1, s11, s7
	s_mul_hi_u32 s2, s10, s7
	s_mul_i32 s0, s10, s7
	s_add_i32 s1, s2, s1
	s_lshl_b64 s[0:1], s[0:1], 4
	s_add_u32 s0, s8, s0
	s_addc_u32 s1, s9, s1
	s_load_dwordx4 s[0:3], s[0:1], 0x0
	s_waitcnt lgkmcnt(0)
	v_cmp_neq_f64_e64 s7, s[0:1], 0
	v_cmp_neq_f64_e64 s8, s[2:3], 0
	s_clause 0x1
	s_load_dwordx2 s[18:19], s[4:5], 0x68
	s_load_dwordx4 s[0:3], s[4:5], 0x58
	s_or_b32 s7, s7, s8
	s_and_b32 vcc_lo, exec_lo, s7
	s_mov_b32 s7, -1
	s_cbranch_vccnz .LBB192_3
; %bb.2:
	s_waitcnt lgkmcnt(0)
	s_mul_i32 s3, s3, s16
	s_mul_hi_u32 s7, s2, s16
	s_mul_i32 s2, s2, s16
	s_add_i32 s3, s7, s3
	s_mov_b32 s7, 0
	s_lshl_b64 s[2:3], s[2:3], 4
	s_add_u32 s0, s0, s2
	s_addc_u32 s1, s1, s3
	s_load_dwordx4 s[0:3], s[0:1], 0x0
	s_waitcnt lgkmcnt(0)
	v_cmp_eq_f64_e64 s0, s[0:1], 1.0
	v_cmp_eq_f64_e64 s1, s[2:3], 0
	s_and_b32 s0, s0, s1
	s_andn2_b32 vcc_lo, exec_lo, s0
.LBB192_3:
	s_andn2_b32 vcc_lo, exec_lo, s7
	s_cbranch_vccnz .LBB192_104
; %bb.4:
	s_waitcnt lgkmcnt(0)
	s_load_dwordx4 s[0:3], s[4:5], 0x38
	s_lshl_b64 s[8:9], s[16:17], 3
	s_load_dword s17, s[4:5], 0x0
	s_add_u32 s24, s12, s8
	s_addc_u32 s25, s13, s9
	s_load_dwordx2 s[10:11], s[4:5], 0x48
	s_load_dword s26, s[22:23], 0x0
	s_waitcnt lgkmcnt(0)
	s_add_u32 s0, s0, s8
	s_addc_u32 s1, s1, s9
	s_lshl_b64 s[2:3], s[2:3], 4
	s_load_dwordx2 s[0:1], s[0:1], 0x0
	s_waitcnt lgkmcnt(0)
	s_add_u32 s7, s0, s2
	s_addc_u32 s1, s1, s3
	s_lshl_b32 s20, s6, 6
	s_load_dwordx2 s[12:13], s[4:5], 0x28
	s_load_dwordx2 s[2:3], s[24:25], 0x0
	v_add_nc_u32_e32 v138, s20, v0
	s_ashr_i32 s27, s17, 31
	s_add_i32 s5, s26, -1
	s_lshr_b32 s0, s27, 26
	v_ashrrev_i32_e32 v139, 31, v138
	v_mul_lo_u32 v4, s11, v138
	v_mad_u64_u32 v[2:3], null, s10, v138, 0
	s_add_i32 s4, s17, s0
	v_mul_lo_u32 v5, s10, v139
	s_andn2_b32 s4, s4, 63
	v_cmp_ne_u32_e64 s0, 0, v1
	s_sub_i32 s8, s17, s4
	s_cmp_eq_u32 s6, s5
	s_mov_b32 s4, -1
	s_cselect_b32 s22, s8, 0
	v_add3_u32 v3, v3, v5, v4
	v_lshlrev_b64 v[2:3], 4, v[2:3]
	v_add_co_u32 v38, vcc_lo, s7, v2
	v_add_co_ci_u32_e64 v39, null, s1, v3, vcc_lo
	v_cmp_eq_u32_e64 s1, 0, v1
	s_and_saveexec_b32 s5, s1
	s_cbranch_execz .LBB192_9
; %bb.5:
	v_cmp_le_i32_e32 vcc_lo, s22, v0
	s_cmp_lg_u32 s22, 0
	v_lshl_add_u32 v2, v0, 4, 0x4700
	s_cselect_b32 s7, -1, 0
	s_and_b32 s7, s7, vcc_lo
	s_and_saveexec_b32 s8, s7
	s_xor_b32 s7, exec_lo, s8
	s_cbranch_execz .LBB192_7
; %bb.6:
	v_mov_b32_e32 v3, 0
	v_mov_b32_e32 v4, v3
	;; [unrolled: 1-line block ×4, first 2 shown]
	ds_write_b128 v2, v[3:6]
                                        ; implicit-def: $vgpr2
.LBB192_7:
	s_andn2_saveexec_b32 s7, s7
	s_cbranch_execz .LBB192_9
; %bb.8:
	flat_load_dwordx4 v[3:6], v[38:39]
	s_waitcnt vmcnt(0) lgkmcnt(0)
	ds_write2_b64 v2, v[3:4], v[5:6] offset1:1
.LBB192_9:
	s_or_b32 exec_lo, exec_lo, s5
	v_lshl_add_u32 v44, v1, 6, v0
	v_and_b32_e32 v6, 31, v0
	v_mov_b32_e32 v7, 0
	s_lshl_b64 s[8:9], s[14:15], 4
	s_waitcnt lgkmcnt(0)
	s_mul_hi_u32 s5, s12, s20
	v_lshrrev_b32_e32 v11, 5, v44
	s_add_u32 s7, s2, s8
	s_addc_u32 s8, s3, s9
	s_ashr_i32 s21, s20, 31
	s_mul_i32 s9, s13, s20
	v_mad_u64_u32 v[2:3], null, s12, v11, v[6:7]
	s_lshl_b64 s[2:3], s[20:21], 4
	s_mul_i32 s14, s12, s21
	s_add_u32 s7, s7, s2
	s_addc_u32 s8, s8, s3
	s_add_i32 s3, s5, s14
	s_mul_i32 s2, s12, s20
	v_mad_u64_u32 v[3:4], null, s13, v11, v[3:4]
	s_add_i32 s3, s3, s9
	s_lshl_b64 s[14:15], s[2:3], 4
	s_cmp_lg_u32 s22, 0
	s_cselect_b32 s28, -1, 0
	v_lshlrev_b64 v[40:41], 4, v[2:3]
	s_cmp_eq_u32 s22, 0
	v_add_co_u32 v2, vcc_lo, s7, v40
	v_add_co_ci_u32_e64 v3, null, s8, v41, vcc_lo
	s_cselect_b32 s8, -1, 0
	v_add_co_u32 v7, vcc_lo, v2, s14
	v_add_co_ci_u32_e64 v8, null, s15, v3, vcc_lo
	s_and_b32 vcc_lo, exec_lo, s28
	s_cbranch_vccnz .LBB192_11
; %bb.10:
	flat_load_dwordx4 v[2:5], v[7:8]
	v_mul_u32_u24_e32 v9, 0x210, v11
	s_lshl_b64 s[2:3], s[12:13], 7
	s_mov_b32 s4, 0
	v_lshl_add_u32 v12, v6, 4, v9
	v_add_co_u32 v9, vcc_lo, v7, s2
	v_add_co_ci_u32_e64 v10, null, s3, v8, vcc_lo
	v_add_nc_u32_e32 v13, 0x1080, v12
	s_waitcnt vmcnt(0) lgkmcnt(0)
	ds_write2_b64 v12, v[2:3], v[4:5] offset1:1
	flat_load_dwordx4 v[2:5], v[9:10]
	v_add_co_u32 v9, vcc_lo, v9, s2
	v_add_co_ci_u32_e64 v10, null, s3, v10, vcc_lo
	s_waitcnt vmcnt(0) lgkmcnt(0)
	ds_write2_b64 v13, v[2:3], v[4:5] offset1:1
	flat_load_dwordx4 v[2:5], v[9:10]
	v_add_co_u32 v9, vcc_lo, v9, s2
	v_add_nc_u32_e32 v13, 0x2100, v12
	v_add_co_ci_u32_e64 v10, null, s3, v10, vcc_lo
	s_waitcnt vmcnt(0) lgkmcnt(0)
	ds_write2_b64 v13, v[2:3], v[4:5] offset1:1
	flat_load_dwordx4 v[2:5], v[9:10]
	v_add_nc_u32_e32 v9, 0x3180, v12
	s_waitcnt vmcnt(0) lgkmcnt(0)
	ds_write2_b64 v9, v[2:3], v[4:5] offset1:1
.LBB192_11:
	v_lshlrev_b32_e32 v12, 4, v6
	s_andn2_b32 vcc_lo, exec_lo, s4
	s_cbranch_vccnz .LBB192_29
; %bb.12:
	v_lshlrev_b32_e32 v4, 4, v6
	s_ashr_i32 s23, s22, 31
	v_cmp_le_i32_e64 s2, s22, v11
	s_lshl_b64 s[4:5], s[22:23], 4
	v_mad_u32_u24 v5, 0x210, v11, v12
	v_sub_co_u32 v2, vcc_lo, v7, v4
	v_subrev_co_ci_u32_e64 v3, null, 0, v8, vcc_lo
	v_add_co_u32 v2, vcc_lo, v2, s4
	v_add_co_ci_u32_e64 v3, null, s5, v3, vcc_lo
	v_add_co_u32 v2, vcc_lo, v2, -16
	v_add_co_ci_u32_e64 v3, null, -1, v3, vcc_lo
	v_cmp_gt_i32_e32 vcc_lo, s22, v6
	v_cndmask_b32_e32 v3, v3, v8, vcc_lo
	v_cndmask_b32_e32 v2, v2, v7, vcc_lo
	s_and_saveexec_b32 s3, s2
	s_xor_b32 s2, exec_lo, s3
	s_cbranch_execz .LBB192_14
; %bb.13:
	v_mov_b32_e32 v13, 0
	v_mov_b32_e32 v14, v13
	;; [unrolled: 1-line block ×4, first 2 shown]
	ds_write_b128 v5, v[13:16]
                                        ; implicit-def: $vgpr5
.LBB192_14:
	s_andn2_saveexec_b32 s2, s2
	s_cbranch_execz .LBB192_16
; %bb.15:
	flat_load_dwordx4 v[13:16], v[2:3]
	s_waitcnt vmcnt(0) lgkmcnt(0)
	ds_write2_b64 v5, v[13:14], v[15:16] offset1:1
.LBB192_16:
	s_or_b32 exec_lo, exec_lo, s2
	v_add_nc_u32_e32 v9, 8, v11
	v_mul_u32_u24_e32 v5, 0x210, v11
	v_cmp_le_i32_e64 s2, s22, v9
	s_and_saveexec_b32 s3, s2
	s_xor_b32 s2, exec_lo, s3
	s_cbranch_execz .LBB192_18
; %bb.17:
	v_mov_b32_e32 v13, 0
	v_add_nc_u32_e32 v9, v5, v12
	v_mov_b32_e32 v14, v13
	v_mov_b32_e32 v15, v13
	;; [unrolled: 1-line block ×3, first 2 shown]
	ds_write_b128 v9, v[13:16] offset:4224
.LBB192_18:
	s_andn2_saveexec_b32 s3, s2
	s_cbranch_execz .LBB192_20
; %bb.19:
	s_lshl_b64 s[24:25], s[12:13], 7
	v_add_co_u32 v9, s2, v2, s24
	v_add_co_ci_u32_e64 v10, null, s25, v3, s2
	flat_load_dwordx4 v[13:16], v[9:10]
	v_add3_u32 v9, v5, v12, 0x1080
	s_waitcnt vmcnt(0) lgkmcnt(0)
	ds_write2_b64 v9, v[13:14], v[15:16] offset1:1
.LBB192_20:
	s_or_b32 exec_lo, exec_lo, s3
	v_add_nc_u32_e32 v9, 16, v11
	v_cmp_le_i32_e64 s2, s22, v9
	s_and_saveexec_b32 s3, s2
	s_xor_b32 s2, exec_lo, s3
	s_cbranch_execz .LBB192_22
; %bb.21:
	v_mov_b32_e32 v13, 0
	v_add_nc_u32_e32 v9, v5, v12
	v_mov_b32_e32 v14, v13
	v_mov_b32_e32 v15, v13
	;; [unrolled: 1-line block ×3, first 2 shown]
	ds_write_b128 v9, v[13:16] offset:8448
.LBB192_22:
	s_andn2_saveexec_b32 s3, s2
	s_cbranch_execz .LBB192_24
; %bb.23:
	s_lshl_b64 s[24:25], s[12:13], 8
	v_add_co_u32 v9, s2, v2, s24
	v_add_co_ci_u32_e64 v10, null, s25, v3, s2
	flat_load_dwordx4 v[13:16], v[9:10]
	v_add3_u32 v9, v5, v12, 0x2100
	s_waitcnt vmcnt(0) lgkmcnt(0)
	ds_write2_b64 v9, v[13:14], v[15:16] offset1:1
.LBB192_24:
	s_or_b32 exec_lo, exec_lo, s3
	v_add_nc_u32_e32 v9, 24, v11
	v_cmp_le_i32_e64 s2, s22, v9
	s_and_saveexec_b32 s3, s2
	s_xor_b32 s2, exec_lo, s3
	s_cbranch_execz .LBB192_26
; %bb.25:
	v_mov_b32_e32 v13, 0
	v_add_nc_u32_e32 v5, v5, v12
	v_mov_b32_e32 v14, v13
	v_mov_b32_e32 v15, v13
	;; [unrolled: 1-line block ×3, first 2 shown]
	ds_write_b128 v5, v[13:16] offset:12672
                                        ; implicit-def: $vgpr5
.LBB192_26:
	s_andn2_saveexec_b32 s2, s2
	s_cbranch_execz .LBB192_28
; %bb.27:
	v_mad_u64_u32 v[9:10], null, 0x180, s12, v[2:3]
	v_add3_u32 v5, v5, v12, 0x3180
	v_mad_u64_u32 v[13:14], null, 0x180, s13, v[10:11]
	v_mov_b32_e32 v10, v13
	flat_load_dwordx4 v[13:16], v[9:10]
	s_waitcnt vmcnt(0) lgkmcnt(0)
	ds_write2_b64 v5, v[13:14], v[15:16] offset1:1
.LBB192_28:
	s_or_b32 exec_lo, exec_lo, s2
	v_add_co_u32 v2, s2, v2, v4
	v_add_co_ci_u32_e64 v3, null, 0, v3, s2
	v_sub_co_u32 v2, s2, v2, s4
	v_subrev_co_ci_u32_e64 v3, null, s5, v3, s2
	v_add_co_u32 v2, s2, v2, 16
	v_add_co_ci_u32_e64 v3, null, 0, v3, s2
	v_cndmask_b32_e32 v7, v2, v7, vcc_lo
	v_cndmask_b32_e32 v8, v3, v8, vcc_lo
.LBB192_29:
	v_lshlrev_b32_e32 v13, 2, v11
	v_lshl_or_b32 v3, v6, 9, v12
	v_mad_u32_u24 v15, 0x840, v11, v12
	s_waitcnt lgkmcnt(0)
	s_barrier
	v_cmp_lt_u32_e64 s3, v13, v6
	buffer_gl0_inv
	s_and_saveexec_b32 s2, s3
	s_cbranch_execz .LBB192_31
; %bb.30:
	ds_read_b128 v[16:19], v15
	v_lshl_add_u32 v2, v13, 4, v3
	s_waitcnt lgkmcnt(0)
	ds_write_b128 v2, v[16:19]
.LBB192_31:
	s_or_b32 exec_lo, exec_lo, s2
	v_or_b32_e32 v2, 1, v13
	v_cmp_lt_u32_e64 s4, v2, v6
	v_mad_u32_u24 v16, 0x210, v2, v12
	s_and_saveexec_b32 s2, s4
	s_cbranch_execz .LBB192_33
; %bb.32:
	ds_read_b128 v[17:20], v16
	v_lshl_add_u32 v2, v13, 4, v3
	s_waitcnt lgkmcnt(0)
	ds_write_b128 v2, v[17:20] offset:16
.LBB192_33:
	s_or_b32 exec_lo, exec_lo, s2
	v_or_b32_e32 v2, 2, v13
	v_cmp_lt_u32_e64 s5, v2, v6
	s_and_saveexec_b32 s2, s5
	s_cbranch_execz .LBB192_35
; %bb.34:
	v_mad_u32_u24 v2, 0x210, v2, v12
	ds_read_b128 v[17:20], v2
	v_lshl_add_u32 v2, v13, 4, v3
	s_waitcnt lgkmcnt(0)
	ds_write_b128 v2, v[17:20] offset:32
.LBB192_35:
	s_or_b32 exec_lo, exec_lo, s2
	v_or_b32_e32 v4, 3, v13
	s_mov_b32 s2, exec_lo
                                        ; implicit-def: $vgpr2
	v_cmp_lt_u32_e64 s7, v4, v6
	v_cmpx_ge_u32_e64 v4, v6
	s_xor_b32 s2, exec_lo, s2
; %bb.36:
	v_mul_u32_u24_e32 v2, 0x210, v4
                                        ; implicit-def: $vgpr3
                                        ; implicit-def: $vgpr4
; %bb.37:
	s_andn2_saveexec_b32 s2, s2
	s_cbranch_execz .LBB192_39
; %bb.38:
	v_mad_u32_u24 v2, 0x210, v4, v12
	v_lshl_add_u32 v3, v13, 4, v3
	ds_read_b128 v[17:20], v2
	v_mul_u32_u24_e32 v2, 0x210, v4
	s_waitcnt lgkmcnt(0)
	ds_write_b128 v3, v[17:20] offset:48
.LBB192_39:
	s_or_b32 exec_lo, exec_lo, s2
	v_lshlrev_b32_e32 v19, 4, v13
	s_waitcnt lgkmcnt(0)
	s_barrier
	buffer_gl0_inv
	ds_read_b128 v[20:23], v15
	ds_read_b128 v[24:27], v19 offset:18176
	v_add_nc_u32_e32 v17, v12, v2
	ds_read_b128 v[2:5], v16 offset:528
	ds_read_b128 v[28:31], v19 offset:18192
	ds_read_b128 v[32:35], v16
	ds_read_b128 v[45:48], v17
	ds_read_b128 v[49:52], v19 offset:18208
	v_cmp_gt_u32_e64 s2, 32, v44
	s_waitcnt lgkmcnt(5)
	v_mul_f64 v[9:10], v[26:27], v[22:23]
	v_mul_f64 v[22:23], v[24:25], v[22:23]
	s_waitcnt lgkmcnt(2)
	v_mul_f64 v[36:37], v[30:31], v[34:35]
	v_mul_f64 v[34:35], v[28:29], v[34:35]
	v_fma_f64 v[9:10], v[24:25], v[20:21], -v[9:10]
	v_fma_f64 v[24:25], v[26:27], v[20:21], v[22:23]
	ds_read_b128 v[20:23], v19 offset:18224
	s_waitcnt lgkmcnt(1)
	v_mul_f64 v[26:27], v[51:52], v[4:5]
	v_mul_f64 v[4:5], v[49:50], v[4:5]
	v_fma_f64 v[28:29], v[28:29], v[32:33], -v[36:37]
	v_fma_f64 v[30:31], v[30:31], v[32:33], v[34:35]
	s_waitcnt lgkmcnt(0)
	s_barrier
	buffer_gl0_inv
	v_mul_f64 v[32:33], v[22:23], v[47:48]
	v_add_f64 v[9:10], v[9:10], 0
	v_add_f64 v[24:25], v[24:25], 0
	v_mul_f64 v[34:35], v[20:21], v[47:48]
	v_fma_f64 v[26:27], v[49:50], v[2:3], -v[26:27]
	v_fma_f64 v[2:3], v[51:52], v[2:3], v[4:5]
	v_fma_f64 v[20:21], v[20:21], v[45:46], -v[32:33]
	v_add_f64 v[4:5], v[9:10], v[28:29]
	v_add_f64 v[9:10], v[24:25], v[30:31]
	v_fma_f64 v[22:23], v[22:23], v[45:46], v[34:35]
	v_add_f64 v[4:5], v[4:5], v[26:27]
	v_add_f64 v[2:3], v[9:10], v[2:3]
	;; [unrolled: 1-line block ×4, first 2 shown]
	v_mul_u32_u24_e32 v2, 33, v6
	v_mov_b32_e32 v4, 0
	v_mov_b32_e32 v5, 0
	v_lshlrev_b32_e32 v45, 4, v2
	v_mov_b32_e32 v2, 0
	v_mov_b32_e32 v3, 0
	v_lshl_add_u32 v46, v11, 4, v45
	ds_write_b128 v46, v[20:23]
	s_waitcnt lgkmcnt(0)
	s_barrier
	buffer_gl0_inv
	s_and_saveexec_b32 s9, s2
	s_cbranch_execz .LBB192_41
; %bb.40:
	ds_read_b128 v[2:5], v45
	ds_read_b128 v[20:23], v45 offset:16
	s_waitcnt lgkmcnt(0)
	v_add_f64 v[9:10], v[20:21], v[2:3]
	v_add_f64 v[24:25], v[22:23], v[4:5]
	ds_read_b128 v[2:5], v45 offset:32
	ds_read_b128 v[20:23], v45 offset:48
	s_waitcnt lgkmcnt(1)
	v_add_f64 v[2:3], v[9:10], v[2:3]
	v_add_f64 v[4:5], v[24:25], v[4:5]
	s_waitcnt lgkmcnt(0)
	v_add_f64 v[9:10], v[2:3], v[20:21]
	v_add_f64 v[24:25], v[4:5], v[22:23]
	ds_read_b128 v[2:5], v45 offset:64
	ds_read_b128 v[20:23], v45 offset:80
	s_waitcnt lgkmcnt(1)
	v_add_f64 v[2:3], v[9:10], v[2:3]
	v_add_f64 v[4:5], v[24:25], v[4:5]
	;; [unrolled: 8-line block ×3, first 2 shown]
	s_waitcnt lgkmcnt(0)
	v_add_f64 v[2:3], v[2:3], v[20:21]
	v_add_f64 v[4:5], v[4:5], v[22:23]
.LBB192_41:
	s_or_b32 exec_lo, exec_lo, s9
	s_lshl_b64 s[24:25], s[12:13], 9
	v_cndmask_b32_e64 v18, 0, 1, s8
	v_add_co_u32 v9, vcc_lo, v7, s24
	v_add_co_ci_u32_e64 v10, null, s25, v8, vcc_lo
	v_mad_u32_u24 v14, 0x210, v11, v12
	v_add_co_u32 v7, vcc_lo, 0x200, v9
	v_add_co_ci_u32_e64 v8, null, 0, v10, vcc_lo
	s_andn2_b32 vcc_lo, exec_lo, s8
	s_mov_b32 s8, -1
	s_barrier
	buffer_gl0_inv
	s_cbranch_vccnz .LBB192_43
; %bb.42:
	flat_load_dwordx4 v[20:23], v[7:8]
	s_lshl_b64 s[8:9], s[12:13], 7
	v_add_nc_u32_e32 v26, 0x1080, v14
	v_add_co_u32 v24, vcc_lo, v9, s8
	v_add_co_ci_u32_e64 v25, null, s9, v10, vcc_lo
	s_waitcnt vmcnt(0) lgkmcnt(0)
	ds_write2_b64 v14, v[20:21], v[22:23] offset1:1
	flat_load_dwordx4 v[20:23], v[24:25] offset:512
	v_add_co_u32 v24, vcc_lo, v24, s8
	v_add_co_ci_u32_e64 v25, null, s9, v25, vcc_lo
	s_waitcnt vmcnt(0) lgkmcnt(0)
	ds_write2_b64 v26, v[20:21], v[22:23] offset1:1
	flat_load_dwordx4 v[20:23], v[24:25] offset:512
	v_add_co_u32 v24, vcc_lo, v24, s8
	v_add_nc_u32_e32 v26, 0x2100, v14
	v_add_co_ci_u32_e64 v25, null, s9, v25, vcc_lo
	s_mov_b32 s8, 0
	s_waitcnt vmcnt(0) lgkmcnt(0)
	ds_write2_b64 v26, v[20:21], v[22:23] offset1:1
	flat_load_dwordx4 v[20:23], v[24:25] offset:512
	v_add_nc_u32_e32 v24, 0x3180, v14
	s_waitcnt vmcnt(0) lgkmcnt(0)
	ds_write2_b64 v24, v[20:21], v[22:23] offset1:1
.LBB192_43:
	s_andn2_b32 vcc_lo, exec_lo, s8
	s_cbranch_vccnz .LBB192_61
; %bb.44:
	v_lshlrev_b32_e32 v20, 4, v6
	s_ashr_i32 s23, s22, 31
	v_or_b32_e32 v21, 32, v6
	s_lshl_b64 s[24:25], s[22:23], 4
	s_sub_i32 s9, s22, 32
	v_sub_co_u32 v9, vcc_lo, v9, v20
	v_subrev_co_ci_u32_e64 v10, null, 0, v10, vcc_lo
	v_cmp_le_i32_e64 s8, s9, v11
	v_add_co_u32 v9, vcc_lo, v9, s24
	v_add_co_ci_u32_e64 v10, null, s25, v10, vcc_lo
	v_add_co_u32 v9, vcc_lo, v9, -16
	v_add_co_ci_u32_e64 v10, null, -1, v10, vcc_lo
	v_cmp_gt_i32_e32 vcc_lo, s22, v21
	v_cndmask_b32_e32 v10, v10, v8, vcc_lo
	v_cndmask_b32_e32 v9, v9, v7, vcc_lo
	s_and_saveexec_b32 s23, s8
	s_xor_b32 s8, exec_lo, s23
	s_cbranch_execz .LBB192_46
; %bb.45:
	v_mov_b32_e32 v21, 0
	v_mov_b32_e32 v22, v21
	;; [unrolled: 1-line block ×4, first 2 shown]
	ds_write_b128 v14, v[21:24]
.LBB192_46:
	s_andn2_saveexec_b32 s8, s8
	s_cbranch_execz .LBB192_48
; %bb.47:
	flat_load_dwordx4 v[21:24], v[9:10]
	s_waitcnt vmcnt(0) lgkmcnt(0)
	ds_write2_b64 v14, v[21:22], v[23:24] offset1:1
.LBB192_48:
	s_or_b32 exec_lo, exec_lo, s8
	v_add_nc_u32_e32 v22, 8, v11
	v_mul_u32_u24_e32 v21, 0x210, v11
	v_cmp_le_i32_e64 s8, s9, v22
	s_and_saveexec_b32 s23, s8
	s_xor_b32 s8, exec_lo, s23
	s_cbranch_execz .LBB192_50
; %bb.49:
	v_mov_b32_e32 v22, 0
	v_add_nc_u32_e32 v26, v21, v12
	v_mov_b32_e32 v23, v22
	v_mov_b32_e32 v24, v22
	;; [unrolled: 1-line block ×3, first 2 shown]
	ds_write_b128 v26, v[22:25] offset:4224
.LBB192_50:
	s_andn2_saveexec_b32 s23, s8
	s_cbranch_execz .LBB192_52
; %bb.51:
	s_lshl_b64 s[30:31], s[12:13], 7
	v_add3_u32 v26, v21, v12, 0x1080
	v_add_co_u32 v22, s8, v9, s30
	v_add_co_ci_u32_e64 v23, null, s31, v10, s8
	flat_load_dwordx4 v[22:25], v[22:23]
	s_waitcnt vmcnt(0) lgkmcnt(0)
	ds_write2_b64 v26, v[22:23], v[24:25] offset1:1
.LBB192_52:
	s_or_b32 exec_lo, exec_lo, s23
	v_add_nc_u32_e32 v22, 16, v11
	v_cmp_le_i32_e64 s8, s9, v22
	s_and_saveexec_b32 s23, s8
	s_xor_b32 s8, exec_lo, s23
	s_cbranch_execz .LBB192_54
; %bb.53:
	v_mov_b32_e32 v22, 0
	v_add_nc_u32_e32 v26, v21, v12
	v_mov_b32_e32 v23, v22
	v_mov_b32_e32 v24, v22
	;; [unrolled: 1-line block ×3, first 2 shown]
	ds_write_b128 v26, v[22:25] offset:8448
.LBB192_54:
	s_andn2_saveexec_b32 s23, s8
	s_cbranch_execz .LBB192_56
; %bb.55:
	s_lshl_b64 s[30:31], s[12:13], 8
	v_add3_u32 v26, v21, v12, 0x2100
	v_add_co_u32 v22, s8, v9, s30
	v_add_co_ci_u32_e64 v23, null, s31, v10, s8
	flat_load_dwordx4 v[22:25], v[22:23]
	s_waitcnt vmcnt(0) lgkmcnt(0)
	ds_write2_b64 v26, v[22:23], v[24:25] offset1:1
.LBB192_56:
	s_or_b32 exec_lo, exec_lo, s23
	v_add_nc_u32_e32 v22, 24, v11
	v_cmp_le_i32_e64 s8, s9, v22
	s_and_saveexec_b32 s9, s8
	s_xor_b32 s8, exec_lo, s9
	s_cbranch_execz .LBB192_58
; %bb.57:
	v_mov_b32_e32 v22, 0
	v_add_nc_u32_e32 v21, v21, v12
	v_mov_b32_e32 v23, v22
	v_mov_b32_e32 v24, v22
	;; [unrolled: 1-line block ×3, first 2 shown]
	ds_write_b128 v21, v[22:25] offset:12672
                                        ; implicit-def: $vgpr21
.LBB192_58:
	s_andn2_saveexec_b32 s8, s8
	s_cbranch_execz .LBB192_60
; %bb.59:
	v_mad_u64_u32 v[22:23], null, 0x180, s12, v[9:10]
	v_add3_u32 v21, v21, v12, 0x3180
	v_mad_u64_u32 v[23:24], null, 0x180, s13, v[23:24]
	flat_load_dwordx4 v[22:25], v[22:23]
	s_waitcnt vmcnt(0) lgkmcnt(0)
	ds_write2_b64 v21, v[22:23], v[24:25] offset1:1
.LBB192_60:
	s_or_b32 exec_lo, exec_lo, s8
	v_add_co_u32 v9, s8, v9, v20
	v_add_co_ci_u32_e64 v10, null, 0, v10, s8
	v_sub_co_u32 v9, s8, v9, s24
	v_subrev_co_ci_u32_e64 v10, null, s25, v10, s8
	v_add_co_u32 v9, s8, 0x210, v9
	v_add_co_ci_u32_e64 v10, null, 0, v10, s8
	v_cndmask_b32_e32 v7, v9, v7, vcc_lo
	v_cndmask_b32_e32 v8, v10, v8, vcc_lo
.LBB192_61:
	v_add_nc_u32_e32 v9, 0x4700, v19
	v_add_nc_u32_e32 v10, 0x210, v16
	s_lshl_b64 s[8:9], s[12:13], 5
	s_waitcnt lgkmcnt(0)
	s_barrier
	buffer_gl0_inv
	s_and_saveexec_b32 s23, s3
	s_cbranch_execnz .LBB192_70
; %bb.62:
	s_or_b32 exec_lo, exec_lo, s23
	s_and_saveexec_b32 s3, s4
	s_cbranch_execnz .LBB192_71
.LBB192_63:
	s_or_b32 exec_lo, exec_lo, s3
	s_and_saveexec_b32 s3, s5
	s_cbranch_execnz .LBB192_72
.LBB192_64:
	s_or_b32 exec_lo, exec_lo, s3
	s_and_saveexec_b32 s3, s7
	s_cbranch_execz .LBB192_66
.LBB192_65:
	ds_read_b128 v[19:22], v17
	v_lshl_add_u32 v23, v13, 4, v45
	s_waitcnt lgkmcnt(0)
	ds_write_b128 v23, v[19:22] offset:48
.LBB192_66:
	s_or_b32 exec_lo, exec_lo, s3
	s_waitcnt lgkmcnt(0)
	s_barrier
	buffer_gl0_inv
	ds_read_b128 v[19:22], v15
	ds_read_b128 v[23:26], v9 offset:512
	ds_read_b128 v[27:30], v9 offset:528
	ds_read_b128 v[31:34], v16
	ds_read_b128 v[47:50], v9 offset:544
	ds_read_b128 v[51:54], v10
	v_cmp_eq_u32_e64 s3, 1, v11
	s_waitcnt lgkmcnt(4)
	v_mul_f64 v[15:16], v[25:26], v[21:22]
	v_mul_f64 v[21:22], v[23:24], v[21:22]
	s_waitcnt lgkmcnt(2)
	v_mul_f64 v[35:36], v[29:30], v[33:34]
	v_mul_f64 v[33:34], v[27:28], v[33:34]
	;; [unrolled: 3-line block ×3, first 2 shown]
	v_fma_f64 v[15:16], v[23:24], v[19:20], -v[15:16]
	v_fma_f64 v[42:43], v[25:26], v[19:20], v[21:22]
	v_fma_f64 v[27:28], v[27:28], v[31:32], -v[35:36]
	v_fma_f64 v[29:30], v[29:30], v[31:32], v[33:34]
	ds_read_b128 v[19:22], v9 offset:560
	ds_read_b128 v[23:26], v17
	v_fma_f64 v[35:36], v[47:48], v[51:52], -v[55:56]
	s_waitcnt lgkmcnt(0)
	s_barrier
	buffer_gl0_inv
	v_add_f64 v[15:16], v[15:16], 0
	v_add_f64 v[31:32], v[42:43], 0
	v_mul_f64 v[33:34], v[21:22], v[25:26]
	v_mul_f64 v[25:26], v[19:20], v[25:26]
	v_fma_f64 v[42:43], v[49:50], v[51:52], v[53:54]
	v_add_f64 v[15:16], v[15:16], v[27:28]
	v_add_f64 v[27:28], v[31:32], v[29:30]
	v_fma_f64 v[19:20], v[19:20], v[23:24], -v[33:34]
	v_fma_f64 v[21:22], v[21:22], v[23:24], v[25:26]
	v_add_f64 v[15:16], v[15:16], v[35:36]
	v_add_f64 v[23:24], v[27:28], v[42:43]
	;; [unrolled: 1-line block ×4, first 2 shown]
	ds_write_b128 v46, v[19:22]
	s_waitcnt lgkmcnt(0)
	s_barrier
	buffer_gl0_inv
	s_and_saveexec_b32 s4, s3
	s_cbranch_execz .LBB192_68
; %bb.67:
	ds_read_b128 v[2:5], v45
	ds_read_b128 v[19:22], v45 offset:16
	s_waitcnt lgkmcnt(0)
	v_add_f64 v[15:16], v[19:20], v[2:3]
	v_add_f64 v[23:24], v[21:22], v[4:5]
	ds_read_b128 v[2:5], v45 offset:32
	ds_read_b128 v[19:22], v45 offset:48
	s_waitcnt lgkmcnt(1)
	v_add_f64 v[2:3], v[15:16], v[2:3]
	v_add_f64 v[4:5], v[23:24], v[4:5]
	s_waitcnt lgkmcnt(0)
	v_add_f64 v[15:16], v[2:3], v[19:20]
	v_add_f64 v[23:24], v[4:5], v[21:22]
	ds_read_b128 v[2:5], v45 offset:64
	ds_read_b128 v[19:22], v45 offset:80
	s_waitcnt lgkmcnt(1)
	v_add_f64 v[2:3], v[15:16], v[2:3]
	v_add_f64 v[4:5], v[23:24], v[4:5]
	;; [unrolled: 8-line block ×3, first 2 shown]
	s_waitcnt lgkmcnt(0)
	v_add_f64 v[2:3], v[2:3], v[19:20]
	v_add_f64 v[4:5], v[4:5], v[21:22]
.LBB192_68:
	s_or_b32 exec_lo, exec_lo, s4
	s_lshl_b64 s[4:5], s[8:9], 4
	v_cmp_ne_u32_e32 vcc_lo, 1, v18
	v_sub_co_u32 v42, s4, v7, s4
	v_subrev_co_ci_u32_e64 v43, null, s5, v8, s4
	s_barrier
	buffer_gl0_inv
	s_cbranch_vccnz .LBB192_73
; %bb.69:
	flat_load_dwordx4 v[15:18], v[42:43]
	s_lshl_b64 s[4:5], s[12:13], 7
	v_add_nc_u32_e32 v10, 8, v11
	v_add_co_u32 v7, vcc_lo, v42, s4
	v_add_co_ci_u32_e64 v8, null, s5, v43, vcc_lo
	v_mad_u32_u24 v21, 0x210, v10, v12
	v_add_co_u32 v19, vcc_lo, v7, s4
	v_add_co_ci_u32_e64 v20, null, s5, v8, vcc_lo
	s_movk_i32 s7, 0x1080
	s_waitcnt vmcnt(0) lgkmcnt(0)
	ds_write2_b64 v14, v[15:16], v[17:18] offset1:1
	flat_load_dwordx4 v[15:18], v[7:8]
	v_mad_u32_u24 v7, 0x210, v10, s7
	v_add_nc_u32_e32 v8, v12, v7
	s_waitcnt vmcnt(0) lgkmcnt(0)
	ds_write2_b64 v21, v[15:16], v[17:18] offset1:1
	flat_load_dwordx4 v[15:18], v[19:20]
	v_add_co_u32 v19, vcc_lo, v19, s4
	v_add_co_ci_u32_e64 v20, null, s5, v20, vcc_lo
	s_movk_i32 s4, 0x2100
	s_waitcnt vmcnt(0) lgkmcnt(0)
	ds_write2_b64 v8, v[15:16], v[17:18] offset1:1
	flat_load_dwordx4 v[18:21], v[19:20]
	v_mad_u32_u24 v17, 0x210, v10, s4
	v_mul_u32_u24_e32 v8, 0x210, v10
	v_add_nc_u32_e32 v15, 16, v11
	v_add_nc_u32_e32 v16, 24, v11
	;; [unrolled: 1-line block ×3, first 2 shown]
	s_waitcnt vmcnt(0) lgkmcnt(0)
	ds_write2_b64 v22, v[18:19], v[20:21] offset1:1
	s_cbranch_execz .LBB192_74
	s_branch .LBB192_91
.LBB192_70:
	ds_read_b128 v[19:22], v15
	v_lshl_add_u32 v23, v13, 4, v45
	s_waitcnt lgkmcnt(0)
	ds_write_b128 v23, v[19:22]
	s_or_b32 exec_lo, exec_lo, s23
	s_and_saveexec_b32 s3, s4
	s_cbranch_execz .LBB192_63
.LBB192_71:
	ds_read_b128 v[19:22], v16
	v_lshl_add_u32 v23, v13, 4, v45
	s_waitcnt lgkmcnt(0)
	ds_write_b128 v23, v[19:22] offset:16
	s_or_b32 exec_lo, exec_lo, s3
	s_and_saveexec_b32 s3, s5
	s_cbranch_execz .LBB192_64
.LBB192_72:
	ds_read_b128 v[19:22], v10
	v_lshl_add_u32 v23, v13, 4, v45
	s_waitcnt lgkmcnt(0)
	ds_write_b128 v23, v[19:22] offset:32
	s_or_b32 exec_lo, exec_lo, s3
	s_and_saveexec_b32 s3, s7
	s_cbranch_execnz .LBB192_65
	s_branch .LBB192_66
.LBB192_73:
                                        ; implicit-def: $vgpr10
                                        ; implicit-def: $vgpr8
                                        ; implicit-def: $vgpr15
                                        ; implicit-def: $vgpr7
                                        ; implicit-def: $vgpr16
                                        ; implicit-def: $vgpr17
.LBB192_74:
	v_or_b32_e32 v7, 32, v6
	s_ashr_i32 s23, s22, 31
	v_cmp_le_i32_e64 s4, s22, v11
	s_lshl_b64 s[8:9], s[22:23], 4
	v_lshlrev_b32_e32 v8, 4, v7
	v_sub_co_u32 v8, vcc_lo, v42, v8
	v_subrev_co_ci_u32_e64 v10, null, 0, v43, vcc_lo
	v_add_co_u32 v8, vcc_lo, v8, s8
	v_add_co_ci_u32_e64 v10, null, s9, v10, vcc_lo
	v_add_co_u32 v15, vcc_lo, v8, -16
	v_add_co_ci_u32_e64 v8, null, -1, v10, vcc_lo
	v_cmp_gt_i32_e32 vcc_lo, s22, v7
	v_cndmask_b32_e32 v8, v8, v43, vcc_lo
	v_cndmask_b32_e32 v7, v15, v42, vcc_lo
	s_and_saveexec_b32 s5, s4
	s_xor_b32 s4, exec_lo, s5
	s_cbranch_execz .LBB192_76
; %bb.75:
	v_mov_b32_e32 v15, 0
	v_mov_b32_e32 v16, v15
	;; [unrolled: 1-line block ×4, first 2 shown]
	ds_write_b128 v14, v[15:18]
.LBB192_76:
	s_andn2_saveexec_b32 s4, s4
	s_cbranch_execz .LBB192_78
; %bb.77:
	flat_load_dwordx4 v[15:18], v[7:8]
	s_waitcnt vmcnt(0) lgkmcnt(0)
	ds_write2_b64 v14, v[15:16], v[17:18] offset1:1
.LBB192_78:
	s_or_b32 exec_lo, exec_lo, s4
	v_add_nc_u32_e32 v10, 8, v11
	v_cmp_le_i32_e64 s4, s22, v10
	s_and_saveexec_b32 s5, s4
	s_xor_b32 s4, exec_lo, s5
	s_cbranch_execz .LBB192_80
; %bb.79:
	v_mov_b32_e32 v15, 0
	v_mad_u32_u24 v19, 0x210, v10, v12
	v_mov_b32_e32 v16, v15
	v_mov_b32_e32 v17, v15
	;; [unrolled: 1-line block ×3, first 2 shown]
	ds_write_b128 v19, v[15:18]
.LBB192_80:
	s_andn2_saveexec_b32 s5, s4
	s_cbranch_execz .LBB192_82
; %bb.81:
	s_lshl_b64 s[24:25], s[12:13], 7
	v_mad_u32_u24 v19, 0x210, v10, v12
	v_add_co_u32 v15, s4, v7, s24
	v_add_co_ci_u32_e64 v16, null, s25, v8, s4
	flat_load_dwordx4 v[15:18], v[15:16]
	s_waitcnt vmcnt(0) lgkmcnt(0)
	ds_write2_b64 v19, v[15:16], v[17:18] offset1:1
.LBB192_82:
	s_or_b32 exec_lo, exec_lo, s5
	v_add_nc_u32_e32 v15, 16, v11
	v_cmp_le_i32_e64 s4, s22, v15
	s_and_saveexec_b32 s5, s4
	s_xor_b32 s4, exec_lo, s5
	s_cbranch_execz .LBB192_84
; %bb.83:
	v_mov_b32_e32 v16, 0
	v_mad_u32_u24 v20, 0x210, v15, v12
	v_mov_b32_e32 v17, v16
	v_mov_b32_e32 v18, v16
	;; [unrolled: 1-line block ×3, first 2 shown]
	ds_write_b128 v20, v[16:19]
.LBB192_84:
	s_andn2_saveexec_b32 s5, s4
	s_cbranch_execz .LBB192_86
; %bb.85:
	s_lshl_b64 s[24:25], s[12:13], 8
	v_mad_u32_u24 v20, 0x210, v15, v12
	v_add_co_u32 v16, s4, v7, s24
	v_add_co_ci_u32_e64 v17, null, s25, v8, s4
	flat_load_dwordx4 v[16:19], v[16:17]
	s_waitcnt vmcnt(0) lgkmcnt(0)
	ds_write2_b64 v20, v[16:17], v[18:19] offset1:1
.LBB192_86:
	s_or_b32 exec_lo, exec_lo, s5
	v_add_nc_u32_e32 v16, 24, v11
                                        ; implicit-def: $vgpr17
	v_cmp_le_i32_e64 s4, s22, v16
	s_and_saveexec_b32 s5, s4
	s_xor_b32 s4, exec_lo, s5
	s_cbranch_execz .LBB192_88
; %bb.87:
	v_mov_b32_e32 v18, 0
	v_mad_u32_u24 v22, 0x210, v16, v12
	v_mul_u32_u24_e32 v17, 0x210, v16
	v_mov_b32_e32 v19, v18
	v_mov_b32_e32 v20, v18
	;; [unrolled: 1-line block ×3, first 2 shown]
	ds_write_b128 v22, v[18:21]
.LBB192_88:
	s_andn2_saveexec_b32 s4, s4
	s_cbranch_execz .LBB192_90
; %bb.89:
	v_mad_u64_u32 v[17:18], null, 0x180, s12, v[7:8]
	v_mad_u32_u24 v22, 0x210, v16, v12
	v_mad_u64_u32 v[18:19], null, 0x180, s13, v[18:19]
	flat_load_dwordx4 v[18:21], v[17:18]
	v_mul_u32_u24_e32 v17, 0x210, v16
	s_waitcnt vmcnt(0) lgkmcnt(0)
	ds_write2_b64 v22, v[18:19], v[20:21] offset1:1
.LBB192_90:
	s_or_b32 exec_lo, exec_lo, s4
	v_lshlrev_b32_e32 v6, 4, v6
	v_add_co_u32 v6, s4, v7, v6
	v_add_co_ci_u32_e64 v7, null, 0, v8, s4
	v_mul_u32_u24_e32 v8, 0x210, v10
	v_sub_co_u32 v6, s4, v6, s8
	v_subrev_co_ci_u32_e64 v7, null, s9, v7, s4
	v_add_co_u32 v6, s4, 0x210, v6
	v_add_co_ci_u32_e64 v7, null, 0, v7, s4
	s_movk_i32 s4, 0x1080
	v_cndmask_b32_e32 v42, v6, v42, vcc_lo
	v_cndmask_b32_e32 v43, v7, v43, vcc_lo
	v_mad_u32_u24 v7, 0x210, v10, s4
.LBB192_91:
	v_lshlrev_b32_e32 v6, 4, v11
	s_waitcnt lgkmcnt(0)
	s_barrier
	buffer_gl0_inv
	v_add_nc_u32_e32 v8, v12, v8
	ds_read_b128 v[18:21], v6 offset:18176
	ds_read_b128 v[22:25], v14
	v_lshlrev_b32_e32 v6, 4, v10
	v_add_nc_u32_e32 v7, v12, v7
	v_add_nc_u32_e32 v12, v12, v17
	v_lshl_add_u32 v51, v13, 4, v45
	ds_read_b128 v[26:29], v6 offset:18176
	ds_read_b128 v[30:33], v8
	v_lshlrev_b32_e32 v6, 4, v15
	v_lshlrev_b32_e32 v8, 4, v16
	ds_read_b128 v[34:37], v6 offset:18176
	ds_read_b128 v[47:50], v7
	s_waitcnt lgkmcnt(4)
	v_mul_f64 v[10:11], v[20:21], v[24:25]
	v_mul_f64 v[24:25], v[18:19], v[24:25]
	s_waitcnt lgkmcnt(2)
	v_mul_f64 v[6:7], v[28:29], v[32:33]
	v_mul_f64 v[32:33], v[26:27], v[32:33]
	v_fma_f64 v[10:11], v[18:19], v[22:23], -v[10:11]
	v_fma_f64 v[22:23], v[20:21], v[22:23], v[24:25]
	s_waitcnt lgkmcnt(0)
	v_mul_f64 v[24:25], v[36:37], v[49:50]
	v_mul_f64 v[49:50], v[34:35], v[49:50]
	ds_read_b128 v[14:17], v8 offset:18176
	ds_read2_b64 v[18:21], v12 offset1:1
	v_fma_f64 v[6:7], v[26:27], v[30:31], -v[6:7]
	v_fma_f64 v[26:27], v[28:29], v[30:31], v[32:33]
	v_add_f64 v[10:11], v[10:11], 0
	v_add_f64 v[22:23], v[22:23], 0
	s_waitcnt lgkmcnt(0)
	v_mul_f64 v[28:29], v[16:17], v[20:21]
	v_mul_f64 v[20:21], v[14:15], v[20:21]
	v_fma_f64 v[24:25], v[34:35], v[47:48], -v[24:25]
	v_fma_f64 v[30:31], v[36:37], v[47:48], v[49:50]
	v_add_f64 v[6:7], v[10:11], v[6:7]
	v_add_f64 v[10:11], v[22:23], v[26:27]
	v_fma_f64 v[14:15], v[14:15], v[18:19], -v[28:29]
	v_fma_f64 v[16:17], v[16:17], v[18:19], v[20:21]
	v_add_f64 v[6:7], v[6:7], v[24:25]
	v_add_f64 v[10:11], v[10:11], v[30:31]
	ds_read_b128 v[30:33], v9 offset:512
	ds_read_b128 v[22:25], v9 offset:528
	v_add_f64 v[47:48], v[6:7], v[14:15]
	v_add_f64 v[49:50], v[10:11], v[16:17]
	ds_read_b128 v[10:13], v9 offset:544
	ds_read_b128 v[6:9], v9 offset:560
	ds_read_b128 v[34:37], v51
	ds_read_b128 v[26:29], v51 offset:16
	ds_read_b128 v[18:21], v51 offset:32
	;; [unrolled: 1-line block ×3, first 2 shown]
	s_waitcnt lgkmcnt(0)
	s_barrier
	buffer_gl0_inv
	ds_write_b128 v46, v[47:50]
	s_waitcnt lgkmcnt(0)
	s_barrier
	buffer_gl0_inv
	s_and_saveexec_b32 s4, s3
	s_cbranch_execz .LBB192_93
; %bb.92:
	ds_read_b128 v[47:50], v45
	ds_read_b128 v[51:54], v45 offset:16
	s_waitcnt lgkmcnt(1)
	v_add_f64 v[2:3], v[2:3], v[47:48]
	v_add_f64 v[4:5], v[4:5], v[49:50]
	s_waitcnt lgkmcnt(0)
	v_add_f64 v[51:52], v[2:3], v[51:52]
	v_add_f64 v[53:54], v[4:5], v[53:54]
	ds_read_b128 v[2:5], v45 offset:32
	ds_read_b128 v[47:50], v45 offset:48
	s_waitcnt lgkmcnt(1)
	v_add_f64 v[2:3], v[51:52], v[2:3]
	v_add_f64 v[4:5], v[53:54], v[4:5]
	s_waitcnt lgkmcnt(0)
	v_add_f64 v[51:52], v[2:3], v[47:48]
	v_add_f64 v[53:54], v[4:5], v[49:50]
	ds_read_b128 v[2:5], v45 offset:64
	;; [unrolled: 8-line block ×3, first 2 shown]
	ds_read_b128 v[47:50], v45 offset:112
	s_waitcnt lgkmcnt(1)
	v_add_f64 v[2:3], v[51:52], v[2:3]
	v_add_f64 v[4:5], v[53:54], v[4:5]
	s_waitcnt lgkmcnt(0)
	v_add_f64 v[2:3], v[2:3], v[47:48]
	v_add_f64 v[4:5], v[4:5], v[49:50]
.LBB192_93:
	s_or_b32 exec_lo, exec_lo, s4
	v_mul_f64 v[47:48], v[36:37], v[32:33]
	v_mul_f64 v[32:33], v[34:35], v[32:33]
	;; [unrolled: 1-line block ×4, first 2 shown]
	s_barrier
	buffer_gl0_inv
	v_fma_f64 v[34:35], v[34:35], v[30:31], -v[47:48]
	v_fma_f64 v[30:31], v[36:37], v[30:31], v[32:33]
	v_mul_f64 v[32:33], v[20:21], v[12:13]
	v_mul_f64 v[12:13], v[18:19], v[12:13]
	v_fma_f64 v[26:27], v[26:27], v[22:23], -v[49:50]
	v_fma_f64 v[22:23], v[28:29], v[22:23], v[24:25]
	v_add_f64 v[24:25], v[34:35], 0
	v_add_f64 v[28:29], v[30:31], 0
	v_mul_f64 v[30:31], v[16:17], v[8:9]
	v_mul_f64 v[8:9], v[14:15], v[8:9]
	v_fma_f64 v[18:19], v[18:19], v[10:11], -v[32:33]
	v_fma_f64 v[10:11], v[20:21], v[10:11], v[12:13]
	v_add_f64 v[12:13], v[24:25], v[26:27]
	v_add_f64 v[20:21], v[28:29], v[22:23]
	v_fma_f64 v[14:15], v[14:15], v[6:7], -v[30:31]
	v_fma_f64 v[8:9], v[16:17], v[6:7], v[8:9]
	v_add_f64 v[6:7], v[12:13], v[18:19]
	v_add_f64 v[10:11], v[20:21], v[10:11]
	v_add_f64 v[6:7], v[6:7], v[14:15]
	v_add_f64 v[8:9], v[10:11], v[8:9]
	ds_write_b128 v46, v[6:9]
	s_waitcnt lgkmcnt(0)
	s_barrier
	buffer_gl0_inv
	s_and_saveexec_b32 s3, s2
	s_cbranch_execz .LBB192_95
; %bb.94:
	ds_read_b128 v[6:9], v45
	ds_read_b128 v[10:13], v45 offset:16
	s_waitcnt lgkmcnt(1)
	v_add_f64 v[2:3], v[2:3], v[6:7]
	v_add_f64 v[4:5], v[4:5], v[8:9]
	s_waitcnt lgkmcnt(0)
	v_add_f64 v[10:11], v[2:3], v[10:11]
	v_add_f64 v[12:13], v[4:5], v[12:13]
	ds_read_b128 v[2:5], v45 offset:32
	ds_read_b128 v[6:9], v45 offset:48
	s_waitcnt lgkmcnt(1)
	v_add_f64 v[2:3], v[10:11], v[2:3]
	v_add_f64 v[4:5], v[12:13], v[4:5]
	s_waitcnt lgkmcnt(0)
	v_add_f64 v[10:11], v[2:3], v[6:7]
	v_add_f64 v[12:13], v[4:5], v[8:9]
	ds_read_b128 v[2:5], v45 offset:64
	;; [unrolled: 8-line block ×3, first 2 shown]
	ds_read_b128 v[6:9], v45 offset:112
	s_waitcnt lgkmcnt(1)
	v_add_f64 v[2:3], v[10:11], v[2:3]
	v_add_f64 v[4:5], v[12:13], v[4:5]
	s_waitcnt lgkmcnt(0)
	v_add_f64 v[2:3], v[2:3], v[6:7]
	v_add_f64 v[4:5], v[4:5], v[8:9]
.LBB192_95:
	s_or_b32 exec_lo, exec_lo, s3
	s_mul_hi_u32 s2, s17, s16
	s_mul_i32 s27, s27, s16
	s_mul_i32 s3, s17, s16
	s_add_i32 s2, s2, s27
	s_mul_hi_u32 s5, s3, s26
	s_mul_i32 s4, s2, s26
	s_mul_i32 s2, s3, s26
	s_add_i32 s3, s5, s4
	s_mul_i32 s4, s17, s6
	s_lshl_b64 s[2:3], s[2:3], 4
	v_cmp_le_i32_e32 vcc_lo, s22, v0
	s_add_u32 s7, s18, s2
	s_addc_u32 s8, s19, s3
	s_ashr_i32 s5, s4, 31
	v_lshlrev_b32_e32 v144, 4, v0
	s_lshl_b64 s[2:3], s[4:5], 4
	s_add_u32 s7, s7, s2
	s_addc_u32 s8, s8, s3
	s_and_b32 vcc_lo, s28, vcc_lo
	s_cmp_lt_i32 s6, 1
	s_barrier
	buffer_gl0_inv
	s_cbranch_scc1 .LBB192_102
; %bb.96:
	v_lshlrev_b32_e32 v8, 2, v1
	s_ashr_i32 s23, s22, 31
	v_lshrrev_b32_e32 v9, 4, v44
	s_mul_i32 s3, s10, s21
	s_mul_hi_u32 s5, s10, s20
	v_mad_u64_u32 v[6:7], null, s12, v8, 0
	v_and_b32_e32 v10, 15, v0
	s_mul_i32 s9, s11, s20
	s_add_i32 s3, s5, s3
	s_mul_i32 s4, s10, s20
	s_add_i32 s5, s3, s9
	v_or_b32_e32 v12, 0xf0, v144
	v_mad_u64_u32 v[7:8], null, s13, v8, v[7:8]
	v_sub_co_u32 v8, s2, v42, s14
	v_subrev_co_ci_u32_e64 v11, null, s15, v43, s2
	s_lshl_b64 s[14:15], s[22:23], 4
	v_add_co_u32 v8, s2, 0xfffffe00, v8
	v_add_co_ci_u32_e64 v11, null, -1, v11, s2
	v_lshlrev_b64 v[6:7], 4, v[6:7]
	v_sub_co_u32 v8, s2, v8, v40
	v_sub_co_ci_u32_e64 v11, null, v11, v41, s2
	s_lshl_b64 s[4:5], s[4:5], 4
	v_add_co_u32 v6, s2, v8, v6
	v_add_co_ci_u32_e64 v7, null, v11, v7, s2
	v_mov_b32_e32 v141, 0
	v_add_co_u32 v8, s2, v6, s14
	v_add_co_ci_u32_e64 v11, null, s15, v7, s2
	v_add_co_u32 v6, s2, v6, v144
	v_add_co_ci_u32_e64 v7, null, 0, v7, s2
	v_add_co_u32 v8, s2, v8, -16
	v_add_co_ci_u32_e64 v11, null, -1, v11, s2
	v_sub_co_u32 v145, s2, v38, s4
	v_cndmask_b32_e32 v6, v6, v8, vcc_lo
	v_cndmask_b32_e32 v7, v7, v11, vcc_lo
	v_and_b32_e32 v8, 48, v0
	v_lshlrev_b32_e32 v11, 6, v9
	v_mul_i32_i24_e32 v9, 0xffffffd0, v9
	v_subrev_co_ci_u32_e64 v146, null, s5, v39, s2
	v_lshlrev_b32_e32 v8, 4, v8
	v_mad_u32_u24 v151, 0x430, v10, v11
	v_add_nc_u32_e32 v147, 0x4300, v144
	v_lshl_add_u32 v148, v1, 6, 0x4300
	v_add_nc_u32_e32 v149, 0x4700, v144
	v_mad_u32_u24 v150, 0x10c0, v1, v144
	v_cmp_gt_u32_e64 s2, 64, v44
	v_mad_u32_u24 v152, 0x430, v10, v8
	v_mad_u32_u24 v153, 0x430, v10, v12
	v_add_nc_u32_e32 v154, v151, v9
	s_mul_i32 s3, s13, 0xd0
	s_mul_hi_u32 s9, s12, 0xd0
	s_lshl_b64 s[4:5], s[12:13], 4
	s_add_i32 s9, s9, s3
	s_mulk_i32 s12, 0xd0
	s_mov_b32 s13, 0
	s_branch .LBB192_98
.LBB192_97:                             ;   in Loop: Header=BB192_98 Depth=1
	s_or_b32 exec_lo, exec_lo, s14
	v_mul_f64 v[86:87], v[16:17], v[28:29]
	v_mul_f64 v[28:29], v[14:15], v[28:29]
	;; [unrolled: 1-line block ×4, first 2 shown]
	s_add_i32 s6, s6, -1
	s_add_i32 s13, s13, 64
	s_cmp_eq_u32 s6, 0
	s_waitcnt_vscnt null, 0x0
	s_barrier
	buffer_gl0_inv
	v_fma_f64 v[14:15], v[14:15], v[26:27], -v[86:87]
	v_fma_f64 v[16:17], v[16:17], v[26:27], v[28:29]
	v_mul_f64 v[26:27], v[12:13], v[32:33]
	v_mul_f64 v[28:29], v[10:11], v[32:33]
	v_fma_f64 v[18:19], v[18:19], v[22:23], -v[88:89]
	v_fma_f64 v[20:21], v[20:21], v[22:23], v[24:25]
	v_add_f64 v[2:3], v[2:3], v[14:15]
	v_add_f64 v[4:5], v[4:5], v[16:17]
	v_mul_f64 v[14:15], v[8:9], v[48:49]
	v_mul_f64 v[16:17], v[6:7], v[48:49]
	v_fma_f64 v[10:11], v[10:11], v[30:31], -v[26:27]
	v_fma_f64 v[12:13], v[12:13], v[30:31], v[28:29]
	v_add_f64 v[2:3], v[2:3], v[18:19]
	v_add_f64 v[4:5], v[4:5], v[20:21]
	;; [unrolled: 6-line block ×14, first 2 shown]
	v_fma_f64 v[6:7], v[102:103], v[122:123], -v[6:7]
	v_fma_f64 v[8:9], v[104:105], v[122:123], v[8:9]
	v_add_f64 v[2:3], v[2:3], v[10:11]
	v_add_f64 v[4:5], v[4:5], v[12:13]
	;; [unrolled: 1-line block ×4, first 2 shown]
	v_add_co_u32 v6, s3, v142, s12
	v_add_co_ci_u32_e64 v7, null, s9, v143, s3
	s_cbranch_scc1 .LBB192_102
.LBB192_98:                             ; =>This Inner Loop Header: Depth=1
	s_and_saveexec_b32 s14, s1
	s_cbranch_execz .LBB192_100
; %bb.99:                               ;   in Loop: Header=BB192_98 Depth=1
	s_mul_i32 s3, s11, s13
	s_mul_hi_u32 s15, s10, s13
	s_mul_i32 s16, s10, s13
	s_add_i32 s17, s15, s3
	s_lshl_b64 s[16:17], s[16:17], 4
	v_add_co_u32 v8, s3, v145, s16
	v_add_co_ci_u32_e64 v9, null, s17, v146, s3
	flat_load_dwordx4 v[8:11], v[8:9]
	s_waitcnt vmcnt(0) lgkmcnt(0)
	ds_write2_b64 v147, v[8:9], v[10:11] offset1:1
.LBB192_100:                            ;   in Loop: Header=BB192_98 Depth=1
	s_or_b32 exec_lo, exec_lo, s14
	v_add_co_u32 v8, s3, v6, s4
	v_add_co_ci_u32_e64 v9, null, s5, v7, s3
	s_waitcnt lgkmcnt(0)
	v_add_co_u32 v10, s3, v8, s4
	v_add_co_ci_u32_e64 v11, null, s5, v9, s3
	s_barrier
	v_add_co_u32 v26, s3, v10, s4
	buffer_gl0_inv
	flat_load_dwordx4 v[14:17], v[6:7]
	v_add_co_ci_u32_e64 v27, null, s5, v11, s3
	s_clause 0x2
	flat_load_dwordx4 v[18:21], v[8:9]
	flat_load_dwordx4 v[10:13], v[10:11]
	;; [unrolled: 1-line block ×3, first 2 shown]
	ds_read_b128 v[22:25], v149
	v_add_co_u32 v54, s3, v26, s12
	v_add_co_ci_u32_e64 v55, null, s9, v27, s3
	v_add_co_u32 v56, s3, v54, s4
	v_add_co_ci_u32_e64 v57, null, s5, v55, s3
	;; [unrolled: 2-line block ×4, first 2 shown]
	s_waitcnt vmcnt(3) lgkmcnt(0)
	v_mul_f64 v[28:29], v[16:17], v[24:25]
	v_mul_f64 v[30:31], v[14:15], v[24:25]
	s_waitcnt vmcnt(2)
	v_mul_f64 v[32:33], v[20:21], v[24:25]
	v_mul_f64 v[40:41], v[18:19], v[24:25]
	s_waitcnt vmcnt(1)
	;; [unrolled: 3-line block ×3, first 2 shown]
	v_mul_f64 v[46:47], v[8:9], v[24:25]
	v_mul_f64 v[24:25], v[6:7], v[24:25]
	v_fma_f64 v[34:35], v[14:15], v[22:23], -v[28:29]
	v_fma_f64 v[36:37], v[16:17], v[22:23], v[30:31]
	v_fma_f64 v[38:39], v[18:19], v[22:23], -v[32:33]
	v_fma_f64 v[40:41], v[20:21], v[22:23], v[40:41]
	;; [unrolled: 2-line block ×4, first 2 shown]
	ds_read_b128 v[26:29], v148
	ds_read_b128 v[22:25], v148 offset:16
	ds_read_b128 v[30:33], v148 offset:32
	;; [unrolled: 1-line block ×3, first 2 shown]
	ds_write_b128 v150, v[34:37]
	ds_write_b128 v150, v[38:41] offset:1072
	ds_write_b128 v150, v[42:45] offset:2144
	;; [unrolled: 1-line block ×3, first 2 shown]
	s_waitcnt lgkmcnt(0)
	s_barrier
	buffer_gl0_inv
	ds_read_b128 v[122:125], v151
	ds_read_b128 v[155:158], v151 offset:16
	ds_read_b128 v[159:162], v151 offset:32
	;; [unrolled: 1-line block ×3, first 2 shown]
	s_waitcnt lgkmcnt(0)
	s_barrier
	buffer_gl0_inv
	s_clause 0x3
	flat_load_dwordx4 v[50:53], v[54:55]
	flat_load_dwordx4 v[42:45], v[56:57]
	;; [unrolled: 1-line block ×4, first 2 shown]
	ds_read_b128 v[54:57], v149
	v_add_f64 v[207:208], v[122:123], 0
	v_add_f64 v[209:210], v[124:125], 0
	s_waitcnt vmcnt(2) lgkmcnt(0)
	v_mul_f64 v[62:63], v[44:45], v[56:57]
	v_mul_f64 v[58:59], v[52:53], v[56:57]
	v_mul_f64 v[60:61], v[50:51], v[56:57]
	v_mul_f64 v[64:65], v[42:43], v[56:57]
	s_waitcnt vmcnt(1)
	v_mul_f64 v[66:67], v[40:41], v[56:57]
	v_mul_f64 v[70:71], v[38:39], v[56:57]
	s_waitcnt vmcnt(0)
	v_mul_f64 v[72:73], v[36:37], v[56:57]
	v_mul_f64 v[74:75], v[34:35], v[56:57]
	v_fma_f64 v[56:57], v[50:51], v[54:55], -v[58:59]
	v_fma_f64 v[58:59], v[52:53], v[54:55], v[60:61]
	v_fma_f64 v[60:61], v[42:43], v[54:55], -v[62:63]
	v_fma_f64 v[62:63], v[44:45], v[54:55], v[64:65]
	;; [unrolled: 2-line block ×4, first 2 shown]
	v_add_co_u32 v54, s3, v68, s12
	v_add_co_ci_u32_e64 v55, null, s9, v69, s3
	ds_read_b128 v[82:85], v148 offset:256
	ds_read_b128 v[78:81], v148 offset:272
	;; [unrolled: 1-line block ×4, first 2 shown]
	v_add_co_u32 v94, s3, v54, s4
	v_add_co_ci_u32_e64 v95, null, s5, v55, s3
	ds_write_b128 v150, v[56:59]
	ds_write_b128 v150, v[60:63] offset:1072
	ds_write_b128 v150, v[64:67] offset:2144
	;; [unrolled: 1-line block ×3, first 2 shown]
	v_add_co_u32 v96, s3, v94, s4
	v_add_co_ci_u32_e64 v97, null, s5, v95, s3
	s_waitcnt lgkmcnt(0)
	v_add_co_u32 v104, s3, v96, s4
	v_add_co_ci_u32_e64 v105, null, s5, v97, s3
	s_barrier
	buffer_gl0_inv
	ds_read_b128 v[163:166], v151
	ds_read_b128 v[167:170], v151 offset:16
	ds_read_b128 v[171:174], v151 offset:32
	;; [unrolled: 1-line block ×3, first 2 shown]
	s_waitcnt lgkmcnt(0)
	s_barrier
	buffer_gl0_inv
	s_clause 0x2
	flat_load_dwordx4 v[66:69], v[54:55]
	flat_load_dwordx4 v[62:65], v[94:95]
	;; [unrolled: 1-line block ×4, first 2 shown]
	ds_read_b128 v[90:93], v149
	v_add_f64 v[163:164], v[163:164], 0
	v_add_f64 v[165:166], v[165:166], 0
	;; [unrolled: 1-line block ×6, first 2 shown]
	s_waitcnt vmcnt(2) lgkmcnt(0)
	v_mul_f64 v[98:99], v[64:65], v[92:93]
	v_mul_f64 v[94:95], v[68:69], v[92:93]
	v_mul_f64 v[96:97], v[66:67], v[92:93]
	v_mul_f64 v[100:101], v[62:63], v[92:93]
	s_waitcnt vmcnt(1)
	v_mul_f64 v[102:103], v[60:61], v[92:93]
	v_mul_f64 v[106:107], v[58:59], v[92:93]
	s_waitcnt vmcnt(0)
	v_mul_f64 v[108:109], v[56:57], v[92:93]
	v_mul_f64 v[110:111], v[54:55], v[92:93]
	v_fma_f64 v[92:93], v[66:67], v[90:91], -v[94:95]
	v_fma_f64 v[94:95], v[68:69], v[90:91], v[96:97]
	v_fma_f64 v[96:97], v[62:63], v[90:91], -v[98:99]
	v_fma_f64 v[98:99], v[64:65], v[90:91], v[100:101]
	;; [unrolled: 2-line block ×4, first 2 shown]
	v_add_co_u32 v90, s3, v104, s12
	v_add_co_ci_u32_e64 v91, null, s9, v105, s3
	ds_read_b128 v[118:121], v148 offset:512
	ds_read_b128 v[114:117], v148 offset:528
	;; [unrolled: 1-line block ×4, first 2 shown]
	v_add_co_u32 v104, s3, v90, s4
	v_add_co_ci_u32_e64 v105, null, s5, v91, s3
	ds_write_b128 v150, v[92:95]
	ds_write_b128 v150, v[96:99] offset:1072
	ds_write_b128 v150, v[100:103] offset:2144
	;; [unrolled: 1-line block ×3, first 2 shown]
	v_add_co_u32 v130, s3, v104, s4
	v_add_co_ci_u32_e64 v131, null, s5, v105, s3
	s_waitcnt lgkmcnt(0)
	v_add_co_u32 v142, s3, v130, s4
	v_add_co_ci_u32_e64 v143, null, s5, v131, s3
	s_barrier
	buffer_gl0_inv
	ds_read_b128 v[179:182], v151
	ds_read_b128 v[183:186], v151 offset:16
	ds_read_b128 v[187:190], v151 offset:32
	;; [unrolled: 1-line block ×3, first 2 shown]
	s_waitcnt lgkmcnt(0)
	s_barrier
	buffer_gl0_inv
	flat_load_dwordx4 v[98:101], v[90:91]
	flat_load_dwordx4 v[94:97], v[104:105]
	;; [unrolled: 1-line block ×4, first 2 shown]
	ds_read_b128 v[126:129], v149
	v_add_f64 v[179:180], v[179:180], 0
	v_add_f64 v[181:182], v[181:182], 0
	;; [unrolled: 1-line block ×6, first 2 shown]
	s_waitcnt vmcnt(3) lgkmcnt(0)
	v_mul_f64 v[130:131], v[100:101], v[128:129]
	v_mul_f64 v[132:133], v[98:99], v[128:129]
	s_waitcnt vmcnt(2)
	v_mul_f64 v[134:135], v[96:97], v[128:129]
	v_mul_f64 v[136:137], v[94:95], v[128:129]
	s_waitcnt vmcnt(1)
	;; [unrolled: 3-line block ×3, first 2 shown]
	v_mul_f64 v[203:204], v[104:105], v[128:129]
	v_mul_f64 v[128:129], v[102:103], v[128:129]
	v_fma_f64 v[130:131], v[98:99], v[126:127], -v[130:131]
	v_fma_f64 v[132:133], v[100:101], v[126:127], v[132:133]
	v_fma_f64 v[195:196], v[94:95], v[126:127], -v[134:135]
	v_fma_f64 v[197:198], v[96:97], v[126:127], v[136:137]
	;; [unrolled: 2-line block ×4, first 2 shown]
	ds_write_b128 v150, v[130:133]
	ds_read_b128 v[134:137], v148 offset:768
	ds_read_b128 v[130:133], v148 offset:784
	ds_write_b128 v150, v[195:198] offset:1072
	ds_write_b128 v150, v[199:202] offset:2144
	ds_read_b128 v[126:129], v148 offset:800
	ds_read_b128 v[122:125], v148 offset:816
	v_add_f64 v[199:200], v[207:208], v[155:156]
	ds_write_b128 v150, v[203:206] offset:3216
	s_waitcnt lgkmcnt(0)
	s_barrier
	buffer_gl0_inv
	ds_read_b128 v[195:198], v151
	v_add_f64 v[201:202], v[209:210], v[157:158]
	ds_read_b128 v[155:158], v151 offset:16
	v_add_f64 v[183:184], v[199:200], v[159:160]
	s_waitcnt lgkmcnt(1)
	v_add_f64 v[195:196], v[195:196], 0
	v_add_f64 v[197:198], v[197:198], 0
	v_add_f64 v[185:186], v[201:202], v[161:162]
	ds_read_b128 v[159:162], v151 offset:48
	v_add_f64 v[86:87], v[183:184], v[86:87]
	s_waitcnt lgkmcnt(1)
	v_add_f64 v[179:180], v[195:196], v[155:156]
	v_add_f64 v[181:182], v[197:198], v[157:158]
	ds_read_b128 v[155:158], v151 offset:32
	v_add_f64 v[88:89], v[185:186], v[88:89]
	s_waitcnt lgkmcnt(0)
	s_barrier
	buffer_gl0_inv
	v_add_f64 v[171:172], v[179:180], v[155:156]
	v_add_f64 v[173:174], v[181:182], v[157:158]
	;; [unrolled: 1-line block ×8, first 2 shown]
	ds_write_b128 v154, v[86:89]
	ds_write_b128 v154, v[155:158] offset:256
	ds_write_b128 v154, v[163:166] offset:512
	ds_write_b128 v154, v[159:162] offset:768
	s_waitcnt lgkmcnt(0)
	s_barrier
	buffer_gl0_inv
	s_and_saveexec_b32 s14, s2
	s_cbranch_execz .LBB192_97
; %bb.101:                              ;   in Loop: Header=BB192_98 Depth=1
	ds_read_b128 v[86:89], v152
	ds_read_b128 v[155:158], v152 offset:16
	v_add_nc_u32_e32 v140, s13, v0
	s_waitcnt lgkmcnt(0)
	v_add_f64 v[159:160], v[155:156], v[86:87]
	v_add_f64 v[161:162], v[157:158], v[88:89]
	ds_read_b128 v[86:89], v152 offset:32
	ds_read_b128 v[155:158], v152 offset:48
	s_waitcnt lgkmcnt(1)
	v_add_f64 v[86:87], v[159:160], v[86:87]
	v_add_f64 v[88:89], v[161:162], v[88:89]
	s_waitcnt lgkmcnt(0)
	v_add_f64 v[159:160], v[86:87], v[155:156]
	v_add_f64 v[161:162], v[88:89], v[157:158]
	ds_read_b128 v[86:89], v152 offset:64
	ds_read_b128 v[155:158], v152 offset:80
	s_waitcnt lgkmcnt(1)
	v_add_f64 v[86:87], v[159:160], v[86:87]
	v_add_f64 v[88:89], v[161:162], v[88:89]
	;; [unrolled: 8-line block ×6, first 2 shown]
	s_waitcnt lgkmcnt(0)
	v_add_f64 v[159:160], v[86:87], v[155:156]
	v_add_f64 v[161:162], v[88:89], v[157:158]
	ds_read_b128 v[86:89], v152 offset:224
	ds_read_b128 v[155:158], v153
	s_waitcnt lgkmcnt(1)
	v_add_f64 v[86:87], v[159:160], v[86:87]
	v_add_f64 v[88:89], v[161:162], v[88:89]
	s_waitcnt lgkmcnt(0)
	v_add_f64 v[86:87], v[86:87], v[155:156]
	v_add_f64 v[88:89], v[88:89], v[157:158]
	v_lshlrev_b64 v[155:156], 4, v[140:141]
	v_add_co_u32 v155, s3, s7, v155
	v_add_co_ci_u32_e64 v156, null, s8, v156, s3
	global_store_dwordx4 v[155:156], v[86:89], off
	s_branch .LBB192_97
.LBB192_102:
	v_mad_u32_u24 v0, 0x430, v1, v144
	s_nor_b32 s0, s0, vcc_lo
	ds_write_b128 v0, v[2:5]
	s_waitcnt lgkmcnt(0)
	s_barrier
	buffer_gl0_inv
	s_and_saveexec_b32 s1, s0
	s_cbranch_execz .LBB192_104
; %bb.103:
	ds_read_b128 v[0:3], v144 offset:1072
	ds_read_b128 v[4:7], v144
	s_waitcnt lgkmcnt(0)
	v_add_f64 v[8:9], v[0:1], v[4:5]
	v_add_f64 v[10:11], v[2:3], v[6:7]
	ds_read_b128 v[0:3], v144 offset:2144
	ds_read_b128 v[4:7], v144 offset:3216
	s_waitcnt lgkmcnt(1)
	v_add_f64 v[0:1], v[8:9], v[0:1]
	v_add_f64 v[2:3], v[10:11], v[2:3]
	s_waitcnt lgkmcnt(0)
	v_add_f64 v[0:1], v[0:1], v[4:5]
	v_add_f64 v[2:3], v[2:3], v[6:7]
	v_lshlrev_b64 v[4:5], 4, v[138:139]
	v_add_co_u32 v4, vcc_lo, s7, v4
	v_add_co_ci_u32_e64 v5, null, s8, v5, vcc_lo
	global_store_dwordx4 v[4:5], v[0:3], off
.LBB192_104:
	s_endpgm
	.section	.rodata,"a",@progbits
	.p2align	6, 0x0
	.amdhsa_kernel _ZL26rocblas_hemvn_kernel_lowerILb0ELi64ELi4ELi33ELi32ELi16ElPK19rocblas_complex_numIdEPKS3_PS1_EviT6_lT7_lT5_lS8_lS9_lS7_lT8_i
		.amdhsa_group_segment_fixed_size 19200
		.amdhsa_private_segment_fixed_size 0
		.amdhsa_kernarg_size 376
		.amdhsa_user_sgpr_count 6
		.amdhsa_user_sgpr_private_segment_buffer 1
		.amdhsa_user_sgpr_dispatch_ptr 0
		.amdhsa_user_sgpr_queue_ptr 0
		.amdhsa_user_sgpr_kernarg_segment_ptr 1
		.amdhsa_user_sgpr_dispatch_id 0
		.amdhsa_user_sgpr_flat_scratch_init 0
		.amdhsa_user_sgpr_private_segment_size 0
		.amdhsa_wavefront_size32 1
		.amdhsa_uses_dynamic_stack 0
		.amdhsa_system_sgpr_private_segment_wavefront_offset 0
		.amdhsa_system_sgpr_workgroup_id_x 1
		.amdhsa_system_sgpr_workgroup_id_y 0
		.amdhsa_system_sgpr_workgroup_id_z 1
		.amdhsa_system_sgpr_workgroup_info 0
		.amdhsa_system_vgpr_workitem_id 1
		.amdhsa_next_free_vgpr 211
		.amdhsa_next_free_sgpr 32
		.amdhsa_reserve_vcc 1
		.amdhsa_reserve_flat_scratch 1
		.amdhsa_float_round_mode_32 0
		.amdhsa_float_round_mode_16_64 0
		.amdhsa_float_denorm_mode_32 3
		.amdhsa_float_denorm_mode_16_64 3
		.amdhsa_dx10_clamp 1
		.amdhsa_ieee_mode 1
		.amdhsa_fp16_overflow 0
		.amdhsa_workgroup_processor_mode 1
		.amdhsa_memory_ordered 1
		.amdhsa_forward_progress 1
		.amdhsa_shared_vgpr_count 0
		.amdhsa_exception_fp_ieee_invalid_op 0
		.amdhsa_exception_fp_denorm_src 0
		.amdhsa_exception_fp_ieee_div_zero 0
		.amdhsa_exception_fp_ieee_overflow 0
		.amdhsa_exception_fp_ieee_underflow 0
		.amdhsa_exception_fp_ieee_inexact 0
		.amdhsa_exception_int_div_zero 0
	.end_amdhsa_kernel
	.section	.text._ZL26rocblas_hemvn_kernel_lowerILb0ELi64ELi4ELi33ELi32ELi16ElPK19rocblas_complex_numIdEPKS3_PS1_EviT6_lT7_lT5_lS8_lS9_lS7_lT8_i,"axG",@progbits,_ZL26rocblas_hemvn_kernel_lowerILb0ELi64ELi4ELi33ELi32ELi16ElPK19rocblas_complex_numIdEPKS3_PS1_EviT6_lT7_lT5_lS8_lS9_lS7_lT8_i,comdat
.Lfunc_end192:
	.size	_ZL26rocblas_hemvn_kernel_lowerILb0ELi64ELi4ELi33ELi32ELi16ElPK19rocblas_complex_numIdEPKS3_PS1_EviT6_lT7_lT5_lS8_lS9_lS7_lT8_i, .Lfunc_end192-_ZL26rocblas_hemvn_kernel_lowerILb0ELi64ELi4ELi33ELi32ELi16ElPK19rocblas_complex_numIdEPKS3_PS1_EviT6_lT7_lT5_lS8_lS9_lS7_lT8_i
                                        ; -- End function
	.set _ZL26rocblas_hemvn_kernel_lowerILb0ELi64ELi4ELi33ELi32ELi16ElPK19rocblas_complex_numIdEPKS3_PS1_EviT6_lT7_lT5_lS8_lS9_lS7_lT8_i.num_vgpr, 211
	.set _ZL26rocblas_hemvn_kernel_lowerILb0ELi64ELi4ELi33ELi32ELi16ElPK19rocblas_complex_numIdEPKS3_PS1_EviT6_lT7_lT5_lS8_lS9_lS7_lT8_i.num_agpr, 0
	.set _ZL26rocblas_hemvn_kernel_lowerILb0ELi64ELi4ELi33ELi32ELi16ElPK19rocblas_complex_numIdEPKS3_PS1_EviT6_lT7_lT5_lS8_lS9_lS7_lT8_i.numbered_sgpr, 32
	.set _ZL26rocblas_hemvn_kernel_lowerILb0ELi64ELi4ELi33ELi32ELi16ElPK19rocblas_complex_numIdEPKS3_PS1_EviT6_lT7_lT5_lS8_lS9_lS7_lT8_i.num_named_barrier, 0
	.set _ZL26rocblas_hemvn_kernel_lowerILb0ELi64ELi4ELi33ELi32ELi16ElPK19rocblas_complex_numIdEPKS3_PS1_EviT6_lT7_lT5_lS8_lS9_lS7_lT8_i.private_seg_size, 0
	.set _ZL26rocblas_hemvn_kernel_lowerILb0ELi64ELi4ELi33ELi32ELi16ElPK19rocblas_complex_numIdEPKS3_PS1_EviT6_lT7_lT5_lS8_lS9_lS7_lT8_i.uses_vcc, 1
	.set _ZL26rocblas_hemvn_kernel_lowerILb0ELi64ELi4ELi33ELi32ELi16ElPK19rocblas_complex_numIdEPKS3_PS1_EviT6_lT7_lT5_lS8_lS9_lS7_lT8_i.uses_flat_scratch, 1
	.set _ZL26rocblas_hemvn_kernel_lowerILb0ELi64ELi4ELi33ELi32ELi16ElPK19rocblas_complex_numIdEPKS3_PS1_EviT6_lT7_lT5_lS8_lS9_lS7_lT8_i.has_dyn_sized_stack, 0
	.set _ZL26rocblas_hemvn_kernel_lowerILb0ELi64ELi4ELi33ELi32ELi16ElPK19rocblas_complex_numIdEPKS3_PS1_EviT6_lT7_lT5_lS8_lS9_lS7_lT8_i.has_recursion, 0
	.set _ZL26rocblas_hemvn_kernel_lowerILb0ELi64ELi4ELi33ELi32ELi16ElPK19rocblas_complex_numIdEPKS3_PS1_EviT6_lT7_lT5_lS8_lS9_lS7_lT8_i.has_indirect_call, 0
	.section	.AMDGPU.csdata,"",@progbits
; Kernel info:
; codeLenInByte = 9852
; TotalNumSgprs: 34
; NumVgprs: 211
; ScratchSize: 0
; MemoryBound: 0
; FloatMode: 240
; IeeeMode: 1
; LDSByteSize: 19200 bytes/workgroup (compile time only)
; SGPRBlocks: 0
; VGPRBlocks: 26
; NumSGPRsForWavesPerEU: 34
; NumVGPRsForWavesPerEU: 211
; Occupancy: 4
; WaveLimiterHint : 1
; COMPUTE_PGM_RSRC2:SCRATCH_EN: 0
; COMPUTE_PGM_RSRC2:USER_SGPR: 6
; COMPUTE_PGM_RSRC2:TRAP_HANDLER: 0
; COMPUTE_PGM_RSRC2:TGID_X_EN: 1
; COMPUTE_PGM_RSRC2:TGID_Y_EN: 0
; COMPUTE_PGM_RSRC2:TGID_Z_EN: 1
; COMPUTE_PGM_RSRC2:TIDIG_COMP_CNT: 1
	.section	.text._ZL26rocblas_hemvn_kernel_lowerILb0ELi64ELi4ELi33ELi32ELi16EiPK19rocblas_complex_numIdEPKS3_PS1_EviT6_lT7_lT5_lS8_lS9_lS7_lT8_i,"axG",@progbits,_ZL26rocblas_hemvn_kernel_lowerILb0ELi64ELi4ELi33ELi32ELi16EiPK19rocblas_complex_numIdEPKS3_PS1_EviT6_lT7_lT5_lS8_lS9_lS7_lT8_i,comdat
	.globl	_ZL26rocblas_hemvn_kernel_lowerILb0ELi64ELi4ELi33ELi32ELi16EiPK19rocblas_complex_numIdEPKS3_PS1_EviT6_lT7_lT5_lS8_lS9_lS7_lT8_i ; -- Begin function _ZL26rocblas_hemvn_kernel_lowerILb0ELi64ELi4ELi33ELi32ELi16EiPK19rocblas_complex_numIdEPKS3_PS1_EviT6_lT7_lT5_lS8_lS9_lS7_lT8_i
	.p2align	8
	.type	_ZL26rocblas_hemvn_kernel_lowerILb0ELi64ELi4ELi33ELi32ELi16EiPK19rocblas_complex_numIdEPKS3_PS1_EviT6_lT7_lT5_lS8_lS9_lS7_lT8_i,@function
_ZL26rocblas_hemvn_kernel_lowerILb0ELi64ELi4ELi33ELi32ELi16EiPK19rocblas_complex_numIdEPKS3_PS1_EviT6_lT7_lT5_lS8_lS9_lS7_lT8_i: ; @_ZL26rocblas_hemvn_kernel_lowerILb0ELi64ELi4ELi33ELi32ELi16EiPK19rocblas_complex_numIdEPKS3_PS1_EviT6_lT7_lT5_lS8_lS9_lS7_lT8_i
; %bb.0:
	s_load_dwordx2 s[0:1], s[4:5], 0x84
	s_add_u32 s18, s4, 0x78
	s_addc_u32 s19, s5, 0
	s_waitcnt lgkmcnt(0)
	s_lshr_b32 s2, s0, 16
	s_and_b32 s0, s0, 0xffff
	s_and_b32 s1, s1, 0xffff
	s_mul_i32 s0, s2, s0
	s_mul_i32 s0, s0, s1
	s_cmpk_lg_i32 s0, 0x100
	s_cbranch_scc1 .LBB193_104
; %bb.1:
	s_load_dwordx8 s[8:15], s[4:5], 0x8
	s_mov_b32 s16, s7
	v_mov_b32_e32 v2, v1
	s_mov_b32 s17, 0
	s_waitcnt lgkmcnt(0)
	s_mul_i32 s1, s11, s7
	s_mul_hi_u32 s2, s10, s7
	s_mul_i32 s0, s10, s7
	s_add_i32 s1, s2, s1
	s_lshl_b64 s[0:1], s[0:1], 4
	s_add_u32 s0, s8, s0
	s_addc_u32 s1, s9, s1
	s_load_dwordx4 s[0:3], s[0:1], 0x0
	s_waitcnt lgkmcnt(0)
	v_cmp_neq_f64_e64 s7, s[0:1], 0
	v_cmp_neq_f64_e64 s8, s[2:3], 0
	s_clause 0x1
	s_load_dwordx2 s[10:11], s[4:5], 0x68
	s_load_dwordx4 s[0:3], s[4:5], 0x58
	s_or_b32 s7, s7, s8
	s_and_b32 vcc_lo, exec_lo, s7
	s_mov_b32 s7, -1
	s_cbranch_vccnz .LBB193_3
; %bb.2:
	s_waitcnt lgkmcnt(0)
	s_mul_i32 s3, s3, s16
	s_mul_hi_u32 s7, s2, s16
	s_mul_i32 s2, s2, s16
	s_add_i32 s3, s7, s3
	s_mov_b32 s7, 0
	s_lshl_b64 s[2:3], s[2:3], 4
	s_add_u32 s0, s0, s2
	s_addc_u32 s1, s1, s3
	s_load_dwordx4 s[0:3], s[0:1], 0x0
	s_waitcnt lgkmcnt(0)
	v_cmp_eq_f64_e64 s0, s[0:1], 1.0
	v_cmp_eq_f64_e64 s1, s[2:3], 0
	s_and_b32 s0, s0, s1
	s_andn2_b32 vcc_lo, exec_lo, s0
.LBB193_3:
	s_andn2_b32 vcc_lo, exec_lo, s7
	s_cbranch_vccnz .LBB193_104
; %bb.4:
	s_waitcnt lgkmcnt(0)
	s_load_dwordx4 s[0:3], s[4:5], 0x38
	s_lshl_b64 s[8:9], s[16:17], 3
	s_load_dword s17, s[4:5], 0x48
	s_add_u32 s20, s12, s8
	s_addc_u32 s21, s13, s9
	s_waitcnt lgkmcnt(0)
	s_add_u32 s0, s0, s8
	s_addc_u32 s1, s1, s9
	s_lshl_b64 s[2:3], s[2:3], 4
	s_load_dwordx2 s[0:1], s[0:1], 0x0
	s_load_dword s26, s[4:5], 0x0
	s_load_dword s27, s[18:19], 0x0
	s_waitcnt lgkmcnt(0)
	s_add_u32 s7, s0, s2
	s_addc_u32 s1, s1, s3
	s_lshl_b32 s12, s6, 6
	s_load_dwordx2 s[2:3], s[20:21], 0x0
	v_add_nc_u32_e32 v139, s12, v0
	s_ashr_i32 s28, s26, 31
	s_add_i32 s9, s27, -1
	s_lshr_b32 s0, s28, 26
	v_mul_lo_u32 v3, s17, v139
	s_add_i32 s8, s26, s0
	v_cmp_ne_u32_e64 s0, 0, v2
	s_andn2_b32 s8, s8, 63
	s_sub_i32 s8, s26, s8
	s_cmp_eq_u32 s6, s9
	v_ashrrev_i32_e32 v4, 31, v3
	s_cselect_b32 s18, s8, 0
	v_lshlrev_b64 v[3:4], 4, v[3:4]
	v_add_co_u32 v39, vcc_lo, s7, v3
	v_add_co_ci_u32_e64 v40, null, s1, v4, vcc_lo
	v_cmp_eq_u32_e64 s1, 0, v2
	s_mov_b32 s7, -1
	s_and_saveexec_b32 s8, s1
	s_cbranch_execz .LBB193_9
; %bb.5:
	v_cmp_le_i32_e32 vcc_lo, s18, v0
	s_cmp_lg_u32 s18, 0
	v_lshl_add_u32 v1, v0, 4, 0x4700
	s_cselect_b32 s9, -1, 0
	s_and_b32 s9, s9, vcc_lo
	s_and_saveexec_b32 s13, s9
	s_xor_b32 s9, exec_lo, s13
	s_cbranch_execz .LBB193_7
; %bb.6:
	v_mov_b32_e32 v3, 0
	v_mov_b32_e32 v4, v3
	;; [unrolled: 1-line block ×4, first 2 shown]
	ds_write_b128 v1, v[3:6]
                                        ; implicit-def: $vgpr1
.LBB193_7:
	s_andn2_saveexec_b32 s9, s9
	s_cbranch_execz .LBB193_9
; %bb.8:
	flat_load_dwordx4 v[3:6], v[39:40]
	s_waitcnt vmcnt(0) lgkmcnt(0)
	ds_write2_b64 v1, v[3:4], v[5:6] offset1:1
.LBB193_9:
	s_or_b32 exec_lo, exec_lo, s8
	s_load_dword s20, s[4:5], 0x28
	v_lshl_add_u32 v45, v2, 6, v0
	v_and_b32_e32 v1, 31, v0
	s_lshl_b64 s[4:5], s[14:15], 4
	s_waitcnt lgkmcnt(0)
	s_add_u32 s4, s2, s4
	v_lshrrev_b32_e32 v11, 5, v45
	s_addc_u32 s5, s3, s5
	s_ashr_i32 s13, s12, 31
	s_lshl_b64 s[2:3], s[12:13], 4
	s_add_u32 s4, s4, s2
	s_addc_u32 s5, s5, s3
	v_mad_u64_u32 v[3:4], null, s20, v11, v[1:2]
	s_mul_i32 s2, s20, s12
	s_ashr_i32 s3, s2, 31
	s_lshl_b64 s[14:15], s[2:3], 4
	s_cmp_lg_u32 s18, 0
	v_ashrrev_i32_e32 v4, 31, v3
	s_cselect_b32 s13, -1, 0
	s_cmp_eq_u32 s18, 0
	s_cselect_b32 s8, -1, 0
	v_lshlrev_b64 v[41:42], 4, v[3:4]
	v_add_co_u32 v3, vcc_lo, s4, v41
	v_add_co_ci_u32_e64 v4, null, s5, v42, vcc_lo
	v_add_co_u32 v7, vcc_lo, v3, s14
	v_add_co_ci_u32_e64 v8, null, s15, v4, vcc_lo
	s_and_b32 vcc_lo, exec_lo, s13
	s_cbranch_vccnz .LBB193_11
; %bb.10:
	flat_load_dwordx4 v[3:6], v[7:8]
	s_lshl_b32 s2, s20, 3
	v_mul_u32_u24_e32 v9, 0x210, v11
	s_ashr_i32 s3, s2, 31
	s_ashr_i32 s21, s20, 31
	s_lshl_b64 s[2:3], s[2:3], 4
	s_mov_b32 s7, 0
	v_lshl_add_u32 v12, v1, 4, v9
	v_add_co_u32 v9, vcc_lo, v7, s2
	v_add_co_ci_u32_e64 v10, null, s3, v8, vcc_lo
	s_lshl_b64 s[2:3], s[20:21], 7
	v_add_nc_u32_e32 v13, 0x1080, v12
	s_waitcnt vmcnt(0) lgkmcnt(0)
	ds_write2_b64 v12, v[3:4], v[5:6] offset1:1
	flat_load_dwordx4 v[3:6], v[9:10]
	v_add_co_u32 v9, vcc_lo, v9, s2
	v_add_co_ci_u32_e64 v10, null, s3, v10, vcc_lo
	s_waitcnt vmcnt(0) lgkmcnt(0)
	ds_write2_b64 v13, v[3:4], v[5:6] offset1:1
	flat_load_dwordx4 v[3:6], v[9:10]
	v_add_co_u32 v9, vcc_lo, v9, s2
	v_add_nc_u32_e32 v13, 0x2100, v12
	v_add_co_ci_u32_e64 v10, null, s3, v10, vcc_lo
	s_waitcnt vmcnt(0) lgkmcnt(0)
	ds_write2_b64 v13, v[3:4], v[5:6] offset1:1
	flat_load_dwordx4 v[3:6], v[9:10]
	v_add_nc_u32_e32 v9, 0x3180, v12
	s_waitcnt vmcnt(0) lgkmcnt(0)
	ds_write2_b64 v9, v[3:4], v[5:6] offset1:1
.LBB193_11:
	v_lshlrev_b32_e32 v12, 4, v1
	s_andn2_b32 vcc_lo, exec_lo, s7
	s_cbranch_vccnz .LBB193_29
; %bb.12:
	v_sub_co_u32 v3, vcc_lo, v7, v12
	s_ashr_i32 s19, s18, 31
	v_subrev_co_ci_u32_e64 v4, null, 0, v8, vcc_lo
	s_lshl_b64 s[4:5], s[18:19], 4
	v_cmp_le_i32_e64 s2, s18, v11
	v_add_co_u32 v3, vcc_lo, v3, s4
	v_add_co_ci_u32_e64 v4, null, s5, v4, vcc_lo
	v_mad_u32_u24 v5, 0x210, v11, v12
	v_add_co_u32 v3, vcc_lo, v3, -16
	v_add_co_ci_u32_e64 v4, null, -1, v4, vcc_lo
	v_cmp_gt_i32_e32 vcc_lo, s18, v1
	v_cndmask_b32_e32 v4, v4, v8, vcc_lo
	v_cndmask_b32_e32 v3, v3, v7, vcc_lo
	s_and_saveexec_b32 s3, s2
	s_xor_b32 s2, exec_lo, s3
	s_cbranch_execz .LBB193_14
; %bb.13:
	v_mov_b32_e32 v13, 0
	v_mov_b32_e32 v14, v13
	;; [unrolled: 1-line block ×4, first 2 shown]
	ds_write_b128 v5, v[13:16]
                                        ; implicit-def: $vgpr5
.LBB193_14:
	s_andn2_saveexec_b32 s2, s2
	s_cbranch_execz .LBB193_16
; %bb.15:
	flat_load_dwordx4 v[13:16], v[3:4]
	s_waitcnt vmcnt(0) lgkmcnt(0)
	ds_write2_b64 v5, v[13:14], v[15:16] offset1:1
.LBB193_16:
	s_or_b32 exec_lo, exec_lo, s2
	v_add_nc_u32_e32 v6, 8, v11
	v_mul_u32_u24_e32 v5, 0x210, v11
	v_cmp_le_i32_e64 s2, s18, v6
	s_and_saveexec_b32 s3, s2
	s_xor_b32 s2, exec_lo, s3
	s_cbranch_execz .LBB193_18
; %bb.17:
	v_mov_b32_e32 v13, 0
	v_add_nc_u32_e32 v6, v5, v12
	v_mov_b32_e32 v14, v13
	v_mov_b32_e32 v15, v13
	;; [unrolled: 1-line block ×3, first 2 shown]
	ds_write_b128 v6, v[13:16] offset:4224
.LBB193_18:
	s_andn2_saveexec_b32 s3, s2
	s_cbranch_execz .LBB193_20
; %bb.19:
	s_lshl_b32 s22, s20, 3
	v_add3_u32 v6, v5, v12, 0x1080
	s_ashr_i32 s23, s22, 31
	s_lshl_b64 s[22:23], s[22:23], 4
	v_add_co_u32 v9, s2, v3, s22
	v_add_co_ci_u32_e64 v10, null, s23, v4, s2
	flat_load_dwordx4 v[13:16], v[9:10]
	s_waitcnt vmcnt(0) lgkmcnt(0)
	ds_write2_b64 v6, v[13:14], v[15:16] offset1:1
.LBB193_20:
	s_or_b32 exec_lo, exec_lo, s3
	v_add_nc_u32_e32 v6, 16, v11
	v_cmp_le_i32_e64 s2, s18, v6
	s_and_saveexec_b32 s3, s2
	s_xor_b32 s2, exec_lo, s3
	s_cbranch_execz .LBB193_22
; %bb.21:
	v_mov_b32_e32 v13, 0
	v_add_nc_u32_e32 v6, v5, v12
	v_mov_b32_e32 v14, v13
	v_mov_b32_e32 v15, v13
	;; [unrolled: 1-line block ×3, first 2 shown]
	ds_write_b128 v6, v[13:16] offset:8448
.LBB193_22:
	s_andn2_saveexec_b32 s3, s2
	s_cbranch_execz .LBB193_24
; %bb.23:
	s_lshl_b32 s22, s20, 4
	v_add3_u32 v6, v5, v12, 0x2100
	s_ashr_i32 s23, s22, 31
	s_lshl_b64 s[22:23], s[22:23], 4
	v_add_co_u32 v9, s2, v3, s22
	v_add_co_ci_u32_e64 v10, null, s23, v4, s2
	flat_load_dwordx4 v[13:16], v[9:10]
	s_waitcnt vmcnt(0) lgkmcnt(0)
	ds_write2_b64 v6, v[13:14], v[15:16] offset1:1
.LBB193_24:
	s_or_b32 exec_lo, exec_lo, s3
	v_add_nc_u32_e32 v6, 24, v11
	v_cmp_le_i32_e64 s2, s18, v6
	s_and_saveexec_b32 s3, s2
	s_xor_b32 s2, exec_lo, s3
	s_cbranch_execz .LBB193_26
; %bb.25:
	v_mov_b32_e32 v13, 0
	v_add_nc_u32_e32 v5, v5, v12
	v_mov_b32_e32 v14, v13
	v_mov_b32_e32 v15, v13
	;; [unrolled: 1-line block ×3, first 2 shown]
	ds_write_b128 v5, v[13:16] offset:12672
                                        ; implicit-def: $vgpr5
.LBB193_26:
	s_andn2_saveexec_b32 s3, s2
	s_cbranch_execz .LBB193_28
; %bb.27:
	s_mul_i32 s22, s20, 24
	v_add3_u32 v5, v5, v12, 0x3180
	s_ashr_i32 s23, s22, 31
	s_lshl_b64 s[22:23], s[22:23], 4
	v_add_co_u32 v9, s2, v3, s22
	v_add_co_ci_u32_e64 v10, null, s23, v4, s2
	flat_load_dwordx4 v[13:16], v[9:10]
	s_waitcnt vmcnt(0) lgkmcnt(0)
	ds_write2_b64 v5, v[13:14], v[15:16] offset1:1
.LBB193_28:
	s_or_b32 exec_lo, exec_lo, s3
	v_add_co_u32 v3, s2, v3, v12
	v_add_co_ci_u32_e64 v4, null, 0, v4, s2
	v_sub_co_u32 v3, s2, v3, s4
	v_subrev_co_ci_u32_e64 v4, null, s5, v4, s2
	v_add_co_u32 v3, s2, v3, 16
	v_add_co_ci_u32_e64 v4, null, 0, v4, s2
	v_cndmask_b32_e32 v7, v3, v7, vcc_lo
	v_cndmask_b32_e32 v8, v4, v8, vcc_lo
.LBB193_29:
	v_lshlrev_b32_e32 v13, 2, v11
	v_lshl_or_b32 v4, v1, 9, v12
	v_mad_u32_u24 v14, 0x840, v11, v12
	s_waitcnt lgkmcnt(0)
	s_barrier
	v_cmp_lt_u32_e64 s3, v13, v1
	buffer_gl0_inv
	s_and_saveexec_b32 s2, s3
	s_cbranch_execz .LBB193_31
; %bb.30:
	ds_read_b128 v[15:18], v14
	v_lshl_add_u32 v3, v13, 4, v4
	s_waitcnt lgkmcnt(0)
	ds_write_b128 v3, v[15:18]
.LBB193_31:
	s_or_b32 exec_lo, exec_lo, s2
	v_or_b32_e32 v3, 1, v13
	v_cmp_lt_u32_e64 s4, v3, v1
	v_mad_u32_u24 v15, 0x210, v3, v12
	s_and_saveexec_b32 s2, s4
	s_cbranch_execz .LBB193_33
; %bb.32:
	ds_read_b128 v[16:19], v15
	v_lshl_add_u32 v3, v13, 4, v4
	s_waitcnt lgkmcnt(0)
	ds_write_b128 v3, v[16:19] offset:16
.LBB193_33:
	s_or_b32 exec_lo, exec_lo, s2
	v_or_b32_e32 v3, 2, v13
	v_cmp_lt_u32_e64 s5, v3, v1
	s_and_saveexec_b32 s2, s5
	s_cbranch_execz .LBB193_35
; %bb.34:
	v_mad_u32_u24 v3, 0x210, v3, v12
	ds_read_b128 v[16:19], v3
	v_lshl_add_u32 v3, v13, 4, v4
	s_waitcnt lgkmcnt(0)
	ds_write_b128 v3, v[16:19] offset:32
.LBB193_35:
	s_or_b32 exec_lo, exec_lo, s2
	v_or_b32_e32 v5, 3, v13
	s_mov_b32 s2, exec_lo
                                        ; implicit-def: $vgpr3
	v_cmp_lt_u32_e64 s7, v5, v1
	v_cmpx_ge_u32_e64 v5, v1
	s_xor_b32 s2, exec_lo, s2
; %bb.36:
	v_mul_u32_u24_e32 v3, 0x210, v5
                                        ; implicit-def: $vgpr4
                                        ; implicit-def: $vgpr5
; %bb.37:
	s_andn2_saveexec_b32 s2, s2
	s_cbranch_execz .LBB193_39
; %bb.38:
	v_mad_u32_u24 v3, 0x210, v5, v12
	v_lshl_add_u32 v4, v13, 4, v4
	ds_read_b128 v[16:19], v3
	v_mul_u32_u24_e32 v3, 0x210, v5
	s_waitcnt lgkmcnt(0)
	ds_write_b128 v4, v[16:19] offset:48
.LBB193_39:
	s_or_b32 exec_lo, exec_lo, s2
	v_lshlrev_b32_e32 v18, 4, v13
	s_waitcnt lgkmcnt(0)
	s_barrier
	buffer_gl0_inv
	ds_read_b128 v[19:22], v14
	ds_read_b128 v[23:26], v18 offset:18176
	v_add_nc_u32_e32 v16, v12, v3
	ds_read_b128 v[3:6], v15 offset:528
	ds_read_b128 v[27:30], v18 offset:18192
	ds_read_b128 v[31:34], v15
	ds_read_b128 v[35:38], v16
	ds_read_b128 v[46:49], v18 offset:18208
	v_cmp_gt_u32_e64 s2, 32, v45
	s_waitcnt lgkmcnt(5)
	v_mul_f64 v[9:10], v[25:26], v[21:22]
	v_mul_f64 v[21:22], v[23:24], v[21:22]
	s_waitcnt lgkmcnt(2)
	v_mul_f64 v[43:44], v[29:30], v[33:34]
	v_mul_f64 v[33:34], v[27:28], v[33:34]
	v_fma_f64 v[9:10], v[23:24], v[19:20], -v[9:10]
	v_fma_f64 v[23:24], v[25:26], v[19:20], v[21:22]
	ds_read_b128 v[19:22], v18 offset:18224
	s_waitcnt lgkmcnt(1)
	v_mul_f64 v[25:26], v[48:49], v[5:6]
	v_mul_f64 v[5:6], v[46:47], v[5:6]
	v_fma_f64 v[27:28], v[27:28], v[31:32], -v[43:44]
	v_fma_f64 v[29:30], v[29:30], v[31:32], v[33:34]
	s_waitcnt lgkmcnt(0)
	s_barrier
	buffer_gl0_inv
	v_mul_f64 v[31:32], v[21:22], v[37:38]
	v_add_f64 v[9:10], v[9:10], 0
	v_add_f64 v[23:24], v[23:24], 0
	v_mul_f64 v[33:34], v[19:20], v[37:38]
	v_fma_f64 v[25:26], v[46:47], v[3:4], -v[25:26]
	v_fma_f64 v[3:4], v[48:49], v[3:4], v[5:6]
	v_fma_f64 v[19:20], v[19:20], v[35:36], -v[31:32]
	v_add_f64 v[5:6], v[9:10], v[27:28]
	v_add_f64 v[9:10], v[23:24], v[29:30]
	v_fma_f64 v[21:22], v[21:22], v[35:36], v[33:34]
	v_add_f64 v[5:6], v[5:6], v[25:26]
	v_add_f64 v[3:4], v[9:10], v[3:4]
	;; [unrolled: 1-line block ×4, first 2 shown]
	v_mul_u32_u24_e32 v3, 33, v1
	v_mov_b32_e32 v5, 0
	v_mov_b32_e32 v6, 0
	v_lshlrev_b32_e32 v46, 4, v3
	v_mov_b32_e32 v3, 0
	v_mov_b32_e32 v4, 0
	v_lshl_add_u32 v47, v11, 4, v46
	ds_write_b128 v47, v[19:22]
	s_waitcnt lgkmcnt(0)
	s_barrier
	buffer_gl0_inv
	s_and_saveexec_b32 s9, s2
	s_cbranch_execz .LBB193_41
; %bb.40:
	ds_read_b128 v[3:6], v46
	ds_read_b128 v[19:22], v46 offset:16
	s_waitcnt lgkmcnt(0)
	v_add_f64 v[9:10], v[19:20], v[3:4]
	v_add_f64 v[23:24], v[21:22], v[5:6]
	ds_read_b128 v[3:6], v46 offset:32
	ds_read_b128 v[19:22], v46 offset:48
	s_waitcnt lgkmcnt(1)
	v_add_f64 v[3:4], v[9:10], v[3:4]
	v_add_f64 v[5:6], v[23:24], v[5:6]
	s_waitcnt lgkmcnt(0)
	v_add_f64 v[9:10], v[3:4], v[19:20]
	v_add_f64 v[23:24], v[5:6], v[21:22]
	ds_read_b128 v[3:6], v46 offset:64
	ds_read_b128 v[19:22], v46 offset:80
	s_waitcnt lgkmcnt(1)
	v_add_f64 v[3:4], v[9:10], v[3:4]
	v_add_f64 v[5:6], v[23:24], v[5:6]
	s_waitcnt lgkmcnt(0)
	v_add_f64 v[9:10], v[3:4], v[19:20]
	v_add_f64 v[23:24], v[5:6], v[21:22]
	ds_read_b128 v[3:6], v46 offset:96
	ds_read_b128 v[19:22], v46 offset:112
	s_waitcnt lgkmcnt(1)
	v_add_f64 v[3:4], v[9:10], v[3:4]
	v_add_f64 v[5:6], v[23:24], v[5:6]
	s_waitcnt lgkmcnt(0)
	v_add_f64 v[3:4], v[3:4], v[19:20]
	v_add_f64 v[5:6], v[5:6], v[21:22]
.LBB193_41:
	s_or_b32 exec_lo, exec_lo, s9
	s_lshl_b32 s22, s20, 5
	v_cndmask_b32_e64 v17, 0, 1, s8
	s_ashr_i32 s23, s22, 31
	s_lshl_b64 s[22:23], s[22:23], 4
	s_barrier
	v_add_co_u32 v9, vcc_lo, v7, s22
	v_add_co_ci_u32_e64 v10, null, s23, v8, vcc_lo
	buffer_gl0_inv
	v_add_co_u32 v7, vcc_lo, 0x200, v9
	v_add_co_ci_u32_e64 v8, null, 0, v10, vcc_lo
	s_andn2_b32 vcc_lo, exec_lo, s8
	s_mov_b32 s8, -1
	s_cbranch_vccnz .LBB193_43
; %bb.42:
	flat_load_dwordx4 v[19:22], v[7:8]
	s_lshl_b32 s8, s20, 3
	v_mad_u32_u24 v25, 0x210, v11, v12
	s_ashr_i32 s9, s8, 31
	s_ashr_i32 s21, s20, 31
	s_lshl_b64 s[8:9], s[8:9], 4
	v_add_co_u32 v23, vcc_lo, v9, s8
	v_add_co_ci_u32_e64 v24, null, s9, v10, vcc_lo
	s_lshl_b64 s[8:9], s[20:21], 7
	v_add_nc_u32_e32 v26, 0x1080, v25
	s_waitcnt vmcnt(0) lgkmcnt(0)
	ds_write2_b64 v25, v[19:20], v[21:22] offset1:1
	flat_load_dwordx4 v[19:22], v[23:24] offset:512
	v_add_co_u32 v23, vcc_lo, v23, s8
	v_add_co_ci_u32_e64 v24, null, s9, v24, vcc_lo
	s_waitcnt vmcnt(0) lgkmcnt(0)
	ds_write2_b64 v26, v[19:20], v[21:22] offset1:1
	flat_load_dwordx4 v[19:22], v[23:24] offset:512
	v_add_co_u32 v23, vcc_lo, v23, s8
	v_add_nc_u32_e32 v26, 0x2100, v25
	v_add_co_ci_u32_e64 v24, null, s9, v24, vcc_lo
	s_mov_b32 s8, 0
	s_waitcnt vmcnt(0) lgkmcnt(0)
	ds_write2_b64 v26, v[19:20], v[21:22] offset1:1
	flat_load_dwordx4 v[19:22], v[23:24] offset:512
	v_add_nc_u32_e32 v23, 0x3180, v25
	s_waitcnt vmcnt(0) lgkmcnt(0)
	ds_write2_b64 v23, v[19:20], v[21:22] offset1:1
.LBB193_43:
	s_andn2_b32 vcc_lo, exec_lo, s8
	s_cbranch_vccnz .LBB193_61
; %bb.44:
	v_sub_co_u32 v9, vcc_lo, v9, v12
	s_ashr_i32 s19, s18, 31
	v_subrev_co_ci_u32_e64 v10, null, 0, v10, vcc_lo
	s_lshl_b64 s[24:25], s[18:19], 4
	v_or_b32_e32 v19, 32, v1
	v_add_co_u32 v9, vcc_lo, v9, s24
	v_add_co_ci_u32_e64 v10, null, s25, v10, vcc_lo
	s_sub_i32 s9, s18, 32
	v_add_co_u32 v9, vcc_lo, v9, -16
	v_add_co_ci_u32_e64 v10, null, -1, v10, vcc_lo
	v_cmp_gt_i32_e32 vcc_lo, s18, v19
	v_cmp_le_i32_e64 s8, s9, v11
	v_mad_u32_u24 v19, 0x210, v11, v12
	v_cndmask_b32_e32 v10, v10, v8, vcc_lo
	v_cndmask_b32_e32 v9, v9, v7, vcc_lo
	s_and_saveexec_b32 s19, s8
	s_xor_b32 s8, exec_lo, s19
	s_cbranch_execz .LBB193_46
; %bb.45:
	v_mov_b32_e32 v20, 0
	v_mov_b32_e32 v21, v20
	;; [unrolled: 1-line block ×4, first 2 shown]
	ds_write_b128 v19, v[20:23]
                                        ; implicit-def: $vgpr19
.LBB193_46:
	s_andn2_saveexec_b32 s8, s8
	s_cbranch_execz .LBB193_48
; %bb.47:
	flat_load_dwordx4 v[20:23], v[9:10]
	s_waitcnt vmcnt(0) lgkmcnt(0)
	ds_write2_b64 v19, v[20:21], v[22:23] offset1:1
.LBB193_48:
	s_or_b32 exec_lo, exec_lo, s8
	v_add_nc_u32_e32 v20, 8, v11
	v_mul_u32_u24_e32 v19, 0x210, v11
	v_cmp_le_i32_e64 s8, s9, v20
	s_and_saveexec_b32 s19, s8
	s_xor_b32 s8, exec_lo, s19
	s_cbranch_execz .LBB193_50
; %bb.49:
	v_mov_b32_e32 v20, 0
	v_add_nc_u32_e32 v24, v19, v12
	v_mov_b32_e32 v21, v20
	v_mov_b32_e32 v22, v20
	;; [unrolled: 1-line block ×3, first 2 shown]
	ds_write_b128 v24, v[20:23] offset:4224
.LBB193_50:
	s_andn2_saveexec_b32 s19, s8
	s_cbranch_execz .LBB193_52
; %bb.51:
	s_lshl_b32 s30, s20, 3
	v_add3_u32 v24, v19, v12, 0x1080
	s_ashr_i32 s31, s30, 31
	s_lshl_b64 s[30:31], s[30:31], 4
	v_add_co_u32 v20, s8, v9, s30
	v_add_co_ci_u32_e64 v21, null, s31, v10, s8
	flat_load_dwordx4 v[20:23], v[20:21]
	s_waitcnt vmcnt(0) lgkmcnt(0)
	ds_write2_b64 v24, v[20:21], v[22:23] offset1:1
.LBB193_52:
	s_or_b32 exec_lo, exec_lo, s19
	v_add_nc_u32_e32 v20, 16, v11
	v_cmp_le_i32_e64 s8, s9, v20
	s_and_saveexec_b32 s19, s8
	s_xor_b32 s8, exec_lo, s19
	s_cbranch_execz .LBB193_54
; %bb.53:
	v_mov_b32_e32 v20, 0
	v_add_nc_u32_e32 v24, v19, v12
	v_mov_b32_e32 v21, v20
	v_mov_b32_e32 v22, v20
	;; [unrolled: 1-line block ×3, first 2 shown]
	ds_write_b128 v24, v[20:23] offset:8448
.LBB193_54:
	s_andn2_saveexec_b32 s19, s8
	s_cbranch_execz .LBB193_56
; %bb.55:
	s_lshl_b32 s30, s20, 4
	v_add3_u32 v24, v19, v12, 0x2100
	s_ashr_i32 s31, s30, 31
	s_lshl_b64 s[30:31], s[30:31], 4
	v_add_co_u32 v20, s8, v9, s30
	v_add_co_ci_u32_e64 v21, null, s31, v10, s8
	flat_load_dwordx4 v[20:23], v[20:21]
	s_waitcnt vmcnt(0) lgkmcnt(0)
	ds_write2_b64 v24, v[20:21], v[22:23] offset1:1
.LBB193_56:
	s_or_b32 exec_lo, exec_lo, s19
	v_add_nc_u32_e32 v20, 24, v11
	v_cmp_le_i32_e64 s8, s9, v20
	s_and_saveexec_b32 s9, s8
	s_xor_b32 s8, exec_lo, s9
	s_cbranch_execz .LBB193_58
; %bb.57:
	v_mov_b32_e32 v20, 0
	v_add_nc_u32_e32 v19, v19, v12
	v_mov_b32_e32 v21, v20
	v_mov_b32_e32 v22, v20
	v_mov_b32_e32 v23, v20
	ds_write_b128 v19, v[20:23] offset:12672
                                        ; implicit-def: $vgpr19
.LBB193_58:
	s_andn2_saveexec_b32 s9, s8
	s_cbranch_execz .LBB193_60
; %bb.59:
	s_mul_i32 s30, s20, 24
	v_add3_u32 v19, v19, v12, 0x3180
	s_ashr_i32 s31, s30, 31
	s_lshl_b64 s[30:31], s[30:31], 4
	v_add_co_u32 v20, s8, v9, s30
	v_add_co_ci_u32_e64 v21, null, s31, v10, s8
	flat_load_dwordx4 v[20:23], v[20:21]
	s_waitcnt vmcnt(0) lgkmcnt(0)
	ds_write2_b64 v19, v[20:21], v[22:23] offset1:1
.LBB193_60:
	s_or_b32 exec_lo, exec_lo, s9
	v_add_co_u32 v9, s8, v9, v12
	v_add_co_ci_u32_e64 v10, null, 0, v10, s8
	v_sub_co_u32 v9, s8, v9, s24
	v_subrev_co_ci_u32_e64 v10, null, s25, v10, s8
	v_add_co_u32 v9, s8, 0x210, v9
	v_add_co_ci_u32_e64 v10, null, 0, v10, s8
	v_cndmask_b32_e32 v7, v9, v7, vcc_lo
	v_cndmask_b32_e32 v8, v10, v8, vcc_lo
.LBB193_61:
	v_add_nc_u32_e32 v9, 0x4700, v18
	v_add_nc_u32_e32 v10, 0x210, v15
	s_waitcnt lgkmcnt(0)
	s_barrier
	buffer_gl0_inv
	s_and_saveexec_b32 s8, s3
	s_cbranch_execnz .LBB193_70
; %bb.62:
	s_or_b32 exec_lo, exec_lo, s8
	s_and_saveexec_b32 s3, s4
	s_cbranch_execnz .LBB193_71
.LBB193_63:
	s_or_b32 exec_lo, exec_lo, s3
	s_and_saveexec_b32 s3, s5
	s_cbranch_execnz .LBB193_72
.LBB193_64:
	s_or_b32 exec_lo, exec_lo, s3
	s_and_saveexec_b32 s3, s7
	s_cbranch_execz .LBB193_66
.LBB193_65:
	ds_read_b128 v[18:21], v16
	v_lshl_add_u32 v22, v13, 4, v46
	s_waitcnt lgkmcnt(0)
	ds_write_b128 v22, v[18:21] offset:48
.LBB193_66:
	s_or_b32 exec_lo, exec_lo, s3
	s_waitcnt lgkmcnt(0)
	s_barrier
	buffer_gl0_inv
	ds_read_b128 v[18:21], v14
	ds_read_b128 v[22:25], v9 offset:512
	ds_read_b128 v[26:29], v9 offset:528
	ds_read_b128 v[30:33], v15
	ds_read_b128 v[34:37], v9 offset:544
	ds_read_b128 v[48:51], v10
	v_cmp_eq_u32_e64 s3, 1, v11
	s_waitcnt lgkmcnt(4)
	v_mul_f64 v[14:15], v[24:25], v[20:21]
	v_mul_f64 v[20:21], v[22:23], v[20:21]
	s_waitcnt lgkmcnt(2)
	v_mul_f64 v[43:44], v[28:29], v[32:33]
	v_mul_f64 v[32:33], v[26:27], v[32:33]
	;; [unrolled: 3-line block ×3, first 2 shown]
	v_fma_f64 v[14:15], v[22:23], v[18:19], -v[14:15]
	v_fma_f64 v[52:53], v[24:25], v[18:19], v[20:21]
	v_fma_f64 v[26:27], v[26:27], v[30:31], -v[43:44]
	v_fma_f64 v[28:29], v[28:29], v[30:31], v[32:33]
	ds_read_b128 v[18:21], v9 offset:560
	ds_read_b128 v[22:25], v16
	v_fma_f64 v[34:35], v[34:35], v[48:49], -v[54:55]
	v_fma_f64 v[36:37], v[36:37], v[48:49], v[50:51]
	s_waitcnt lgkmcnt(0)
	s_barrier
	buffer_gl0_inv
	v_add_f64 v[14:15], v[14:15], 0
	v_add_f64 v[30:31], v[52:53], 0
	v_mul_f64 v[32:33], v[20:21], v[24:25]
	v_mul_f64 v[24:25], v[18:19], v[24:25]
	v_add_f64 v[14:15], v[14:15], v[26:27]
	v_add_f64 v[26:27], v[30:31], v[28:29]
	v_fma_f64 v[18:19], v[18:19], v[22:23], -v[32:33]
	v_fma_f64 v[20:21], v[20:21], v[22:23], v[24:25]
	v_add_f64 v[14:15], v[14:15], v[34:35]
	v_add_f64 v[22:23], v[26:27], v[36:37]
	;; [unrolled: 1-line block ×4, first 2 shown]
	ds_write_b128 v47, v[18:21]
	s_waitcnt lgkmcnt(0)
	s_barrier
	buffer_gl0_inv
	s_and_saveexec_b32 s4, s3
	s_cbranch_execz .LBB193_68
; %bb.67:
	ds_read_b128 v[3:6], v46
	ds_read_b128 v[18:21], v46 offset:16
	s_waitcnt lgkmcnt(0)
	v_add_f64 v[14:15], v[18:19], v[3:4]
	v_add_f64 v[22:23], v[20:21], v[5:6]
	ds_read_b128 v[3:6], v46 offset:32
	ds_read_b128 v[18:21], v46 offset:48
	s_waitcnt lgkmcnt(1)
	v_add_f64 v[3:4], v[14:15], v[3:4]
	v_add_f64 v[5:6], v[22:23], v[5:6]
	s_waitcnt lgkmcnt(0)
	v_add_f64 v[14:15], v[3:4], v[18:19]
	v_add_f64 v[22:23], v[5:6], v[20:21]
	ds_read_b128 v[3:6], v46 offset:64
	ds_read_b128 v[18:21], v46 offset:80
	s_waitcnt lgkmcnt(1)
	v_add_f64 v[3:4], v[14:15], v[3:4]
	v_add_f64 v[5:6], v[22:23], v[5:6]
	s_waitcnt lgkmcnt(0)
	v_add_f64 v[14:15], v[3:4], v[18:19]
	v_add_f64 v[22:23], v[5:6], v[20:21]
	ds_read_b128 v[3:6], v46 offset:96
	ds_read_b128 v[18:21], v46 offset:112
	s_waitcnt lgkmcnt(1)
	v_add_f64 v[3:4], v[14:15], v[3:4]
	v_add_f64 v[5:6], v[22:23], v[5:6]
	s_waitcnt lgkmcnt(0)
	v_add_f64 v[3:4], v[3:4], v[18:19]
	v_add_f64 v[5:6], v[5:6], v[20:21]
.LBB193_68:
	s_or_b32 exec_lo, exec_lo, s4
	v_cmp_ne_u32_e32 vcc_lo, 1, v17
	v_sub_co_u32 v43, s4, v7, s22
	v_subrev_co_ci_u32_e64 v44, null, s23, v8, s4
	s_barrier
	buffer_gl0_inv
	s_cbranch_vccnz .LBB193_73
; %bb.69:
	flat_load_dwordx4 v[14:17], v[43:44]
	s_lshl_b32 s4, s20, 3
	v_mad_u32_u24 v7, 0x210, v11, v12
	s_ashr_i32 s5, s4, 31
	s_ashr_i32 s21, s20, 31
	s_lshl_b64 s[4:5], s[4:5], 4
	s_movk_i32 s7, 0x2100
	v_add_co_u32 v18, vcc_lo, v43, s4
	v_add_co_ci_u32_e64 v19, null, s5, v44, vcc_lo
	s_movk_i32 s4, 0x1080
	v_mad_u32_u24 v8, 0x210, v11, s4
	s_lshl_b64 s[4:5], s[20:21], 7
	s_waitcnt vmcnt(0) lgkmcnt(0)
	ds_write2_b64 v7, v[14:15], v[16:17] offset1:1
	flat_load_dwordx4 v[14:17], v[18:19]
	v_add_co_u32 v18, vcc_lo, v18, s4
	v_add_nc_u32_e32 v7, v12, v8
	v_add_co_ci_u32_e64 v19, null, s5, v19, vcc_lo
	s_waitcnt vmcnt(0) lgkmcnt(0)
	ds_write2_b64 v7, v[14:15], v[16:17] offset1:1
	flat_load_dwordx4 v[14:17], v[18:19]
	v_mad_u32_u24 v7, 0x210, v11, s7
	v_add_co_u32 v18, vcc_lo, v18, s4
	v_add_co_ci_u32_e64 v19, null, s5, v19, vcc_lo
	v_add_nc_u32_e32 v10, v12, v7
	s_movk_i32 s4, 0x3180
	s_waitcnt vmcnt(0) lgkmcnt(0)
	ds_write2_b64 v10, v[14:15], v[16:17] offset1:1
	flat_load_dwordx4 v[18:21], v[18:19]
	v_mad_u32_u24 v17, 0x210, v11, s4
	v_mul_u32_u24_e32 v15, 0x210, v11
	v_add_nc_u32_e32 v14, 8, v11
	v_add_nc_u32_e32 v10, 16, v11
	;; [unrolled: 1-line block ×4, first 2 shown]
	s_waitcnt vmcnt(0) lgkmcnt(0)
	ds_write2_b64 v22, v[18:19], v[20:21] offset1:1
	s_cbranch_execz .LBB193_74
	s_branch .LBB193_91
.LBB193_70:
	ds_read_b128 v[18:21], v14
	v_lshl_add_u32 v22, v13, 4, v46
	s_waitcnt lgkmcnt(0)
	ds_write_b128 v22, v[18:21]
	s_or_b32 exec_lo, exec_lo, s8
	s_and_saveexec_b32 s3, s4
	s_cbranch_execz .LBB193_63
.LBB193_71:
	ds_read_b128 v[18:21], v15
	v_lshl_add_u32 v22, v13, 4, v46
	s_waitcnt lgkmcnt(0)
	ds_write_b128 v22, v[18:21] offset:16
	s_or_b32 exec_lo, exec_lo, s3
	s_and_saveexec_b32 s3, s5
	s_cbranch_execz .LBB193_64
.LBB193_72:
	ds_read_b128 v[18:21], v10
	v_lshl_add_u32 v22, v13, 4, v46
	s_waitcnt lgkmcnt(0)
	ds_write_b128 v22, v[18:21] offset:32
	s_or_b32 exec_lo, exec_lo, s3
	s_and_saveexec_b32 s3, s7
	s_cbranch_execnz .LBB193_65
	s_branch .LBB193_66
.LBB193_73:
                                        ; implicit-def: $vgpr15
                                        ; implicit-def: $vgpr14
                                        ; implicit-def: $vgpr8
                                        ; implicit-def: $vgpr10
                                        ; implicit-def: $vgpr7
                                        ; implicit-def: $vgpr16
                                        ; implicit-def: $vgpr17
.LBB193_74:
	v_or_b32_e32 v1, 32, v1
	s_ashr_i32 s19, s18, 31
	v_cmp_le_i32_e64 s4, s18, v11
	s_lshl_b64 s[8:9], s[18:19], 4
	v_lshlrev_b32_e32 v7, 4, v1
	v_sub_co_u32 v7, vcc_lo, v43, v7
	v_subrev_co_ci_u32_e64 v8, null, 0, v44, vcc_lo
	v_add_co_u32 v7, vcc_lo, v7, s8
	v_add_co_ci_u32_e64 v8, null, s9, v8, vcc_lo
	v_add_co_u32 v7, vcc_lo, v7, -16
	v_add_co_ci_u32_e64 v8, null, -1, v8, vcc_lo
	v_cmp_gt_i32_e32 vcc_lo, s18, v1
	v_mad_u32_u24 v1, 0x210, v11, v12
	v_cndmask_b32_e32 v8, v8, v44, vcc_lo
	v_cndmask_b32_e32 v7, v7, v43, vcc_lo
	s_and_saveexec_b32 s5, s4
	s_xor_b32 s4, exec_lo, s5
	s_cbranch_execz .LBB193_76
; %bb.75:
	v_mov_b32_e32 v14, 0
	v_mov_b32_e32 v15, v14
	;; [unrolled: 1-line block ×4, first 2 shown]
	ds_write_b128 v1, v[14:17]
                                        ; implicit-def: $vgpr1
.LBB193_76:
	s_andn2_saveexec_b32 s4, s4
	s_cbranch_execz .LBB193_78
; %bb.77:
	flat_load_dwordx4 v[14:17], v[7:8]
	s_waitcnt vmcnt(0) lgkmcnt(0)
	ds_write2_b64 v1, v[14:15], v[16:17] offset1:1
.LBB193_78:
	s_or_b32 exec_lo, exec_lo, s4
	v_add_nc_u32_e32 v14, 8, v11
	v_mul_u32_u24_e32 v15, 0x210, v11
	v_cmp_le_i32_e64 s4, s18, v14
	s_and_saveexec_b32 s5, s4
	s_xor_b32 s4, exec_lo, s5
	s_cbranch_execz .LBB193_80
; %bb.79:
	v_mov_b32_e32 v16, 0
	v_add_nc_u32_e32 v1, v15, v12
	v_mov_b32_e32 v17, v16
	v_mov_b32_e32 v18, v16
	;; [unrolled: 1-line block ×3, first 2 shown]
	ds_write_b128 v1, v[16:19] offset:4224
.LBB193_80:
	s_andn2_saveexec_b32 s5, s4
	s_cbranch_execz .LBB193_82
; %bb.81:
	s_lshl_b32 s22, s20, 3
	v_add3_u32 v1, v15, v12, 0x1080
	s_ashr_i32 s23, s22, 31
	s_lshl_b64 s[22:23], s[22:23], 4
	v_add_co_u32 v16, s4, v7, s22
	v_add_co_ci_u32_e64 v17, null, s23, v8, s4
	flat_load_dwordx4 v[16:19], v[16:17]
	s_waitcnt vmcnt(0) lgkmcnt(0)
	ds_write2_b64 v1, v[16:17], v[18:19] offset1:1
.LBB193_82:
	s_or_b32 exec_lo, exec_lo, s5
	v_add_nc_u32_e32 v10, 16, v11
	v_cmp_le_i32_e64 s4, s18, v10
	s_and_saveexec_b32 s5, s4
	s_xor_b32 s4, exec_lo, s5
	s_cbranch_execz .LBB193_84
; %bb.83:
	v_mov_b32_e32 v16, 0
	v_add_nc_u32_e32 v1, v15, v12
	v_mov_b32_e32 v17, v16
	v_mov_b32_e32 v18, v16
	;; [unrolled: 1-line block ×3, first 2 shown]
	ds_write_b128 v1, v[16:19] offset:8448
.LBB193_84:
	s_andn2_saveexec_b32 s5, s4
	s_cbranch_execz .LBB193_86
; %bb.85:
	s_lshl_b32 s22, s20, 4
	v_add3_u32 v1, v15, v12, 0x2100
	s_ashr_i32 s23, s22, 31
	s_lshl_b64 s[22:23], s[22:23], 4
	v_add_co_u32 v16, s4, v7, s22
	v_add_co_ci_u32_e64 v17, null, s23, v8, s4
	flat_load_dwordx4 v[16:19], v[16:17]
	s_waitcnt vmcnt(0) lgkmcnt(0)
	ds_write2_b64 v1, v[16:17], v[18:19] offset1:1
.LBB193_86:
	s_or_b32 exec_lo, exec_lo, s5
	v_add_nc_u32_e32 v16, 24, v11
                                        ; implicit-def: $vgpr17
	v_cmp_le_i32_e64 s4, s18, v16
	s_and_saveexec_b32 s5, s4
	s_xor_b32 s4, exec_lo, s5
	s_cbranch_execz .LBB193_88
; %bb.87:
	v_add_nc_u32_e32 v17, 0x3180, v15
	v_mov_b32_e32 v18, 0
	v_add_nc_u32_e32 v1, v12, v17
	v_mov_b32_e32 v19, v18
	v_mov_b32_e32 v20, v18
	v_mov_b32_e32 v21, v18
	ds_write_b128 v1, v[18:21]
.LBB193_88:
	s_andn2_saveexec_b32 s5, s4
	s_cbranch_execz .LBB193_90
; %bb.89:
	s_mul_i32 s22, s20, 24
	s_ashr_i32 s23, s22, 31
	s_lshl_b64 s[22:23], s[22:23], 4
	v_add_co_u32 v17, s4, v7, s22
	v_add_co_ci_u32_e64 v18, null, s23, v8, s4
	flat_load_dwordx4 v[18:21], v[17:18]
	v_add_nc_u32_e32 v17, 0x3180, v15
	v_add_nc_u32_e32 v1, v12, v17
	s_waitcnt vmcnt(0) lgkmcnt(0)
	ds_write2_b64 v1, v[18:19], v[20:21] offset1:1
.LBB193_90:
	s_or_b32 exec_lo, exec_lo, s5
	v_add_co_u32 v1, s4, v7, v12
	v_add_co_ci_u32_e64 v7, null, 0, v8, s4
	v_add_nc_u32_e32 v8, 0x1080, v15
	v_sub_co_u32 v1, s4, v1, s8
	v_subrev_co_ci_u32_e64 v7, null, s9, v7, s4
	v_add_co_u32 v1, s4, 0x210, v1
	v_add_co_ci_u32_e64 v7, null, 0, v7, s4
	v_cndmask_b32_e32 v43, v1, v43, vcc_lo
	v_cndmask_b32_e32 v44, v7, v44, vcc_lo
	v_add_nc_u32_e32 v7, 0x2100, v15
.LBB193_91:
	v_lshlrev_b32_e32 v1, 4, v11
	v_add_nc_u32_e32 v11, v12, v15
	s_waitcnt lgkmcnt(0)
	s_barrier
	buffer_gl0_inv
	ds_read_b128 v[18:21], v1 offset:18176
	ds_read_b128 v[22:25], v11
	v_lshlrev_b32_e32 v1, 4, v14
	v_add_nc_u32_e32 v8, v12, v8
	v_add_nc_u32_e32 v7, v12, v7
	;; [unrolled: 1-line block ×3, first 2 shown]
	ds_read_b128 v[26:29], v1 offset:18176
	ds_read_b128 v[30:33], v8
	v_lshlrev_b32_e32 v1, 4, v10
	ds_read_b128 v[34:37], v1 offset:18176
	ds_read_b128 v[48:51], v7
	v_lshlrev_b32_e32 v1, 4, v16
	s_waitcnt lgkmcnt(4)
	v_mul_f64 v[14:15], v[20:21], v[24:25]
	v_mul_f64 v[24:25], v[18:19], v[24:25]
	s_waitcnt lgkmcnt(2)
	v_mul_f64 v[7:8], v[28:29], v[32:33]
	v_mul_f64 v[10:11], v[26:27], v[32:33]
	v_fma_f64 v[32:33], v[18:19], v[22:23], -v[14:15]
	v_fma_f64 v[22:23], v[20:21], v[22:23], v[24:25]
	s_waitcnt lgkmcnt(0)
	v_mul_f64 v[24:25], v[36:37], v[50:51]
	v_mul_f64 v[50:51], v[34:35], v[50:51]
	ds_read_b128 v[14:17], v1 offset:18176
	ds_read2_b64 v[18:21], v12 offset1:1
	v_lshl_add_u32 v1, v13, 4, v46
	v_fma_f64 v[7:8], v[26:27], v[30:31], -v[7:8]
	v_fma_f64 v[10:11], v[28:29], v[30:31], v[10:11]
	v_add_f64 v[26:27], v[32:33], 0
	v_add_f64 v[22:23], v[22:23], 0
	s_waitcnt lgkmcnt(0)
	v_mul_f64 v[28:29], v[16:17], v[20:21]
	v_mul_f64 v[20:21], v[14:15], v[20:21]
	v_fma_f64 v[24:25], v[34:35], v[48:49], -v[24:25]
	v_fma_f64 v[30:31], v[36:37], v[48:49], v[50:51]
	v_add_f64 v[7:8], v[26:27], v[7:8]
	v_add_f64 v[10:11], v[22:23], v[10:11]
	v_fma_f64 v[14:15], v[14:15], v[18:19], -v[28:29]
	v_fma_f64 v[16:17], v[16:17], v[18:19], v[20:21]
	v_add_f64 v[7:8], v[7:8], v[24:25]
	v_add_f64 v[10:11], v[10:11], v[30:31]
	ds_read_b128 v[31:34], v9 offset:512
	ds_read_b128 v[23:26], v9 offset:528
	v_add_f64 v[48:49], v[7:8], v[14:15]
	v_add_f64 v[50:51], v[10:11], v[16:17]
	ds_read_b128 v[11:14], v9 offset:544
	ds_read_b128 v[7:10], v9 offset:560
	ds_read_b128 v[35:38], v1
	ds_read_b128 v[27:30], v1 offset:16
	ds_read_b128 v[19:22], v1 offset:32
	;; [unrolled: 1-line block ×3, first 2 shown]
	s_waitcnt lgkmcnt(0)
	s_barrier
	buffer_gl0_inv
	ds_write_b128 v47, v[48:51]
	s_waitcnt lgkmcnt(0)
	s_barrier
	buffer_gl0_inv
	s_and_saveexec_b32 s4, s3
	s_cbranch_execz .LBB193_93
; %bb.92:
	ds_read_b128 v[48:51], v46
	ds_read_b128 v[52:55], v46 offset:16
	s_waitcnt lgkmcnt(1)
	v_add_f64 v[3:4], v[3:4], v[48:49]
	v_add_f64 v[5:6], v[5:6], v[50:51]
	s_waitcnt lgkmcnt(0)
	v_add_f64 v[52:53], v[3:4], v[52:53]
	v_add_f64 v[54:55], v[5:6], v[54:55]
	ds_read_b128 v[3:6], v46 offset:32
	ds_read_b128 v[48:51], v46 offset:48
	s_waitcnt lgkmcnt(1)
	v_add_f64 v[3:4], v[52:53], v[3:4]
	v_add_f64 v[5:6], v[54:55], v[5:6]
	s_waitcnt lgkmcnt(0)
	v_add_f64 v[52:53], v[3:4], v[48:49]
	v_add_f64 v[54:55], v[5:6], v[50:51]
	ds_read_b128 v[3:6], v46 offset:64
	;; [unrolled: 8-line block ×3, first 2 shown]
	ds_read_b128 v[48:51], v46 offset:112
	s_waitcnt lgkmcnt(1)
	v_add_f64 v[3:4], v[52:53], v[3:4]
	v_add_f64 v[5:6], v[54:55], v[5:6]
	s_waitcnt lgkmcnt(0)
	v_add_f64 v[3:4], v[3:4], v[48:49]
	v_add_f64 v[5:6], v[5:6], v[50:51]
.LBB193_93:
	s_or_b32 exec_lo, exec_lo, s4
	v_mul_f64 v[48:49], v[37:38], v[33:34]
	v_mul_f64 v[33:34], v[35:36], v[33:34]
	;; [unrolled: 1-line block ×4, first 2 shown]
	s_barrier
	buffer_gl0_inv
	v_fma_f64 v[35:36], v[35:36], v[31:32], -v[48:49]
	v_fma_f64 v[31:32], v[37:38], v[31:32], v[33:34]
	v_mul_f64 v[33:34], v[21:22], v[13:14]
	v_mul_f64 v[13:14], v[19:20], v[13:14]
	v_fma_f64 v[27:28], v[27:28], v[23:24], -v[50:51]
	v_fma_f64 v[23:24], v[29:30], v[23:24], v[25:26]
	v_add_f64 v[25:26], v[35:36], 0
	v_add_f64 v[29:30], v[31:32], 0
	v_mul_f64 v[31:32], v[17:18], v[9:10]
	v_mul_f64 v[9:10], v[15:16], v[9:10]
	v_fma_f64 v[19:20], v[19:20], v[11:12], -v[33:34]
	v_fma_f64 v[11:12], v[21:22], v[11:12], v[13:14]
	v_add_f64 v[13:14], v[25:26], v[27:28]
	v_add_f64 v[21:22], v[29:30], v[23:24]
	v_fma_f64 v[15:16], v[15:16], v[7:8], -v[31:32]
	v_fma_f64 v[9:10], v[17:18], v[7:8], v[9:10]
	v_add_f64 v[7:8], v[13:14], v[19:20]
	v_add_f64 v[11:12], v[21:22], v[11:12]
	;; [unrolled: 1-line block ×4, first 2 shown]
	ds_write_b128 v47, v[7:10]
	s_waitcnt lgkmcnt(0)
	s_barrier
	buffer_gl0_inv
	s_and_saveexec_b32 s3, s2
	s_cbranch_execz .LBB193_95
; %bb.94:
	ds_read_b128 v[7:10], v46
	ds_read_b128 v[11:14], v46 offset:16
	s_waitcnt lgkmcnt(1)
	v_add_f64 v[3:4], v[3:4], v[7:8]
	v_add_f64 v[5:6], v[5:6], v[9:10]
	s_waitcnt lgkmcnt(0)
	v_add_f64 v[11:12], v[3:4], v[11:12]
	v_add_f64 v[13:14], v[5:6], v[13:14]
	ds_read_b128 v[3:6], v46 offset:32
	ds_read_b128 v[7:10], v46 offset:48
	s_waitcnt lgkmcnt(1)
	v_add_f64 v[3:4], v[11:12], v[3:4]
	v_add_f64 v[5:6], v[13:14], v[5:6]
	s_waitcnt lgkmcnt(0)
	v_add_f64 v[11:12], v[3:4], v[7:8]
	v_add_f64 v[13:14], v[5:6], v[9:10]
	ds_read_b128 v[3:6], v46 offset:64
	;; [unrolled: 8-line block ×3, first 2 shown]
	ds_read_b128 v[7:10], v46 offset:112
	s_waitcnt lgkmcnt(1)
	v_add_f64 v[3:4], v[11:12], v[3:4]
	v_add_f64 v[5:6], v[13:14], v[5:6]
	s_waitcnt lgkmcnt(0)
	v_add_f64 v[3:4], v[3:4], v[7:8]
	v_add_f64 v[5:6], v[5:6], v[9:10]
.LBB193_95:
	s_or_b32 exec_lo, exec_lo, s3
	s_mul_hi_u32 s2, s26, s16
	s_mul_i32 s28, s28, s16
	s_mul_i32 s3, s26, s16
	s_add_i32 s2, s2, s28
	s_mul_hi_u32 s5, s3, s27
	s_mul_i32 s4, s2, s27
	s_mul_i32 s2, s3, s27
	s_add_i32 s3, s5, s4
	s_mul_i32 s4, s26, s6
	s_lshl_b64 s[2:3], s[2:3], 4
	v_cmp_le_i32_e32 vcc_lo, s18, v0
	s_add_u32 s7, s10, s2
	s_addc_u32 s8, s11, s3
	s_ashr_i32 s5, s4, 31
	v_lshlrev_b32_e32 v142, 4, v0
	s_lshl_b64 s[2:3], s[4:5], 4
	s_add_u32 s7, s7, s2
	s_addc_u32 s10, s8, s3
	s_and_b32 vcc_lo, s13, vcc_lo
	s_cmp_lt_i32 s6, 1
	s_barrier
	buffer_gl0_inv
	s_cbranch_scc1 .LBB193_102
; %bb.96:
	v_mul_lo_u32 v1, v2, s20
	v_sub_co_u32 v11, s2, v43, s14
	v_subrev_co_ci_u32_e64 v12, null, s15, v44, s2
	s_ashr_i32 s19, s18, 31
	v_add_co_u32 v11, s2, 0xfffffe00, v11
	v_lshl_add_u32 v7, v1, 2, v0
	v_add_co_ci_u32_e64 v12, null, -1, v12, s2
	v_sub_co_u32 v11, s2, v11, v41
	v_ashrrev_i32_e32 v8, 31, v7
	v_sub_co_ci_u32_e64 v12, null, v12, v42, s2
	v_lshrrev_b32_e32 v9, 4, v45
	v_and_b32_e32 v10, 15, v0
	v_lshlrev_b64 v[7:8], 4, v[7:8]
	s_mul_i32 s4, s17, s12
	v_mov_b32_e32 v1, 0
	s_ashr_i32 s5, s4, 31
	v_add_nc_u32_e32 v145, 0x4300, v142
	s_lshl_b64 s[4:5], s[4:5], 4
	v_add_co_u32 v7, s2, v11, v7
	v_add_co_ci_u32_e64 v8, null, v12, v8, s2
	v_lshl_add_u32 v146, v2, 6, 0x4300
	v_sub_co_u32 v11, s2, v7, v142
	v_subrev_co_ci_u32_e64 v12, null, 0, v8, s2
	s_lshl_b64 s[2:3], s[18:19], 4
	v_add_nc_u32_e32 v147, 0x4700, v142
	v_add_co_u32 v11, s2, v11, s2
	v_add_co_ci_u32_e64 v12, null, s3, v12, s2
	v_mad_u32_u24 v148, 0x10c0, v2, v142
	v_add_co_u32 v11, s2, v11, -16
	v_add_co_ci_u32_e64 v12, null, -1, v12, s2
	v_sub_co_u32 v143, s2, v39, s4
	v_cndmask_b32_e32 v7, v7, v11, vcc_lo
	v_cndmask_b32_e32 v8, v8, v12, vcc_lo
	v_and_b32_e32 v11, 48, v0
	v_lshlrev_b32_e32 v12, 6, v9
	v_mul_i32_i24_e32 v9, 0xffffffd0, v9
	v_subrev_co_ci_u32_e64 v144, null, s5, v40, s2
	v_lshlrev_b32_e32 v11, 4, v11
	v_mad_u32_u24 v149, 0x430, v10, v12
	v_or_b32_e32 v12, 0xf0, v142
	v_cmp_gt_u32_e64 s2, 64, v45
	s_ashr_i32 s21, s20, 31
	v_mad_u32_u24 v150, 0x430, v10, v11
	v_add_nc_u32_e32 v152, v149, v9
	v_mad_u32_u24 v151, 0x430, v10, v12
	s_lshl_b32 s11, s17, 6
	s_lshl_b64 s[4:5], s[20:21], 4
	s_mul_hi_i32 s12, s20, 0xd0
	s_mul_i32 s13, s20, 0xd0
	s_mov_b32 s8, 0
	s_branch .LBB193_98
.LBB193_97:                             ;   in Loop: Header=BB193_98 Depth=1
	s_or_b32 exec_lo, exec_lo, s9
	v_mul_f64 v[87:88], v[17:18], v[29:30]
	v_mul_f64 v[29:30], v[15:16], v[29:30]
	;; [unrolled: 1-line block ×4, first 2 shown]
	v_add_nc_u32_e32 v0, 64, v0
	s_add_i32 s6, s6, -1
	s_add_i32 s8, s8, s11
	s_cmp_eq_u32 s6, 0
	s_waitcnt_vscnt null, 0x0
	s_barrier
	buffer_gl0_inv
	v_fma_f64 v[15:16], v[15:16], v[27:28], -v[87:88]
	v_fma_f64 v[17:18], v[17:18], v[27:28], v[29:30]
	v_mul_f64 v[27:28], v[13:14], v[33:34]
	v_mul_f64 v[29:30], v[11:12], v[33:34]
	v_fma_f64 v[19:20], v[19:20], v[23:24], -v[89:90]
	v_fma_f64 v[21:22], v[21:22], v[23:24], v[25:26]
	v_add_f64 v[3:4], v[3:4], v[15:16]
	v_add_f64 v[5:6], v[5:6], v[17:18]
	v_mul_f64 v[15:16], v[9:10], v[49:50]
	v_mul_f64 v[17:18], v[7:8], v[49:50]
	v_fma_f64 v[11:12], v[11:12], v[31:32], -v[27:28]
	v_fma_f64 v[13:14], v[13:14], v[31:32], v[29:30]
	v_add_f64 v[3:4], v[3:4], v[19:20]
	v_add_f64 v[5:6], v[5:6], v[21:22]
	;; [unrolled: 6-line block ×14, first 2 shown]
	v_fma_f64 v[7:8], v[103:104], v[123:124], -v[7:8]
	v_fma_f64 v[9:10], v[105:106], v[123:124], v[9:10]
	v_add_f64 v[3:4], v[3:4], v[11:12]
	v_add_f64 v[5:6], v[5:6], v[13:14]
	;; [unrolled: 1-line block ×4, first 2 shown]
	v_add_co_u32 v7, s3, v140, s13
	v_add_co_ci_u32_e64 v8, null, s12, v141, s3
	s_cbranch_scc1 .LBB193_102
.LBB193_98:                             ; =>This Inner Loop Header: Depth=1
	s_and_saveexec_b32 s14, s1
	s_cbranch_execz .LBB193_100
; %bb.99:                               ;   in Loop: Header=BB193_98 Depth=1
	s_ashr_i32 s9, s8, 31
	s_lshl_b64 s[16:17], s[8:9], 4
	v_add_co_u32 v9, s3, v143, s16
	v_add_co_ci_u32_e64 v10, null, s17, v144, s3
	flat_load_dwordx4 v[9:12], v[9:10]
	s_waitcnt vmcnt(0) lgkmcnt(0)
	ds_write2_b64 v145, v[9:10], v[11:12] offset1:1
.LBB193_100:                            ;   in Loop: Header=BB193_98 Depth=1
	s_or_b32 exec_lo, exec_lo, s14
	v_add_co_u32 v9, s3, v7, s4
	v_add_co_ci_u32_e64 v10, null, s5, v8, s3
	s_waitcnt lgkmcnt(0)
	v_add_co_u32 v11, s3, v9, s4
	v_add_co_ci_u32_e64 v12, null, s5, v10, s3
	s_barrier
	v_add_co_u32 v27, s3, v11, s4
	buffer_gl0_inv
	flat_load_dwordx4 v[15:18], v[7:8]
	v_add_co_ci_u32_e64 v28, null, s5, v12, s3
	s_clause 0x2
	flat_load_dwordx4 v[19:22], v[9:10]
	flat_load_dwordx4 v[11:14], v[11:12]
	;; [unrolled: 1-line block ×3, first 2 shown]
	ds_read_b128 v[23:26], v147
	v_add_co_u32 v55, s3, v27, s13
	v_add_co_ci_u32_e64 v56, null, s12, v28, s3
	v_add_co_u32 v57, s3, v55, s4
	v_add_co_ci_u32_e64 v58, null, s5, v56, s3
	;; [unrolled: 2-line block ×4, first 2 shown]
	s_waitcnt vmcnt(3) lgkmcnt(0)
	v_mul_f64 v[29:30], v[17:18], v[25:26]
	v_mul_f64 v[31:32], v[15:16], v[25:26]
	s_waitcnt vmcnt(2)
	v_mul_f64 v[33:34], v[21:22], v[25:26]
	v_mul_f64 v[41:42], v[19:20], v[25:26]
	s_waitcnt vmcnt(1)
	;; [unrolled: 3-line block ×3, first 2 shown]
	v_mul_f64 v[47:48], v[9:10], v[25:26]
	v_mul_f64 v[25:26], v[7:8], v[25:26]
	v_fma_f64 v[35:36], v[15:16], v[23:24], -v[29:30]
	v_fma_f64 v[37:38], v[17:18], v[23:24], v[31:32]
	v_fma_f64 v[39:40], v[19:20], v[23:24], -v[33:34]
	v_fma_f64 v[41:42], v[21:22], v[23:24], v[41:42]
	;; [unrolled: 2-line block ×4, first 2 shown]
	ds_read_b128 v[27:30], v146
	ds_read_b128 v[23:26], v146 offset:16
	ds_read_b128 v[31:34], v146 offset:32
	;; [unrolled: 1-line block ×3, first 2 shown]
	ds_write_b128 v148, v[35:38]
	ds_write_b128 v148, v[39:42] offset:1072
	ds_write_b128 v148, v[43:46] offset:2144
	;; [unrolled: 1-line block ×3, first 2 shown]
	s_waitcnt lgkmcnt(0)
	s_barrier
	buffer_gl0_inv
	ds_read_b128 v[123:126], v149
	ds_read_b128 v[153:156], v149 offset:16
	ds_read_b128 v[157:160], v149 offset:32
	ds_read_b128 v[87:90], v149 offset:48
	s_waitcnt lgkmcnt(0)
	s_barrier
	buffer_gl0_inv
	s_clause 0x3
	flat_load_dwordx4 v[51:54], v[55:56]
	flat_load_dwordx4 v[43:46], v[57:58]
	;; [unrolled: 1-line block ×4, first 2 shown]
	ds_read_b128 v[55:58], v147
	v_add_f64 v[205:206], v[123:124], 0
	v_add_f64 v[207:208], v[125:126], 0
	s_waitcnt vmcnt(2) lgkmcnt(0)
	v_mul_f64 v[63:64], v[45:46], v[57:58]
	v_mul_f64 v[59:60], v[53:54], v[57:58]
	;; [unrolled: 1-line block ×4, first 2 shown]
	s_waitcnt vmcnt(1)
	v_mul_f64 v[67:68], v[41:42], v[57:58]
	v_mul_f64 v[71:72], v[39:40], v[57:58]
	s_waitcnt vmcnt(0)
	v_mul_f64 v[73:74], v[37:38], v[57:58]
	v_mul_f64 v[75:76], v[35:36], v[57:58]
	v_fma_f64 v[57:58], v[51:52], v[55:56], -v[59:60]
	v_fma_f64 v[59:60], v[53:54], v[55:56], v[61:62]
	v_fma_f64 v[61:62], v[43:44], v[55:56], -v[63:64]
	v_fma_f64 v[63:64], v[45:46], v[55:56], v[65:66]
	;; [unrolled: 2-line block ×4, first 2 shown]
	v_add_co_u32 v55, s3, v69, s13
	v_add_co_ci_u32_e64 v56, null, s12, v70, s3
	ds_read_b128 v[83:86], v146 offset:256
	ds_read_b128 v[79:82], v146 offset:272
	;; [unrolled: 1-line block ×4, first 2 shown]
	v_add_co_u32 v95, s3, v55, s4
	v_add_co_ci_u32_e64 v96, null, s5, v56, s3
	ds_write_b128 v148, v[57:60]
	ds_write_b128 v148, v[61:64] offset:1072
	ds_write_b128 v148, v[65:68] offset:2144
	;; [unrolled: 1-line block ×3, first 2 shown]
	v_add_co_u32 v97, s3, v95, s4
	v_add_co_ci_u32_e64 v98, null, s5, v96, s3
	s_waitcnt lgkmcnt(0)
	v_add_co_u32 v105, s3, v97, s4
	v_add_co_ci_u32_e64 v106, null, s5, v98, s3
	s_barrier
	buffer_gl0_inv
	ds_read_b128 v[161:164], v149
	ds_read_b128 v[165:168], v149 offset:16
	ds_read_b128 v[169:172], v149 offset:32
	;; [unrolled: 1-line block ×3, first 2 shown]
	s_waitcnt lgkmcnt(0)
	s_barrier
	buffer_gl0_inv
	s_clause 0x2
	flat_load_dwordx4 v[67:70], v[55:56]
	flat_load_dwordx4 v[63:66], v[95:96]
	;; [unrolled: 1-line block ×4, first 2 shown]
	ds_read_b128 v[91:94], v147
	v_add_f64 v[161:162], v[161:162], 0
	v_add_f64 v[163:164], v[163:164], 0
	;; [unrolled: 1-line block ×6, first 2 shown]
	s_waitcnt vmcnt(2) lgkmcnt(0)
	v_mul_f64 v[99:100], v[65:66], v[93:94]
	v_mul_f64 v[95:96], v[69:70], v[93:94]
	;; [unrolled: 1-line block ×4, first 2 shown]
	s_waitcnt vmcnt(1)
	v_mul_f64 v[103:104], v[61:62], v[93:94]
	v_mul_f64 v[107:108], v[59:60], v[93:94]
	s_waitcnt vmcnt(0)
	v_mul_f64 v[109:110], v[57:58], v[93:94]
	v_mul_f64 v[111:112], v[55:56], v[93:94]
	v_fma_f64 v[93:94], v[67:68], v[91:92], -v[95:96]
	v_fma_f64 v[95:96], v[69:70], v[91:92], v[97:98]
	v_fma_f64 v[97:98], v[63:64], v[91:92], -v[99:100]
	v_fma_f64 v[99:100], v[65:66], v[91:92], v[101:102]
	;; [unrolled: 2-line block ×4, first 2 shown]
	v_add_co_u32 v91, s3, v105, s13
	v_add_co_ci_u32_e64 v92, null, s12, v106, s3
	ds_read_b128 v[119:122], v146 offset:512
	ds_read_b128 v[115:118], v146 offset:528
	;; [unrolled: 1-line block ×4, first 2 shown]
	v_add_co_u32 v105, s3, v91, s4
	v_add_co_ci_u32_e64 v106, null, s5, v92, s3
	ds_write_b128 v148, v[93:96]
	ds_write_b128 v148, v[97:100] offset:1072
	ds_write_b128 v148, v[101:104] offset:2144
	;; [unrolled: 1-line block ×3, first 2 shown]
	v_add_co_u32 v131, s3, v105, s4
	v_add_co_ci_u32_e64 v132, null, s5, v106, s3
	s_waitcnt lgkmcnt(0)
	v_add_co_u32 v140, s3, v131, s4
	v_add_co_ci_u32_e64 v141, null, s5, v132, s3
	s_barrier
	buffer_gl0_inv
	ds_read_b128 v[177:180], v149
	ds_read_b128 v[181:184], v149 offset:16
	ds_read_b128 v[185:188], v149 offset:32
	;; [unrolled: 1-line block ×3, first 2 shown]
	s_waitcnt lgkmcnt(0)
	s_barrier
	buffer_gl0_inv
	flat_load_dwordx4 v[99:102], v[91:92]
	flat_load_dwordx4 v[95:98], v[105:106]
	;; [unrolled: 1-line block ×4, first 2 shown]
	ds_read_b128 v[127:130], v147
	v_add_f64 v[177:178], v[177:178], 0
	v_add_f64 v[179:180], v[179:180], 0
	;; [unrolled: 1-line block ×6, first 2 shown]
	s_waitcnt vmcnt(3) lgkmcnt(0)
	v_mul_f64 v[131:132], v[101:102], v[129:130]
	v_mul_f64 v[133:134], v[99:100], v[129:130]
	s_waitcnt vmcnt(2)
	v_mul_f64 v[135:136], v[97:98], v[129:130]
	v_mul_f64 v[137:138], v[95:96], v[129:130]
	s_waitcnt vmcnt(1)
	;; [unrolled: 3-line block ×3, first 2 shown]
	v_mul_f64 v[201:202], v[105:106], v[129:130]
	v_mul_f64 v[129:130], v[103:104], v[129:130]
	v_fma_f64 v[131:132], v[99:100], v[127:128], -v[131:132]
	v_fma_f64 v[133:134], v[101:102], v[127:128], v[133:134]
	v_fma_f64 v[193:194], v[95:96], v[127:128], -v[135:136]
	v_fma_f64 v[195:196], v[97:98], v[127:128], v[137:138]
	;; [unrolled: 2-line block ×4, first 2 shown]
	ds_write_b128 v148, v[131:134]
	ds_read_b128 v[135:138], v146 offset:768
	ds_read_b128 v[131:134], v146 offset:784
	ds_write_b128 v148, v[193:196] offset:1072
	ds_write_b128 v148, v[197:200] offset:2144
	ds_read_b128 v[127:130], v146 offset:800
	ds_read_b128 v[123:126], v146 offset:816
	v_add_f64 v[197:198], v[205:206], v[153:154]
	ds_write_b128 v148, v[201:204] offset:3216
	s_waitcnt lgkmcnt(0)
	s_barrier
	buffer_gl0_inv
	ds_read_b128 v[193:196], v149
	v_add_f64 v[199:200], v[207:208], v[155:156]
	ds_read_b128 v[153:156], v149 offset:16
	v_add_f64 v[181:182], v[197:198], v[157:158]
	s_waitcnt lgkmcnt(1)
	v_add_f64 v[193:194], v[193:194], 0
	v_add_f64 v[195:196], v[195:196], 0
	;; [unrolled: 1-line block ×3, first 2 shown]
	ds_read_b128 v[157:160], v149 offset:48
	v_add_f64 v[87:88], v[181:182], v[87:88]
	s_waitcnt lgkmcnt(1)
	v_add_f64 v[177:178], v[193:194], v[153:154]
	v_add_f64 v[179:180], v[195:196], v[155:156]
	ds_read_b128 v[153:156], v149 offset:32
	v_add_f64 v[89:90], v[183:184], v[89:90]
	s_waitcnt lgkmcnt(0)
	s_barrier
	buffer_gl0_inv
	v_add_f64 v[169:170], v[177:178], v[153:154]
	v_add_f64 v[171:172], v[179:180], v[155:156]
	;; [unrolled: 1-line block ×8, first 2 shown]
	ds_write_b128 v152, v[87:90]
	ds_write_b128 v152, v[153:156] offset:256
	ds_write_b128 v152, v[161:164] offset:512
	;; [unrolled: 1-line block ×3, first 2 shown]
	s_waitcnt lgkmcnt(0)
	s_barrier
	buffer_gl0_inv
	s_and_saveexec_b32 s9, s2
	s_cbranch_execz .LBB193_97
; %bb.101:                              ;   in Loop: Header=BB193_98 Depth=1
	ds_read_b128 v[87:90], v150
	ds_read_b128 v[153:156], v150 offset:16
	s_waitcnt lgkmcnt(0)
	v_add_f64 v[157:158], v[153:154], v[87:88]
	v_add_f64 v[159:160], v[155:156], v[89:90]
	ds_read_b128 v[87:90], v150 offset:32
	ds_read_b128 v[153:156], v150 offset:48
	s_waitcnt lgkmcnt(1)
	v_add_f64 v[87:88], v[157:158], v[87:88]
	v_add_f64 v[89:90], v[159:160], v[89:90]
	s_waitcnt lgkmcnt(0)
	v_add_f64 v[157:158], v[87:88], v[153:154]
	v_add_f64 v[159:160], v[89:90], v[155:156]
	ds_read_b128 v[87:90], v150 offset:64
	ds_read_b128 v[153:156], v150 offset:80
	s_waitcnt lgkmcnt(1)
	v_add_f64 v[87:88], v[157:158], v[87:88]
	v_add_f64 v[89:90], v[159:160], v[89:90]
	;; [unrolled: 8-line block ×6, first 2 shown]
	s_waitcnt lgkmcnt(0)
	v_add_f64 v[157:158], v[87:88], v[153:154]
	v_add_f64 v[159:160], v[89:90], v[155:156]
	ds_read_b128 v[87:90], v150 offset:224
	ds_read_b128 v[153:156], v151
	s_waitcnt lgkmcnt(1)
	v_add_f64 v[87:88], v[157:158], v[87:88]
	v_add_f64 v[89:90], v[159:160], v[89:90]
	s_waitcnt lgkmcnt(0)
	v_add_f64 v[87:88], v[87:88], v[153:154]
	v_add_f64 v[89:90], v[89:90], v[155:156]
	v_lshlrev_b64 v[153:154], 4, v[0:1]
	v_add_co_u32 v153, s3, s7, v153
	v_add_co_ci_u32_e64 v154, null, s10, v154, s3
	global_store_dwordx4 v[153:154], v[87:90], off
	s_branch .LBB193_97
.LBB193_102:
	v_mad_u32_u24 v0, 0x430, v2, v142
	s_nor_b32 s0, s0, vcc_lo
	ds_write_b128 v0, v[3:6]
	s_waitcnt lgkmcnt(0)
	s_barrier
	buffer_gl0_inv
	s_and_saveexec_b32 s1, s0
	s_cbranch_execz .LBB193_104
; %bb.103:
	ds_read_b128 v[0:3], v142 offset:1072
	ds_read_b128 v[4:7], v142
	v_ashrrev_i32_e32 v140, 31, v139
	s_waitcnt lgkmcnt(0)
	v_add_f64 v[8:9], v[0:1], v[4:5]
	v_add_f64 v[10:11], v[2:3], v[6:7]
	ds_read_b128 v[0:3], v142 offset:2144
	ds_read_b128 v[4:7], v142 offset:3216
	s_waitcnt lgkmcnt(1)
	v_add_f64 v[0:1], v[8:9], v[0:1]
	v_add_f64 v[2:3], v[10:11], v[2:3]
	s_waitcnt lgkmcnt(0)
	v_add_f64 v[0:1], v[0:1], v[4:5]
	v_add_f64 v[2:3], v[2:3], v[6:7]
	v_lshlrev_b64 v[4:5], 4, v[139:140]
	v_add_co_u32 v4, vcc_lo, s7, v4
	v_add_co_ci_u32_e64 v5, null, s10, v5, vcc_lo
	global_store_dwordx4 v[4:5], v[0:3], off
.LBB193_104:
	s_endpgm
	.section	.rodata,"a",@progbits
	.p2align	6, 0x0
	.amdhsa_kernel _ZL26rocblas_hemvn_kernel_lowerILb0ELi64ELi4ELi33ELi32ELi16EiPK19rocblas_complex_numIdEPKS3_PS1_EviT6_lT7_lT5_lS8_lS9_lS7_lT8_i
		.amdhsa_group_segment_fixed_size 19200
		.amdhsa_private_segment_fixed_size 0
		.amdhsa_kernarg_size 376
		.amdhsa_user_sgpr_count 6
		.amdhsa_user_sgpr_private_segment_buffer 1
		.amdhsa_user_sgpr_dispatch_ptr 0
		.amdhsa_user_sgpr_queue_ptr 0
		.amdhsa_user_sgpr_kernarg_segment_ptr 1
		.amdhsa_user_sgpr_dispatch_id 0
		.amdhsa_user_sgpr_flat_scratch_init 0
		.amdhsa_user_sgpr_private_segment_size 0
		.amdhsa_wavefront_size32 1
		.amdhsa_uses_dynamic_stack 0
		.amdhsa_system_sgpr_private_segment_wavefront_offset 0
		.amdhsa_system_sgpr_workgroup_id_x 1
		.amdhsa_system_sgpr_workgroup_id_y 0
		.amdhsa_system_sgpr_workgroup_id_z 1
		.amdhsa_system_sgpr_workgroup_info 0
		.amdhsa_system_vgpr_workitem_id 1
		.amdhsa_next_free_vgpr 209
		.amdhsa_next_free_sgpr 32
		.amdhsa_reserve_vcc 1
		.amdhsa_reserve_flat_scratch 1
		.amdhsa_float_round_mode_32 0
		.amdhsa_float_round_mode_16_64 0
		.amdhsa_float_denorm_mode_32 3
		.amdhsa_float_denorm_mode_16_64 3
		.amdhsa_dx10_clamp 1
		.amdhsa_ieee_mode 1
		.amdhsa_fp16_overflow 0
		.amdhsa_workgroup_processor_mode 1
		.amdhsa_memory_ordered 1
		.amdhsa_forward_progress 1
		.amdhsa_shared_vgpr_count 0
		.amdhsa_exception_fp_ieee_invalid_op 0
		.amdhsa_exception_fp_denorm_src 0
		.amdhsa_exception_fp_ieee_div_zero 0
		.amdhsa_exception_fp_ieee_overflow 0
		.amdhsa_exception_fp_ieee_underflow 0
		.amdhsa_exception_fp_ieee_inexact 0
		.amdhsa_exception_int_div_zero 0
	.end_amdhsa_kernel
	.section	.text._ZL26rocblas_hemvn_kernel_lowerILb0ELi64ELi4ELi33ELi32ELi16EiPK19rocblas_complex_numIdEPKS3_PS1_EviT6_lT7_lT5_lS8_lS9_lS7_lT8_i,"axG",@progbits,_ZL26rocblas_hemvn_kernel_lowerILb0ELi64ELi4ELi33ELi32ELi16EiPK19rocblas_complex_numIdEPKS3_PS1_EviT6_lT7_lT5_lS8_lS9_lS7_lT8_i,comdat
.Lfunc_end193:
	.size	_ZL26rocblas_hemvn_kernel_lowerILb0ELi64ELi4ELi33ELi32ELi16EiPK19rocblas_complex_numIdEPKS3_PS1_EviT6_lT7_lT5_lS8_lS9_lS7_lT8_i, .Lfunc_end193-_ZL26rocblas_hemvn_kernel_lowerILb0ELi64ELi4ELi33ELi32ELi16EiPK19rocblas_complex_numIdEPKS3_PS1_EviT6_lT7_lT5_lS8_lS9_lS7_lT8_i
                                        ; -- End function
	.set _ZL26rocblas_hemvn_kernel_lowerILb0ELi64ELi4ELi33ELi32ELi16EiPK19rocblas_complex_numIdEPKS3_PS1_EviT6_lT7_lT5_lS8_lS9_lS7_lT8_i.num_vgpr, 209
	.set _ZL26rocblas_hemvn_kernel_lowerILb0ELi64ELi4ELi33ELi32ELi16EiPK19rocblas_complex_numIdEPKS3_PS1_EviT6_lT7_lT5_lS8_lS9_lS7_lT8_i.num_agpr, 0
	.set _ZL26rocblas_hemvn_kernel_lowerILb0ELi64ELi4ELi33ELi32ELi16EiPK19rocblas_complex_numIdEPKS3_PS1_EviT6_lT7_lT5_lS8_lS9_lS7_lT8_i.numbered_sgpr, 32
	.set _ZL26rocblas_hemvn_kernel_lowerILb0ELi64ELi4ELi33ELi32ELi16EiPK19rocblas_complex_numIdEPKS3_PS1_EviT6_lT7_lT5_lS8_lS9_lS7_lT8_i.num_named_barrier, 0
	.set _ZL26rocblas_hemvn_kernel_lowerILb0ELi64ELi4ELi33ELi32ELi16EiPK19rocblas_complex_numIdEPKS3_PS1_EviT6_lT7_lT5_lS8_lS9_lS7_lT8_i.private_seg_size, 0
	.set _ZL26rocblas_hemvn_kernel_lowerILb0ELi64ELi4ELi33ELi32ELi16EiPK19rocblas_complex_numIdEPKS3_PS1_EviT6_lT7_lT5_lS8_lS9_lS7_lT8_i.uses_vcc, 1
	.set _ZL26rocblas_hemvn_kernel_lowerILb0ELi64ELi4ELi33ELi32ELi16EiPK19rocblas_complex_numIdEPKS3_PS1_EviT6_lT7_lT5_lS8_lS9_lS7_lT8_i.uses_flat_scratch, 1
	.set _ZL26rocblas_hemvn_kernel_lowerILb0ELi64ELi4ELi33ELi32ELi16EiPK19rocblas_complex_numIdEPKS3_PS1_EviT6_lT7_lT5_lS8_lS9_lS7_lT8_i.has_dyn_sized_stack, 0
	.set _ZL26rocblas_hemvn_kernel_lowerILb0ELi64ELi4ELi33ELi32ELi16EiPK19rocblas_complex_numIdEPKS3_PS1_EviT6_lT7_lT5_lS8_lS9_lS7_lT8_i.has_recursion, 0
	.set _ZL26rocblas_hemvn_kernel_lowerILb0ELi64ELi4ELi33ELi32ELi16EiPK19rocblas_complex_numIdEPKS3_PS1_EviT6_lT7_lT5_lS8_lS9_lS7_lT8_i.has_indirect_call, 0
	.section	.AMDGPU.csdata,"",@progbits
; Kernel info:
; codeLenInByte = 9892
; TotalNumSgprs: 34
; NumVgprs: 209
; ScratchSize: 0
; MemoryBound: 0
; FloatMode: 240
; IeeeMode: 1
; LDSByteSize: 19200 bytes/workgroup (compile time only)
; SGPRBlocks: 0
; VGPRBlocks: 26
; NumSGPRsForWavesPerEU: 34
; NumVGPRsForWavesPerEU: 209
; Occupancy: 4
; WaveLimiterHint : 1
; COMPUTE_PGM_RSRC2:SCRATCH_EN: 0
; COMPUTE_PGM_RSRC2:USER_SGPR: 6
; COMPUTE_PGM_RSRC2:TRAP_HANDLER: 0
; COMPUTE_PGM_RSRC2:TGID_X_EN: 1
; COMPUTE_PGM_RSRC2:TGID_Y_EN: 0
; COMPUTE_PGM_RSRC2:TGID_Z_EN: 1
; COMPUTE_PGM_RSRC2:TIDIG_COMP_CNT: 1
	.section	.text._ZL26rocblas_hemvn_kernel_lowerILb0ELi64ELi4ELi33ELi32ELi16El19rocblas_complex_numIdEPKPKS1_PS1_EviT6_lT7_lT5_lS8_lS9_lS7_lT8_i,"axG",@progbits,_ZL26rocblas_hemvn_kernel_lowerILb0ELi64ELi4ELi33ELi32ELi16El19rocblas_complex_numIdEPKPKS1_PS1_EviT6_lT7_lT5_lS8_lS9_lS7_lT8_i,comdat
	.globl	_ZL26rocblas_hemvn_kernel_lowerILb0ELi64ELi4ELi33ELi32ELi16El19rocblas_complex_numIdEPKPKS1_PS1_EviT6_lT7_lT5_lS8_lS9_lS7_lT8_i ; -- Begin function _ZL26rocblas_hemvn_kernel_lowerILb0ELi64ELi4ELi33ELi32ELi16El19rocblas_complex_numIdEPKPKS1_PS1_EviT6_lT7_lT5_lS8_lS9_lS7_lT8_i
	.p2align	8
	.type	_ZL26rocblas_hemvn_kernel_lowerILb0ELi64ELi4ELi33ELi32ELi16El19rocblas_complex_numIdEPKPKS1_PS1_EviT6_lT7_lT5_lS8_lS9_lS7_lT8_i,@function
_ZL26rocblas_hemvn_kernel_lowerILb0ELi64ELi4ELi33ELi32ELi16El19rocblas_complex_numIdEPKPKS1_PS1_EviT6_lT7_lT5_lS8_lS9_lS7_lT8_i: ; @_ZL26rocblas_hemvn_kernel_lowerILb0ELi64ELi4ELi33ELi32ELi16El19rocblas_complex_numIdEPKPKS1_PS1_EviT6_lT7_lT5_lS8_lS9_lS7_lT8_i
; %bb.0:
	s_load_dwordx2 s[0:1], s[4:5], 0x94
	s_add_u32 s8, s4, 0x88
	s_addc_u32 s9, s5, 0
	s_waitcnt lgkmcnt(0)
	s_lshr_b32 s2, s0, 16
	s_and_b32 s0, s0, 0xffff
	s_and_b32 s1, s1, 0xffff
	s_mul_i32 s0, s2, s0
	s_mul_i32 s0, s0, s1
	s_cmpk_lg_i32 s0, 0x100
	s_cbranch_scc1 .LBB194_104
; %bb.1:
	s_load_dwordx4 s[0:3], s[4:5], 0x8
	s_mov_b32 s16, s7
	s_waitcnt lgkmcnt(0)
	v_cmp_neq_f64_e64 s0, s[0:1], 0
	v_cmp_neq_f64_e64 s1, s[2:3], 0
	s_or_b32 s0, s0, s1
	s_and_b32 vcc_lo, exec_lo, s0
	s_mov_b32 s0, -1
	s_cbranch_vccnz .LBB194_3
; %bb.2:
	s_load_dwordx4 s[0:3], s[4:5], 0x60
	s_waitcnt lgkmcnt(0)
	v_cmp_eq_f64_e64 s0, s[0:1], 1.0
	v_cmp_eq_f64_e64 s1, s[2:3], 0
	s_and_b32 s0, s0, s1
	s_andn2_b32 vcc_lo, exec_lo, s0
	s_mov_b32 s0, 0
.LBB194_3:
	s_andn2_b32 vcc_lo, exec_lo, s0
	s_cbranch_vccnz .LBB194_104
; %bb.4:
	s_clause 0x1
	s_load_dwordx4 s[0:3], s[4:5], 0x20
	s_load_dwordx4 s[12:15], s[4:5], 0x40
	s_mov_b32 s17, 0
	s_lshl_b64 s[10:11], s[16:17], 3
	s_waitcnt lgkmcnt(0)
	s_add_u32 s0, s0, s10
	s_addc_u32 s1, s1, s11
	s_add_u32 s10, s12, s10
	s_addc_u32 s11, s13, s11
	s_lshl_b64 s[14:15], s[14:15], 4
	s_load_dwordx2 s[10:11], s[10:11], 0x0
	s_clause 0x1
	s_load_dwordx2 s[12:13], s[4:5], 0x50
	s_load_dword s17, s[4:5], 0x0
	s_load_dword s26, s[8:9], 0x0
	s_waitcnt lgkmcnt(0)
	s_add_u32 s7, s10, s14
	s_addc_u32 s10, s11, s15
	s_lshl_b32 s18, s6, 6
	s_load_dwordx2 s[14:15], s[4:5], 0x30
	s_load_dwordx2 s[8:9], s[0:1], 0x0
	v_add_nc_u32_e32 v134, s18, v0
	s_ashr_i32 s27, s17, 31
	s_add_i32 s11, s26, -1
	s_lshr_b32 s0, s27, 26
	v_ashrrev_i32_e32 v135, 31, v134
	v_mul_lo_u32 v4, s13, v134
	v_mad_u64_u32 v[2:3], null, s12, v134, 0
	s_add_i32 s1, s17, s0
	v_mul_lo_u32 v5, s12, v135
	s_andn2_b32 s1, s1, 63
	v_cmp_ne_u32_e64 s0, 0, v1
	s_sub_i32 s19, s17, s1
	v_cmp_eq_u32_e64 s1, 0, v1
	s_cmp_eq_u32 s6, s11
	s_cselect_b32 s20, s19, 0
	v_add3_u32 v3, v3, v5, v4
	v_lshlrev_b64 v[2:3], 4, v[2:3]
	v_add_co_u32 v38, vcc_lo, s7, v2
	v_add_co_ci_u32_e64 v39, null, s10, v3, vcc_lo
	s_mov_b32 s7, -1
	s_and_saveexec_b32 s10, s1
	s_cbranch_execz .LBB194_9
; %bb.5:
	v_cmp_le_i32_e32 vcc_lo, s20, v0
	s_cmp_lg_u32 s20, 0
	v_lshl_add_u32 v2, v0, 4, 0x4700
	s_cselect_b32 s11, -1, 0
	s_and_b32 s11, s11, vcc_lo
	s_and_saveexec_b32 s19, s11
	s_xor_b32 s11, exec_lo, s19
	s_cbranch_execz .LBB194_7
; %bb.6:
	v_mov_b32_e32 v3, 0
	v_mov_b32_e32 v4, v3
	;; [unrolled: 1-line block ×4, first 2 shown]
	ds_write_b128 v2, v[3:6]
                                        ; implicit-def: $vgpr2
.LBB194_7:
	s_andn2_saveexec_b32 s11, s11
	s_cbranch_execz .LBB194_9
; %bb.8:
	flat_load_dwordx4 v[3:6], v[38:39]
	s_waitcnt vmcnt(0) lgkmcnt(0)
	ds_write2_b64 v2, v[3:4], v[5:6] offset1:1
.LBB194_9:
	s_or_b32 exec_lo, exec_lo, s10
	v_lshl_add_u32 v44, v1, 6, v0
	v_and_b32_e32 v6, 31, v0
	v_mov_b32_e32 v7, 0
	s_lshl_b64 s[2:3], s[2:3], 4
	s_waitcnt lgkmcnt(0)
	s_mul_hi_u32 s10, s14, s18
	v_lshrrev_b32_e32 v11, 5, v44
	s_add_u32 s8, s8, s2
	s_addc_u32 s9, s9, s3
	s_ashr_i32 s19, s18, 31
	s_mul_i32 s11, s15, s18
	v_mad_u64_u32 v[2:3], null, s14, v11, v[6:7]
	s_lshl_b64 s[2:3], s[18:19], 4
	s_mul_i32 s21, s14, s19
	s_add_u32 s8, s8, s2
	s_addc_u32 s9, s9, s3
	s_add_i32 s3, s10, s21
	s_mul_i32 s2, s14, s18
	v_mad_u64_u32 v[3:4], null, s15, v11, v[3:4]
	s_add_i32 s3, s3, s11
	s_lshl_b64 s[22:23], s[2:3], 4
	s_cmp_lg_u32 s20, 0
	s_cselect_b32 s28, -1, 0
	v_lshlrev_b64 v[40:41], 4, v[2:3]
	s_cmp_eq_u32 s20, 0
	s_cselect_b32 s10, -1, 0
	v_add_co_u32 v2, vcc_lo, s8, v40
	v_add_co_ci_u32_e64 v3, null, s9, v41, vcc_lo
	v_add_co_u32 v7, vcc_lo, v2, s22
	v_add_co_ci_u32_e64 v8, null, s23, v3, vcc_lo
	s_and_b32 vcc_lo, exec_lo, s28
	s_cbranch_vccnz .LBB194_11
; %bb.10:
	flat_load_dwordx4 v[2:5], v[7:8]
	v_mul_u32_u24_e32 v9, 0x210, v11
	s_lshl_b64 s[2:3], s[14:15], 7
	s_mov_b32 s7, 0
	v_lshl_add_u32 v12, v6, 4, v9
	v_add_co_u32 v9, vcc_lo, v7, s2
	v_add_co_ci_u32_e64 v10, null, s3, v8, vcc_lo
	v_add_nc_u32_e32 v13, 0x1080, v12
	s_waitcnt vmcnt(0) lgkmcnt(0)
	ds_write2_b64 v12, v[2:3], v[4:5] offset1:1
	flat_load_dwordx4 v[2:5], v[9:10]
	v_add_co_u32 v9, vcc_lo, v9, s2
	v_add_co_ci_u32_e64 v10, null, s3, v10, vcc_lo
	s_waitcnt vmcnt(0) lgkmcnt(0)
	ds_write2_b64 v13, v[2:3], v[4:5] offset1:1
	flat_load_dwordx4 v[2:5], v[9:10]
	v_add_co_u32 v9, vcc_lo, v9, s2
	v_add_nc_u32_e32 v13, 0x2100, v12
	v_add_co_ci_u32_e64 v10, null, s3, v10, vcc_lo
	s_waitcnt vmcnt(0) lgkmcnt(0)
	ds_write2_b64 v13, v[2:3], v[4:5] offset1:1
	flat_load_dwordx4 v[2:5], v[9:10]
	v_add_nc_u32_e32 v9, 0x3180, v12
	s_waitcnt vmcnt(0) lgkmcnt(0)
	ds_write2_b64 v9, v[2:3], v[4:5] offset1:1
.LBB194_11:
	v_lshlrev_b32_e32 v12, 4, v6
	s_andn2_b32 vcc_lo, exec_lo, s7
	s_cbranch_vccnz .LBB194_29
; %bb.12:
	v_lshlrev_b32_e32 v4, 4, v6
	s_ashr_i32 s21, s20, 31
	v_cmp_le_i32_e64 s2, s20, v11
	s_lshl_b64 s[8:9], s[20:21], 4
	v_mad_u32_u24 v5, 0x210, v11, v12
	v_sub_co_u32 v2, vcc_lo, v7, v4
	v_subrev_co_ci_u32_e64 v3, null, 0, v8, vcc_lo
	v_add_co_u32 v2, vcc_lo, v2, s8
	v_add_co_ci_u32_e64 v3, null, s9, v3, vcc_lo
	v_add_co_u32 v2, vcc_lo, v2, -16
	v_add_co_ci_u32_e64 v3, null, -1, v3, vcc_lo
	v_cmp_gt_i32_e32 vcc_lo, s20, v6
	v_cndmask_b32_e32 v3, v3, v8, vcc_lo
	v_cndmask_b32_e32 v2, v2, v7, vcc_lo
	s_and_saveexec_b32 s3, s2
	s_xor_b32 s2, exec_lo, s3
	s_cbranch_execz .LBB194_14
; %bb.13:
	v_mov_b32_e32 v13, 0
	v_mov_b32_e32 v14, v13
	v_mov_b32_e32 v15, v13
	v_mov_b32_e32 v16, v13
	ds_write_b128 v5, v[13:16]
                                        ; implicit-def: $vgpr5
.LBB194_14:
	s_andn2_saveexec_b32 s2, s2
	s_cbranch_execz .LBB194_16
; %bb.15:
	flat_load_dwordx4 v[13:16], v[2:3]
	s_waitcnt vmcnt(0) lgkmcnt(0)
	ds_write2_b64 v5, v[13:14], v[15:16] offset1:1
.LBB194_16:
	s_or_b32 exec_lo, exec_lo, s2
	v_add_nc_u32_e32 v9, 8, v11
	v_mul_u32_u24_e32 v5, 0x210, v11
	v_cmp_le_i32_e64 s2, s20, v9
	s_and_saveexec_b32 s3, s2
	s_xor_b32 s2, exec_lo, s3
	s_cbranch_execz .LBB194_18
; %bb.17:
	v_mov_b32_e32 v13, 0
	v_add_nc_u32_e32 v9, v5, v12
	v_mov_b32_e32 v14, v13
	v_mov_b32_e32 v15, v13
	v_mov_b32_e32 v16, v13
	ds_write_b128 v9, v[13:16] offset:4224
.LBB194_18:
	s_andn2_saveexec_b32 s3, s2
	s_cbranch_execz .LBB194_20
; %bb.19:
	s_lshl_b64 s[24:25], s[14:15], 7
	v_add_co_u32 v9, s2, v2, s24
	v_add_co_ci_u32_e64 v10, null, s25, v3, s2
	flat_load_dwordx4 v[13:16], v[9:10]
	v_add3_u32 v9, v5, v12, 0x1080
	s_waitcnt vmcnt(0) lgkmcnt(0)
	ds_write2_b64 v9, v[13:14], v[15:16] offset1:1
.LBB194_20:
	s_or_b32 exec_lo, exec_lo, s3
	v_add_nc_u32_e32 v9, 16, v11
	v_cmp_le_i32_e64 s2, s20, v9
	s_and_saveexec_b32 s3, s2
	s_xor_b32 s2, exec_lo, s3
	s_cbranch_execz .LBB194_22
; %bb.21:
	v_mov_b32_e32 v13, 0
	v_add_nc_u32_e32 v9, v5, v12
	v_mov_b32_e32 v14, v13
	v_mov_b32_e32 v15, v13
	;; [unrolled: 1-line block ×3, first 2 shown]
	ds_write_b128 v9, v[13:16] offset:8448
.LBB194_22:
	s_andn2_saveexec_b32 s3, s2
	s_cbranch_execz .LBB194_24
; %bb.23:
	s_lshl_b64 s[24:25], s[14:15], 8
	v_add_co_u32 v9, s2, v2, s24
	v_add_co_ci_u32_e64 v10, null, s25, v3, s2
	flat_load_dwordx4 v[13:16], v[9:10]
	v_add3_u32 v9, v5, v12, 0x2100
	s_waitcnt vmcnt(0) lgkmcnt(0)
	ds_write2_b64 v9, v[13:14], v[15:16] offset1:1
.LBB194_24:
	s_or_b32 exec_lo, exec_lo, s3
	v_add_nc_u32_e32 v9, 24, v11
	v_cmp_le_i32_e64 s2, s20, v9
	s_and_saveexec_b32 s3, s2
	s_xor_b32 s2, exec_lo, s3
	s_cbranch_execz .LBB194_26
; %bb.25:
	v_mov_b32_e32 v13, 0
	v_add_nc_u32_e32 v5, v5, v12
	v_mov_b32_e32 v14, v13
	v_mov_b32_e32 v15, v13
	;; [unrolled: 1-line block ×3, first 2 shown]
	ds_write_b128 v5, v[13:16] offset:12672
                                        ; implicit-def: $vgpr5
.LBB194_26:
	s_andn2_saveexec_b32 s2, s2
	s_cbranch_execz .LBB194_28
; %bb.27:
	v_mad_u64_u32 v[9:10], null, 0x180, s14, v[2:3]
	v_add3_u32 v5, v5, v12, 0x3180
	v_mad_u64_u32 v[13:14], null, 0x180, s15, v[10:11]
	v_mov_b32_e32 v10, v13
	flat_load_dwordx4 v[13:16], v[9:10]
	s_waitcnt vmcnt(0) lgkmcnt(0)
	ds_write2_b64 v5, v[13:14], v[15:16] offset1:1
.LBB194_28:
	s_or_b32 exec_lo, exec_lo, s2
	v_add_co_u32 v2, s2, v2, v4
	v_add_co_ci_u32_e64 v3, null, 0, v3, s2
	v_sub_co_u32 v2, s2, v2, s8
	v_subrev_co_ci_u32_e64 v3, null, s9, v3, s2
	v_add_co_u32 v2, s2, v2, 16
	v_add_co_ci_u32_e64 v3, null, 0, v3, s2
	v_cndmask_b32_e32 v7, v2, v7, vcc_lo
	v_cndmask_b32_e32 v8, v3, v8, vcc_lo
.LBB194_29:
	v_lshlrev_b32_e32 v13, 2, v11
	v_lshl_or_b32 v3, v6, 9, v12
	v_mad_u32_u24 v15, 0x840, v11, v12
	s_waitcnt lgkmcnt(0)
	s_barrier
	v_cmp_lt_u32_e64 s3, v13, v6
	buffer_gl0_inv
	s_and_saveexec_b32 s2, s3
	s_cbranch_execz .LBB194_31
; %bb.30:
	ds_read_b128 v[16:19], v15
	v_lshl_add_u32 v2, v13, 4, v3
	s_waitcnt lgkmcnt(0)
	ds_write_b128 v2, v[16:19]
.LBB194_31:
	s_or_b32 exec_lo, exec_lo, s2
	v_or_b32_e32 v2, 1, v13
	v_cmp_lt_u32_e64 s7, v2, v6
	v_mad_u32_u24 v16, 0x210, v2, v12
	s_and_saveexec_b32 s2, s7
	s_cbranch_execz .LBB194_33
; %bb.32:
	ds_read_b128 v[17:20], v16
	v_lshl_add_u32 v2, v13, 4, v3
	s_waitcnt lgkmcnt(0)
	ds_write_b128 v2, v[17:20] offset:16
.LBB194_33:
	s_or_b32 exec_lo, exec_lo, s2
	v_or_b32_e32 v2, 2, v13
	v_cmp_lt_u32_e64 s8, v2, v6
	s_and_saveexec_b32 s2, s8
	s_cbranch_execz .LBB194_35
; %bb.34:
	v_mad_u32_u24 v2, 0x210, v2, v12
	ds_read_b128 v[17:20], v2
	v_lshl_add_u32 v2, v13, 4, v3
	s_waitcnt lgkmcnt(0)
	ds_write_b128 v2, v[17:20] offset:32
.LBB194_35:
	s_or_b32 exec_lo, exec_lo, s2
	v_or_b32_e32 v4, 3, v13
	s_mov_b32 s2, exec_lo
                                        ; implicit-def: $vgpr2
	v_cmp_lt_u32_e64 s9, v4, v6
	v_cmpx_ge_u32_e64 v4, v6
	s_xor_b32 s2, exec_lo, s2
; %bb.36:
	v_mul_u32_u24_e32 v2, 0x210, v4
                                        ; implicit-def: $vgpr3
                                        ; implicit-def: $vgpr4
; %bb.37:
	s_andn2_saveexec_b32 s2, s2
	s_cbranch_execz .LBB194_39
; %bb.38:
	v_mad_u32_u24 v2, 0x210, v4, v12
	v_lshl_add_u32 v3, v13, 4, v3
	ds_read_b128 v[17:20], v2
	v_mul_u32_u24_e32 v2, 0x210, v4
	s_waitcnt lgkmcnt(0)
	ds_write_b128 v3, v[17:20] offset:48
.LBB194_39:
	s_or_b32 exec_lo, exec_lo, s2
	v_lshlrev_b32_e32 v19, 4, v13
	s_waitcnt lgkmcnt(0)
	s_barrier
	buffer_gl0_inv
	ds_read_b128 v[20:23], v15
	ds_read_b128 v[24:27], v19 offset:18176
	v_add_nc_u32_e32 v17, v12, v2
	ds_read_b128 v[2:5], v16 offset:528
	ds_read_b128 v[28:31], v19 offset:18192
	ds_read_b128 v[32:35], v16
	ds_read_b128 v[45:48], v17
	ds_read_b128 v[49:52], v19 offset:18208
	v_cmp_gt_u32_e64 s2, 32, v44
	s_waitcnt lgkmcnt(5)
	v_mul_f64 v[9:10], v[26:27], v[22:23]
	v_mul_f64 v[22:23], v[24:25], v[22:23]
	s_waitcnt lgkmcnt(2)
	v_mul_f64 v[36:37], v[30:31], v[34:35]
	v_mul_f64 v[34:35], v[28:29], v[34:35]
	v_fma_f64 v[9:10], v[24:25], v[20:21], -v[9:10]
	v_fma_f64 v[24:25], v[26:27], v[20:21], v[22:23]
	ds_read_b128 v[20:23], v19 offset:18224
	s_waitcnt lgkmcnt(1)
	v_mul_f64 v[26:27], v[51:52], v[4:5]
	v_mul_f64 v[4:5], v[49:50], v[4:5]
	v_fma_f64 v[28:29], v[28:29], v[32:33], -v[36:37]
	v_fma_f64 v[30:31], v[30:31], v[32:33], v[34:35]
	s_waitcnt lgkmcnt(0)
	s_barrier
	buffer_gl0_inv
	v_mul_f64 v[32:33], v[22:23], v[47:48]
	v_add_f64 v[9:10], v[9:10], 0
	v_add_f64 v[24:25], v[24:25], 0
	v_mul_f64 v[34:35], v[20:21], v[47:48]
	v_fma_f64 v[26:27], v[49:50], v[2:3], -v[26:27]
	v_fma_f64 v[2:3], v[51:52], v[2:3], v[4:5]
	v_fma_f64 v[20:21], v[20:21], v[45:46], -v[32:33]
	v_add_f64 v[4:5], v[9:10], v[28:29]
	v_add_f64 v[9:10], v[24:25], v[30:31]
	v_fma_f64 v[22:23], v[22:23], v[45:46], v[34:35]
	v_add_f64 v[4:5], v[4:5], v[26:27]
	v_add_f64 v[2:3], v[9:10], v[2:3]
	v_add_f64 v[20:21], v[4:5], v[20:21]
	v_add_f64 v[22:23], v[2:3], v[22:23]
	v_mul_u32_u24_e32 v2, 33, v6
	v_mov_b32_e32 v4, 0
	v_mov_b32_e32 v5, 0
	v_lshlrev_b32_e32 v45, 4, v2
	v_mov_b32_e32 v2, 0
	v_mov_b32_e32 v3, 0
	v_lshl_add_u32 v46, v11, 4, v45
	ds_write_b128 v46, v[20:23]
	s_waitcnt lgkmcnt(0)
	s_barrier
	buffer_gl0_inv
	s_and_saveexec_b32 s11, s2
	s_cbranch_execz .LBB194_41
; %bb.40:
	ds_read_b128 v[2:5], v45
	ds_read_b128 v[20:23], v45 offset:16
	s_waitcnt lgkmcnt(0)
	v_add_f64 v[9:10], v[20:21], v[2:3]
	v_add_f64 v[24:25], v[22:23], v[4:5]
	ds_read_b128 v[2:5], v45 offset:32
	ds_read_b128 v[20:23], v45 offset:48
	s_waitcnt lgkmcnt(1)
	v_add_f64 v[2:3], v[9:10], v[2:3]
	v_add_f64 v[4:5], v[24:25], v[4:5]
	s_waitcnt lgkmcnt(0)
	v_add_f64 v[9:10], v[2:3], v[20:21]
	v_add_f64 v[24:25], v[4:5], v[22:23]
	ds_read_b128 v[2:5], v45 offset:64
	ds_read_b128 v[20:23], v45 offset:80
	s_waitcnt lgkmcnt(1)
	v_add_f64 v[2:3], v[9:10], v[2:3]
	v_add_f64 v[4:5], v[24:25], v[4:5]
	;; [unrolled: 8-line block ×3, first 2 shown]
	s_waitcnt lgkmcnt(0)
	v_add_f64 v[2:3], v[2:3], v[20:21]
	v_add_f64 v[4:5], v[4:5], v[22:23]
.LBB194_41:
	s_or_b32 exec_lo, exec_lo, s11
	s_lshl_b64 s[24:25], s[14:15], 9
	v_cndmask_b32_e64 v18, 0, 1, s10
	v_add_co_u32 v9, vcc_lo, v7, s24
	v_add_co_ci_u32_e64 v10, null, s25, v8, vcc_lo
	v_mad_u32_u24 v14, 0x210, v11, v12
	v_add_co_u32 v7, vcc_lo, 0x200, v9
	v_add_co_ci_u32_e64 v8, null, 0, v10, vcc_lo
	s_andn2_b32 vcc_lo, exec_lo, s10
	s_mov_b32 s10, -1
	s_barrier
	buffer_gl0_inv
	s_cbranch_vccnz .LBB194_43
; %bb.42:
	flat_load_dwordx4 v[20:23], v[7:8]
	s_lshl_b64 s[10:11], s[14:15], 7
	v_add_nc_u32_e32 v26, 0x1080, v14
	v_add_co_u32 v24, vcc_lo, v9, s10
	v_add_co_ci_u32_e64 v25, null, s11, v10, vcc_lo
	s_waitcnt vmcnt(0) lgkmcnt(0)
	ds_write2_b64 v14, v[20:21], v[22:23] offset1:1
	flat_load_dwordx4 v[20:23], v[24:25] offset:512
	v_add_co_u32 v24, vcc_lo, v24, s10
	v_add_co_ci_u32_e64 v25, null, s11, v25, vcc_lo
	s_waitcnt vmcnt(0) lgkmcnt(0)
	ds_write2_b64 v26, v[20:21], v[22:23] offset1:1
	flat_load_dwordx4 v[20:23], v[24:25] offset:512
	v_add_co_u32 v24, vcc_lo, v24, s10
	v_add_nc_u32_e32 v26, 0x2100, v14
	v_add_co_ci_u32_e64 v25, null, s11, v25, vcc_lo
	s_mov_b32 s10, 0
	s_waitcnt vmcnt(0) lgkmcnt(0)
	ds_write2_b64 v26, v[20:21], v[22:23] offset1:1
	flat_load_dwordx4 v[20:23], v[24:25] offset:512
	v_add_nc_u32_e32 v24, 0x3180, v14
	s_waitcnt vmcnt(0) lgkmcnt(0)
	ds_write2_b64 v24, v[20:21], v[22:23] offset1:1
.LBB194_43:
	s_andn2_b32 vcc_lo, exec_lo, s10
	s_cbranch_vccnz .LBB194_61
; %bb.44:
	v_lshlrev_b32_e32 v20, 4, v6
	s_ashr_i32 s21, s20, 31
	v_or_b32_e32 v21, 32, v6
	s_lshl_b64 s[24:25], s[20:21], 4
	s_sub_i32 s11, s20, 32
	v_sub_co_u32 v9, vcc_lo, v9, v20
	v_subrev_co_ci_u32_e64 v10, null, 0, v10, vcc_lo
	v_cmp_le_i32_e64 s10, s11, v11
	v_add_co_u32 v9, vcc_lo, v9, s24
	v_add_co_ci_u32_e64 v10, null, s25, v10, vcc_lo
	v_add_co_u32 v9, vcc_lo, v9, -16
	v_add_co_ci_u32_e64 v10, null, -1, v10, vcc_lo
	v_cmp_gt_i32_e32 vcc_lo, s20, v21
	v_cndmask_b32_e32 v10, v10, v8, vcc_lo
	v_cndmask_b32_e32 v9, v9, v7, vcc_lo
	s_and_saveexec_b32 s21, s10
	s_xor_b32 s10, exec_lo, s21
	s_cbranch_execz .LBB194_46
; %bb.45:
	v_mov_b32_e32 v21, 0
	v_mov_b32_e32 v22, v21
	;; [unrolled: 1-line block ×4, first 2 shown]
	ds_write_b128 v14, v[21:24]
.LBB194_46:
	s_andn2_saveexec_b32 s10, s10
	s_cbranch_execz .LBB194_48
; %bb.47:
	flat_load_dwordx4 v[21:24], v[9:10]
	s_waitcnt vmcnt(0) lgkmcnt(0)
	ds_write2_b64 v14, v[21:22], v[23:24] offset1:1
.LBB194_48:
	s_or_b32 exec_lo, exec_lo, s10
	v_add_nc_u32_e32 v22, 8, v11
	v_mul_u32_u24_e32 v21, 0x210, v11
	v_cmp_le_i32_e64 s10, s11, v22
	s_and_saveexec_b32 s21, s10
	s_xor_b32 s10, exec_lo, s21
	s_cbranch_execz .LBB194_50
; %bb.49:
	v_mov_b32_e32 v22, 0
	v_add_nc_u32_e32 v26, v21, v12
	v_mov_b32_e32 v23, v22
	v_mov_b32_e32 v24, v22
	v_mov_b32_e32 v25, v22
	ds_write_b128 v26, v[22:25] offset:4224
.LBB194_50:
	s_andn2_saveexec_b32 s21, s10
	s_cbranch_execz .LBB194_52
; %bb.51:
	s_lshl_b64 s[30:31], s[14:15], 7
	v_add3_u32 v26, v21, v12, 0x1080
	v_add_co_u32 v22, s10, v9, s30
	v_add_co_ci_u32_e64 v23, null, s31, v10, s10
	flat_load_dwordx4 v[22:25], v[22:23]
	s_waitcnt vmcnt(0) lgkmcnt(0)
	ds_write2_b64 v26, v[22:23], v[24:25] offset1:1
.LBB194_52:
	s_or_b32 exec_lo, exec_lo, s21
	v_add_nc_u32_e32 v22, 16, v11
	v_cmp_le_i32_e64 s10, s11, v22
	s_and_saveexec_b32 s21, s10
	s_xor_b32 s10, exec_lo, s21
	s_cbranch_execz .LBB194_54
; %bb.53:
	v_mov_b32_e32 v22, 0
	v_add_nc_u32_e32 v26, v21, v12
	v_mov_b32_e32 v23, v22
	v_mov_b32_e32 v24, v22
	;; [unrolled: 1-line block ×3, first 2 shown]
	ds_write_b128 v26, v[22:25] offset:8448
.LBB194_54:
	s_andn2_saveexec_b32 s21, s10
	s_cbranch_execz .LBB194_56
; %bb.55:
	s_lshl_b64 s[30:31], s[14:15], 8
	v_add3_u32 v26, v21, v12, 0x2100
	v_add_co_u32 v22, s10, v9, s30
	v_add_co_ci_u32_e64 v23, null, s31, v10, s10
	flat_load_dwordx4 v[22:25], v[22:23]
	s_waitcnt vmcnt(0) lgkmcnt(0)
	ds_write2_b64 v26, v[22:23], v[24:25] offset1:1
.LBB194_56:
	s_or_b32 exec_lo, exec_lo, s21
	v_add_nc_u32_e32 v22, 24, v11
	v_cmp_le_i32_e64 s10, s11, v22
	s_and_saveexec_b32 s11, s10
	s_xor_b32 s10, exec_lo, s11
	s_cbranch_execz .LBB194_58
; %bb.57:
	v_mov_b32_e32 v22, 0
	v_add_nc_u32_e32 v21, v21, v12
	v_mov_b32_e32 v23, v22
	v_mov_b32_e32 v24, v22
	;; [unrolled: 1-line block ×3, first 2 shown]
	ds_write_b128 v21, v[22:25] offset:12672
                                        ; implicit-def: $vgpr21
.LBB194_58:
	s_andn2_saveexec_b32 s10, s10
	s_cbranch_execz .LBB194_60
; %bb.59:
	v_mad_u64_u32 v[22:23], null, 0x180, s14, v[9:10]
	v_add3_u32 v21, v21, v12, 0x3180
	v_mad_u64_u32 v[23:24], null, 0x180, s15, v[23:24]
	flat_load_dwordx4 v[22:25], v[22:23]
	s_waitcnt vmcnt(0) lgkmcnt(0)
	ds_write2_b64 v21, v[22:23], v[24:25] offset1:1
.LBB194_60:
	s_or_b32 exec_lo, exec_lo, s10
	v_add_co_u32 v9, s10, v9, v20
	v_add_co_ci_u32_e64 v10, null, 0, v10, s10
	v_sub_co_u32 v9, s10, v9, s24
	v_subrev_co_ci_u32_e64 v10, null, s25, v10, s10
	v_add_co_u32 v9, s10, 0x210, v9
	v_add_co_ci_u32_e64 v10, null, 0, v10, s10
	v_cndmask_b32_e32 v7, v9, v7, vcc_lo
	v_cndmask_b32_e32 v8, v10, v8, vcc_lo
.LBB194_61:
	v_add_nc_u32_e32 v9, 0x4700, v19
	v_add_nc_u32_e32 v10, 0x210, v16
	s_lshl_b64 s[10:11], s[14:15], 5
	s_waitcnt lgkmcnt(0)
	s_barrier
	buffer_gl0_inv
	s_and_saveexec_b32 s21, s3
	s_cbranch_execnz .LBB194_70
; %bb.62:
	s_or_b32 exec_lo, exec_lo, s21
	s_and_saveexec_b32 s3, s7
	s_cbranch_execnz .LBB194_71
.LBB194_63:
	s_or_b32 exec_lo, exec_lo, s3
	s_and_saveexec_b32 s3, s8
	s_cbranch_execnz .LBB194_72
.LBB194_64:
	s_or_b32 exec_lo, exec_lo, s3
	s_and_saveexec_b32 s3, s9
	s_cbranch_execz .LBB194_66
.LBB194_65:
	ds_read_b128 v[19:22], v17
	v_lshl_add_u32 v23, v13, 4, v45
	s_waitcnt lgkmcnt(0)
	ds_write_b128 v23, v[19:22] offset:48
.LBB194_66:
	s_or_b32 exec_lo, exec_lo, s3
	s_waitcnt lgkmcnt(0)
	s_barrier
	buffer_gl0_inv
	ds_read_b128 v[19:22], v15
	ds_read_b128 v[23:26], v9 offset:512
	ds_read_b128 v[27:30], v9 offset:528
	ds_read_b128 v[31:34], v16
	ds_read_b128 v[47:50], v9 offset:544
	ds_read_b128 v[51:54], v10
	v_cmp_eq_u32_e64 s3, 1, v11
	s_waitcnt lgkmcnt(4)
	v_mul_f64 v[15:16], v[25:26], v[21:22]
	v_mul_f64 v[21:22], v[23:24], v[21:22]
	s_waitcnt lgkmcnt(2)
	v_mul_f64 v[35:36], v[29:30], v[33:34]
	v_mul_f64 v[33:34], v[27:28], v[33:34]
	;; [unrolled: 3-line block ×3, first 2 shown]
	v_fma_f64 v[15:16], v[23:24], v[19:20], -v[15:16]
	v_fma_f64 v[42:43], v[25:26], v[19:20], v[21:22]
	v_fma_f64 v[27:28], v[27:28], v[31:32], -v[35:36]
	v_fma_f64 v[29:30], v[29:30], v[31:32], v[33:34]
	ds_read_b128 v[19:22], v9 offset:560
	ds_read_b128 v[23:26], v17
	v_fma_f64 v[35:36], v[47:48], v[51:52], -v[55:56]
	s_waitcnt lgkmcnt(0)
	s_barrier
	buffer_gl0_inv
	v_add_f64 v[15:16], v[15:16], 0
	v_add_f64 v[31:32], v[42:43], 0
	v_mul_f64 v[33:34], v[21:22], v[25:26]
	v_mul_f64 v[25:26], v[19:20], v[25:26]
	v_fma_f64 v[42:43], v[49:50], v[51:52], v[53:54]
	v_add_f64 v[15:16], v[15:16], v[27:28]
	v_add_f64 v[27:28], v[31:32], v[29:30]
	v_fma_f64 v[19:20], v[19:20], v[23:24], -v[33:34]
	v_fma_f64 v[21:22], v[21:22], v[23:24], v[25:26]
	v_add_f64 v[15:16], v[15:16], v[35:36]
	v_add_f64 v[23:24], v[27:28], v[42:43]
	;; [unrolled: 1-line block ×4, first 2 shown]
	ds_write_b128 v46, v[19:22]
	s_waitcnt lgkmcnt(0)
	s_barrier
	buffer_gl0_inv
	s_and_saveexec_b32 s7, s3
	s_cbranch_execz .LBB194_68
; %bb.67:
	ds_read_b128 v[2:5], v45
	ds_read_b128 v[19:22], v45 offset:16
	s_waitcnt lgkmcnt(0)
	v_add_f64 v[15:16], v[19:20], v[2:3]
	v_add_f64 v[23:24], v[21:22], v[4:5]
	ds_read_b128 v[2:5], v45 offset:32
	ds_read_b128 v[19:22], v45 offset:48
	s_waitcnt lgkmcnt(1)
	v_add_f64 v[2:3], v[15:16], v[2:3]
	v_add_f64 v[4:5], v[23:24], v[4:5]
	s_waitcnt lgkmcnt(0)
	v_add_f64 v[15:16], v[2:3], v[19:20]
	v_add_f64 v[23:24], v[4:5], v[21:22]
	ds_read_b128 v[2:5], v45 offset:64
	ds_read_b128 v[19:22], v45 offset:80
	s_waitcnt lgkmcnt(1)
	v_add_f64 v[2:3], v[15:16], v[2:3]
	v_add_f64 v[4:5], v[23:24], v[4:5]
	;; [unrolled: 8-line block ×3, first 2 shown]
	s_waitcnt lgkmcnt(0)
	v_add_f64 v[2:3], v[2:3], v[19:20]
	v_add_f64 v[4:5], v[4:5], v[21:22]
.LBB194_68:
	s_or_b32 exec_lo, exec_lo, s7
	s_lshl_b64 s[8:9], s[10:11], 4
	v_cmp_ne_u32_e32 vcc_lo, 1, v18
	v_sub_co_u32 v42, s7, v7, s8
	v_subrev_co_ci_u32_e64 v43, null, s9, v8, s7
	s_barrier
	buffer_gl0_inv
	s_cbranch_vccnz .LBB194_73
; %bb.69:
	flat_load_dwordx4 v[15:18], v[42:43]
	s_lshl_b64 s[8:9], s[14:15], 7
	v_add_nc_u32_e32 v10, 8, v11
	v_add_co_u32 v7, vcc_lo, v42, s8
	v_add_co_ci_u32_e64 v8, null, s9, v43, vcc_lo
	v_mad_u32_u24 v21, 0x210, v10, v12
	v_add_co_u32 v19, vcc_lo, v7, s8
	v_add_co_ci_u32_e64 v20, null, s9, v8, vcc_lo
	s_movk_i32 s7, 0x1080
	s_waitcnt vmcnt(0) lgkmcnt(0)
	ds_write2_b64 v14, v[15:16], v[17:18] offset1:1
	flat_load_dwordx4 v[15:18], v[7:8]
	v_mad_u32_u24 v7, 0x210, v10, s7
	s_movk_i32 s7, 0x2100
	v_add_nc_u32_e32 v8, v12, v7
	s_waitcnt vmcnt(0) lgkmcnt(0)
	ds_write2_b64 v21, v[15:16], v[17:18] offset1:1
	flat_load_dwordx4 v[15:18], v[19:20]
	v_add_co_u32 v19, vcc_lo, v19, s8
	v_add_co_ci_u32_e64 v20, null, s9, v20, vcc_lo
	s_waitcnt vmcnt(0) lgkmcnt(0)
	ds_write2_b64 v8, v[15:16], v[17:18] offset1:1
	flat_load_dwordx4 v[18:21], v[19:20]
	v_mad_u32_u24 v17, 0x210, v10, s7
	v_mul_u32_u24_e32 v8, 0x210, v10
	v_add_nc_u32_e32 v15, 16, v11
	v_add_nc_u32_e32 v16, 24, v11
	v_add_nc_u32_e32 v22, v12, v17
	s_waitcnt vmcnt(0) lgkmcnt(0)
	ds_write2_b64 v22, v[18:19], v[20:21] offset1:1
	s_cbranch_execz .LBB194_74
	s_branch .LBB194_91
.LBB194_70:
	ds_read_b128 v[19:22], v15
	v_lshl_add_u32 v23, v13, 4, v45
	s_waitcnt lgkmcnt(0)
	ds_write_b128 v23, v[19:22]
	s_or_b32 exec_lo, exec_lo, s21
	s_and_saveexec_b32 s3, s7
	s_cbranch_execz .LBB194_63
.LBB194_71:
	ds_read_b128 v[19:22], v16
	v_lshl_add_u32 v23, v13, 4, v45
	s_waitcnt lgkmcnt(0)
	ds_write_b128 v23, v[19:22] offset:16
	s_or_b32 exec_lo, exec_lo, s3
	s_and_saveexec_b32 s3, s8
	s_cbranch_execz .LBB194_64
.LBB194_72:
	ds_read_b128 v[19:22], v10
	v_lshl_add_u32 v23, v13, 4, v45
	s_waitcnt lgkmcnt(0)
	ds_write_b128 v23, v[19:22] offset:32
	s_or_b32 exec_lo, exec_lo, s3
	s_and_saveexec_b32 s3, s9
	s_cbranch_execnz .LBB194_65
	s_branch .LBB194_66
.LBB194_73:
                                        ; implicit-def: $vgpr10
                                        ; implicit-def: $vgpr8
                                        ; implicit-def: $vgpr15
                                        ; implicit-def: $vgpr7
                                        ; implicit-def: $vgpr16
                                        ; implicit-def: $vgpr17
.LBB194_74:
	v_or_b32_e32 v7, 32, v6
	s_ashr_i32 s21, s20, 31
	v_cmp_le_i32_e64 s7, s20, v11
	s_lshl_b64 s[8:9], s[20:21], 4
	v_lshlrev_b32_e32 v8, 4, v7
	v_sub_co_u32 v8, vcc_lo, v42, v8
	v_subrev_co_ci_u32_e64 v10, null, 0, v43, vcc_lo
	v_add_co_u32 v8, vcc_lo, v8, s8
	v_add_co_ci_u32_e64 v10, null, s9, v10, vcc_lo
	v_add_co_u32 v15, vcc_lo, v8, -16
	v_add_co_ci_u32_e64 v8, null, -1, v10, vcc_lo
	v_cmp_gt_i32_e32 vcc_lo, s20, v7
	v_cndmask_b32_e32 v8, v8, v43, vcc_lo
	v_cndmask_b32_e32 v7, v15, v42, vcc_lo
	s_and_saveexec_b32 s10, s7
	s_xor_b32 s7, exec_lo, s10
	s_cbranch_execz .LBB194_76
; %bb.75:
	v_mov_b32_e32 v15, 0
	v_mov_b32_e32 v16, v15
	;; [unrolled: 1-line block ×4, first 2 shown]
	ds_write_b128 v14, v[15:18]
.LBB194_76:
	s_andn2_saveexec_b32 s7, s7
	s_cbranch_execz .LBB194_78
; %bb.77:
	flat_load_dwordx4 v[15:18], v[7:8]
	s_waitcnt vmcnt(0) lgkmcnt(0)
	ds_write2_b64 v14, v[15:16], v[17:18] offset1:1
.LBB194_78:
	s_or_b32 exec_lo, exec_lo, s7
	v_add_nc_u32_e32 v10, 8, v11
	v_cmp_le_i32_e64 s7, s20, v10
	s_and_saveexec_b32 s10, s7
	s_xor_b32 s7, exec_lo, s10
	s_cbranch_execz .LBB194_80
; %bb.79:
	v_mov_b32_e32 v15, 0
	v_mad_u32_u24 v19, 0x210, v10, v12
	v_mov_b32_e32 v16, v15
	v_mov_b32_e32 v17, v15
	;; [unrolled: 1-line block ×3, first 2 shown]
	ds_write_b128 v19, v[15:18]
.LBB194_80:
	s_andn2_saveexec_b32 s10, s7
	s_cbranch_execz .LBB194_82
; %bb.81:
	s_lshl_b64 s[24:25], s[14:15], 7
	v_mad_u32_u24 v19, 0x210, v10, v12
	v_add_co_u32 v15, s7, v7, s24
	v_add_co_ci_u32_e64 v16, null, s25, v8, s7
	flat_load_dwordx4 v[15:18], v[15:16]
	s_waitcnt vmcnt(0) lgkmcnt(0)
	ds_write2_b64 v19, v[15:16], v[17:18] offset1:1
.LBB194_82:
	s_or_b32 exec_lo, exec_lo, s10
	v_add_nc_u32_e32 v15, 16, v11
	v_cmp_le_i32_e64 s7, s20, v15
	s_and_saveexec_b32 s10, s7
	s_xor_b32 s7, exec_lo, s10
	s_cbranch_execz .LBB194_84
; %bb.83:
	v_mov_b32_e32 v16, 0
	v_mad_u32_u24 v20, 0x210, v15, v12
	v_mov_b32_e32 v17, v16
	v_mov_b32_e32 v18, v16
	;; [unrolled: 1-line block ×3, first 2 shown]
	ds_write_b128 v20, v[16:19]
.LBB194_84:
	s_andn2_saveexec_b32 s10, s7
	s_cbranch_execz .LBB194_86
; %bb.85:
	s_lshl_b64 s[24:25], s[14:15], 8
	v_mad_u32_u24 v20, 0x210, v15, v12
	v_add_co_u32 v16, s7, v7, s24
	v_add_co_ci_u32_e64 v17, null, s25, v8, s7
	flat_load_dwordx4 v[16:19], v[16:17]
	s_waitcnt vmcnt(0) lgkmcnt(0)
	ds_write2_b64 v20, v[16:17], v[18:19] offset1:1
.LBB194_86:
	s_or_b32 exec_lo, exec_lo, s10
	v_add_nc_u32_e32 v16, 24, v11
                                        ; implicit-def: $vgpr17
	v_cmp_le_i32_e64 s7, s20, v16
	s_and_saveexec_b32 s10, s7
	s_xor_b32 s7, exec_lo, s10
	s_cbranch_execz .LBB194_88
; %bb.87:
	v_mov_b32_e32 v18, 0
	v_mad_u32_u24 v22, 0x210, v16, v12
	v_mul_u32_u24_e32 v17, 0x210, v16
	v_mov_b32_e32 v19, v18
	v_mov_b32_e32 v20, v18
	;; [unrolled: 1-line block ×3, first 2 shown]
	ds_write_b128 v22, v[18:21]
.LBB194_88:
	s_andn2_saveexec_b32 s7, s7
	s_cbranch_execz .LBB194_90
; %bb.89:
	v_mad_u64_u32 v[17:18], null, 0x180, s14, v[7:8]
	v_mad_u32_u24 v22, 0x210, v16, v12
	v_mad_u64_u32 v[18:19], null, 0x180, s15, v[18:19]
	flat_load_dwordx4 v[18:21], v[17:18]
	v_mul_u32_u24_e32 v17, 0x210, v16
	s_waitcnt vmcnt(0) lgkmcnt(0)
	ds_write2_b64 v22, v[18:19], v[20:21] offset1:1
.LBB194_90:
	s_or_b32 exec_lo, exec_lo, s7
	v_lshlrev_b32_e32 v6, 4, v6
	v_add_co_u32 v6, s7, v7, v6
	v_add_co_ci_u32_e64 v7, null, 0, v8, s7
	v_mul_u32_u24_e32 v8, 0x210, v10
	v_sub_co_u32 v6, s7, v6, s8
	v_subrev_co_ci_u32_e64 v7, null, s9, v7, s7
	v_add_co_u32 v6, s7, 0x210, v6
	v_add_co_ci_u32_e64 v7, null, 0, v7, s7
	s_movk_i32 s7, 0x1080
	v_cndmask_b32_e32 v42, v6, v42, vcc_lo
	v_cndmask_b32_e32 v43, v7, v43, vcc_lo
	v_mad_u32_u24 v7, 0x210, v10, s7
.LBB194_91:
	v_lshlrev_b32_e32 v6, 4, v11
	s_waitcnt lgkmcnt(0)
	s_barrier
	buffer_gl0_inv
	v_add_nc_u32_e32 v8, v12, v8
	ds_read_b128 v[18:21], v6 offset:18176
	ds_read_b128 v[22:25], v14
	v_lshlrev_b32_e32 v6, 4, v10
	v_add_nc_u32_e32 v7, v12, v7
	v_add_nc_u32_e32 v12, v12, v17
	v_lshl_add_u32 v51, v13, 4, v45
	ds_read_b128 v[26:29], v6 offset:18176
	ds_read_b128 v[30:33], v8
	v_lshlrev_b32_e32 v6, 4, v15
	v_lshlrev_b32_e32 v8, 4, v16
	ds_read_b128 v[34:37], v6 offset:18176
	ds_read_b128 v[47:50], v7
	s_waitcnt lgkmcnt(4)
	v_mul_f64 v[10:11], v[20:21], v[24:25]
	v_mul_f64 v[24:25], v[18:19], v[24:25]
	s_waitcnt lgkmcnt(2)
	v_mul_f64 v[6:7], v[28:29], v[32:33]
	v_mul_f64 v[32:33], v[26:27], v[32:33]
	v_fma_f64 v[10:11], v[18:19], v[22:23], -v[10:11]
	v_fma_f64 v[22:23], v[20:21], v[22:23], v[24:25]
	s_waitcnt lgkmcnt(0)
	v_mul_f64 v[24:25], v[36:37], v[49:50]
	v_mul_f64 v[49:50], v[34:35], v[49:50]
	ds_read_b128 v[14:17], v8 offset:18176
	ds_read2_b64 v[18:21], v12 offset1:1
	v_fma_f64 v[6:7], v[26:27], v[30:31], -v[6:7]
	v_fma_f64 v[26:27], v[28:29], v[30:31], v[32:33]
	v_add_f64 v[10:11], v[10:11], 0
	v_add_f64 v[22:23], v[22:23], 0
	s_waitcnt lgkmcnt(0)
	v_mul_f64 v[28:29], v[16:17], v[20:21]
	v_mul_f64 v[20:21], v[14:15], v[20:21]
	v_fma_f64 v[24:25], v[34:35], v[47:48], -v[24:25]
	v_fma_f64 v[30:31], v[36:37], v[47:48], v[49:50]
	v_add_f64 v[6:7], v[10:11], v[6:7]
	v_add_f64 v[10:11], v[22:23], v[26:27]
	v_fma_f64 v[14:15], v[14:15], v[18:19], -v[28:29]
	v_fma_f64 v[16:17], v[16:17], v[18:19], v[20:21]
	v_add_f64 v[6:7], v[6:7], v[24:25]
	v_add_f64 v[10:11], v[10:11], v[30:31]
	ds_read_b128 v[30:33], v9 offset:512
	ds_read_b128 v[22:25], v9 offset:528
	v_add_f64 v[47:48], v[6:7], v[14:15]
	v_add_f64 v[49:50], v[10:11], v[16:17]
	ds_read_b128 v[10:13], v9 offset:544
	ds_read_b128 v[6:9], v9 offset:560
	ds_read_b128 v[34:37], v51
	ds_read_b128 v[26:29], v51 offset:16
	ds_read_b128 v[18:21], v51 offset:32
	;; [unrolled: 1-line block ×3, first 2 shown]
	s_waitcnt lgkmcnt(0)
	s_barrier
	buffer_gl0_inv
	ds_write_b128 v46, v[47:50]
	s_waitcnt lgkmcnt(0)
	s_barrier
	buffer_gl0_inv
	s_and_saveexec_b32 s7, s3
	s_cbranch_execz .LBB194_93
; %bb.92:
	ds_read_b128 v[47:50], v45
	ds_read_b128 v[51:54], v45 offset:16
	s_waitcnt lgkmcnt(1)
	v_add_f64 v[2:3], v[2:3], v[47:48]
	v_add_f64 v[4:5], v[4:5], v[49:50]
	s_waitcnt lgkmcnt(0)
	v_add_f64 v[51:52], v[2:3], v[51:52]
	v_add_f64 v[53:54], v[4:5], v[53:54]
	ds_read_b128 v[2:5], v45 offset:32
	ds_read_b128 v[47:50], v45 offset:48
	s_waitcnt lgkmcnt(1)
	v_add_f64 v[2:3], v[51:52], v[2:3]
	v_add_f64 v[4:5], v[53:54], v[4:5]
	s_waitcnt lgkmcnt(0)
	v_add_f64 v[51:52], v[2:3], v[47:48]
	v_add_f64 v[53:54], v[4:5], v[49:50]
	ds_read_b128 v[2:5], v45 offset:64
	;; [unrolled: 8-line block ×3, first 2 shown]
	ds_read_b128 v[47:50], v45 offset:112
	s_waitcnt lgkmcnt(1)
	v_add_f64 v[2:3], v[51:52], v[2:3]
	v_add_f64 v[4:5], v[53:54], v[4:5]
	s_waitcnt lgkmcnt(0)
	v_add_f64 v[2:3], v[2:3], v[47:48]
	v_add_f64 v[4:5], v[4:5], v[49:50]
.LBB194_93:
	s_or_b32 exec_lo, exec_lo, s7
	v_mul_f64 v[47:48], v[36:37], v[32:33]
	v_mul_f64 v[32:33], v[34:35], v[32:33]
	;; [unrolled: 1-line block ×4, first 2 shown]
	s_barrier
	buffer_gl0_inv
	v_fma_f64 v[34:35], v[34:35], v[30:31], -v[47:48]
	v_fma_f64 v[30:31], v[36:37], v[30:31], v[32:33]
	v_mul_f64 v[32:33], v[20:21], v[12:13]
	v_mul_f64 v[12:13], v[18:19], v[12:13]
	v_fma_f64 v[26:27], v[26:27], v[22:23], -v[49:50]
	v_fma_f64 v[22:23], v[28:29], v[22:23], v[24:25]
	v_add_f64 v[24:25], v[34:35], 0
	v_add_f64 v[28:29], v[30:31], 0
	v_mul_f64 v[30:31], v[16:17], v[8:9]
	v_mul_f64 v[8:9], v[14:15], v[8:9]
	v_fma_f64 v[18:19], v[18:19], v[10:11], -v[32:33]
	v_fma_f64 v[10:11], v[20:21], v[10:11], v[12:13]
	v_add_f64 v[12:13], v[24:25], v[26:27]
	v_add_f64 v[20:21], v[28:29], v[22:23]
	v_fma_f64 v[14:15], v[14:15], v[6:7], -v[30:31]
	v_fma_f64 v[8:9], v[16:17], v[6:7], v[8:9]
	v_add_f64 v[6:7], v[12:13], v[18:19]
	v_add_f64 v[10:11], v[20:21], v[10:11]
	;; [unrolled: 1-line block ×4, first 2 shown]
	ds_write_b128 v46, v[6:9]
	s_waitcnt lgkmcnt(0)
	s_barrier
	buffer_gl0_inv
	s_and_saveexec_b32 s3, s2
	s_cbranch_execz .LBB194_95
; %bb.94:
	ds_read_b128 v[6:9], v45
	ds_read_b128 v[10:13], v45 offset:16
	s_waitcnt lgkmcnt(1)
	v_add_f64 v[2:3], v[2:3], v[6:7]
	v_add_f64 v[4:5], v[4:5], v[8:9]
	s_waitcnt lgkmcnt(0)
	v_add_f64 v[10:11], v[2:3], v[10:11]
	v_add_f64 v[12:13], v[4:5], v[12:13]
	ds_read_b128 v[2:5], v45 offset:32
	ds_read_b128 v[6:9], v45 offset:48
	s_waitcnt lgkmcnt(1)
	v_add_f64 v[2:3], v[10:11], v[2:3]
	v_add_f64 v[4:5], v[12:13], v[4:5]
	s_waitcnt lgkmcnt(0)
	v_add_f64 v[10:11], v[2:3], v[6:7]
	v_add_f64 v[12:13], v[4:5], v[8:9]
	ds_read_b128 v[2:5], v45 offset:64
	;; [unrolled: 8-line block ×3, first 2 shown]
	ds_read_b128 v[6:9], v45 offset:112
	s_waitcnt lgkmcnt(1)
	v_add_f64 v[2:3], v[10:11], v[2:3]
	v_add_f64 v[4:5], v[12:13], v[4:5]
	s_waitcnt lgkmcnt(0)
	v_add_f64 v[2:3], v[2:3], v[6:7]
	v_add_f64 v[4:5], v[4:5], v[8:9]
.LBB194_95:
	s_or_b32 exec_lo, exec_lo, s3
	s_load_dwordx2 s[2:3], s[4:5], 0x78
	s_mul_hi_u32 s4, s17, s16
	s_mul_i32 s27, s27, s16
	s_mul_i32 s5, s17, s16
	s_add_i32 s4, s4, s27
	s_mul_hi_u32 s7, s5, s26
	s_mul_i32 s8, s4, s26
	s_mul_i32 s4, s5, s26
	s_add_i32 s5, s7, s8
	s_mul_i32 s8, s17, s6
	s_lshl_b64 s[4:5], s[4:5], 4
	v_cmp_le_i32_e32 vcc_lo, s20, v0
	v_lshlrev_b32_e32 v140, 4, v0
	s_waitcnt lgkmcnt(0)
	s_barrier
	buffer_gl0_inv
	s_add_u32 s4, s2, s4
	s_addc_u32 s5, s3, s5
	s_ashr_i32 s9, s8, 31
	s_lshl_b64 s[2:3], s[8:9], 4
	s_add_u32 s7, s4, s2
	s_addc_u32 s8, s5, s3
	s_and_b32 vcc_lo, s28, vcc_lo
	s_cmp_lt_i32 s6, 1
	s_cbranch_scc1 .LBB194_102
; %bb.96:
	v_lshlrev_b32_e32 v8, 2, v1
	s_ashr_i32 s21, s20, 31
	v_lshrrev_b32_e32 v9, 4, v44
	s_lshl_b64 s[10:11], s[20:21], 4
	s_mul_i32 s3, s12, s19
	v_mad_u64_u32 v[6:7], null, s14, v8, 0
	s_mul_hi_u32 s5, s12, s18
	v_and_b32_e32 v10, 15, v0
	s_mul_i32 s9, s13, s18
	s_add_i32 s3, s5, s3
	s_mul_i32 s4, s12, s18
	s_add_i32 s5, s3, s9
	v_mad_u64_u32 v[7:8], null, s15, v8, v[7:8]
	v_sub_co_u32 v8, s2, v42, s22
	v_subrev_co_ci_u32_e64 v11, null, s23, v43, s2
	v_or_b32_e32 v12, 0xf0, v140
	v_add_co_u32 v8, s2, 0xfffffe00, v8
	v_add_co_ci_u32_e64 v11, null, -1, v11, s2
	v_lshlrev_b64 v[6:7], 4, v[6:7]
	v_sub_co_u32 v8, s2, v8, v40
	v_sub_co_ci_u32_e64 v11, null, v11, v41, s2
	s_lshl_b64 s[4:5], s[4:5], 4
	v_add_co_u32 v6, s2, v8, v6
	v_add_co_ci_u32_e64 v7, null, v11, v7, s2
	v_mov_b32_e32 v137, 0
	v_add_co_u32 v8, s2, v6, s10
	v_add_co_ci_u32_e64 v11, null, s11, v7, s2
	v_add_co_u32 v6, s2, v6, v140
	v_add_co_ci_u32_e64 v7, null, 0, v7, s2
	v_add_co_u32 v8, s2, v8, -16
	v_add_co_ci_u32_e64 v11, null, -1, v11, s2
	v_sub_co_u32 v141, s2, v38, s4
	v_cndmask_b32_e32 v6, v6, v8, vcc_lo
	v_cndmask_b32_e32 v7, v7, v11, vcc_lo
	v_and_b32_e32 v8, 48, v0
	v_lshlrev_b32_e32 v11, 6, v9
	v_mul_i32_i24_e32 v9, 0xffffffd0, v9
	v_subrev_co_ci_u32_e64 v142, null, s5, v39, s2
	v_lshlrev_b32_e32 v8, 4, v8
	v_mad_u32_u24 v147, 0x430, v10, v11
	v_add_nc_u32_e32 v143, 0x4300, v140
	v_lshl_add_u32 v144, v1, 6, 0x4300
	v_add_nc_u32_e32 v145, 0x4700, v140
	v_mad_u32_u24 v146, 0x10c0, v1, v140
	v_cmp_gt_u32_e64 s2, 64, v44
	v_mad_u32_u24 v148, 0x430, v10, v8
	v_mad_u32_u24 v149, 0x430, v10, v12
	v_add_nc_u32_e32 v150, v147, v9
	s_mul_i32 s3, s15, 0xd0
	s_mul_hi_u32 s9, s14, 0xd0
	s_lshl_b64 s[4:5], s[14:15], 4
	s_add_i32 s9, s9, s3
	s_mul_i32 s10, s14, 0xd0
	s_mov_b32 s11, 0
	s_branch .LBB194_98
.LBB194_97:                             ;   in Loop: Header=BB194_98 Depth=1
	s_or_b32 exec_lo, exec_lo, s14
	v_mul_f64 v[151:152], v[16:17], v[24:25]
	v_mul_f64 v[24:25], v[14:15], v[24:25]
	v_mul_f64 v[153:154], v[20:21], v[28:29]
	v_mul_f64 v[28:29], v[18:19], v[28:29]
	s_add_i32 s6, s6, -1
	s_add_i32 s11, s11, 64
	s_cmp_eq_u32 s6, 0
	s_waitcnt_vscnt null, 0x0
	s_barrier
	buffer_gl0_inv
	v_fma_f64 v[14:15], v[14:15], v[22:23], -v[151:152]
	v_fma_f64 v[16:17], v[16:17], v[22:23], v[24:25]
	v_mul_f64 v[22:23], v[12:13], v[32:33]
	v_mul_f64 v[24:25], v[10:11], v[32:33]
	v_fma_f64 v[18:19], v[18:19], v[26:27], -v[153:154]
	v_fma_f64 v[20:21], v[20:21], v[26:27], v[28:29]
	v_add_f64 v[2:3], v[2:3], v[14:15]
	v_add_f64 v[4:5], v[4:5], v[16:17]
	v_mul_f64 v[14:15], v[8:9], v[48:49]
	v_mul_f64 v[16:17], v[6:7], v[48:49]
	v_fma_f64 v[10:11], v[10:11], v[30:31], -v[22:23]
	v_fma_f64 v[12:13], v[12:13], v[30:31], v[24:25]
	v_add_f64 v[2:3], v[2:3], v[18:19]
	v_add_f64 v[4:5], v[4:5], v[20:21]
	;; [unrolled: 6-line block ×14, first 2 shown]
	v_fma_f64 v[6:7], v[114:115], v[118:119], -v[6:7]
	v_fma_f64 v[8:9], v[116:117], v[118:119], v[8:9]
	v_add_f64 v[2:3], v[2:3], v[10:11]
	v_add_f64 v[4:5], v[4:5], v[12:13]
	;; [unrolled: 1-line block ×4, first 2 shown]
	v_add_co_u32 v6, s3, v138, s10
	v_add_co_ci_u32_e64 v7, null, s9, v139, s3
	s_cbranch_scc1 .LBB194_102
.LBB194_98:                             ; =>This Inner Loop Header: Depth=1
	s_and_saveexec_b32 s14, s1
	s_cbranch_execz .LBB194_100
; %bb.99:                               ;   in Loop: Header=BB194_98 Depth=1
	s_mul_i32 s3, s13, s11
	s_mul_hi_u32 s15, s12, s11
	s_mul_i32 s16, s12, s11
	s_add_i32 s17, s15, s3
	s_lshl_b64 s[16:17], s[16:17], 4
	v_add_co_u32 v8, s3, v141, s16
	v_add_co_ci_u32_e64 v9, null, s17, v142, s3
	flat_load_dwordx4 v[8:11], v[8:9]
	s_waitcnt vmcnt(0) lgkmcnt(0)
	ds_write2_b64 v143, v[8:9], v[10:11] offset1:1
.LBB194_100:                            ;   in Loop: Header=BB194_98 Depth=1
	s_or_b32 exec_lo, exec_lo, s14
	v_add_co_u32 v8, s3, v6, s4
	v_add_co_ci_u32_e64 v9, null, s5, v7, s3
	s_waitcnt lgkmcnt(0)
	v_add_co_u32 v10, s3, v8, s4
	v_add_co_ci_u32_e64 v11, null, s5, v9, s3
	s_barrier
	v_add_co_u32 v29, s3, v10, s4
	buffer_gl0_inv
	flat_load_dwordx4 v[14:17], v[6:7]
	v_add_co_ci_u32_e64 v30, null, s5, v11, s3
	s_clause 0x2
	flat_load_dwordx4 v[18:21], v[8:9]
	flat_load_dwordx4 v[10:13], v[10:11]
	;; [unrolled: 1-line block ×3, first 2 shown]
	ds_read_b128 v[22:25], v145
	v_add_co_u32 v54, s3, v29, s10
	v_add_co_ci_u32_e64 v55, null, s9, v30, s3
	v_add_co_u32 v56, s3, v54, s4
	v_add_co_ci_u32_e64 v57, null, s5, v55, s3
	;; [unrolled: 2-line block ×5, first 2 shown]
	s_waitcnt vmcnt(3) lgkmcnt(0)
	v_mul_f64 v[26:27], v[16:17], v[24:25]
	v_mul_f64 v[31:32], v[14:15], v[24:25]
	s_waitcnt vmcnt(2)
	v_mul_f64 v[38:39], v[20:21], v[24:25]
	v_mul_f64 v[40:41], v[18:19], v[24:25]
	s_waitcnt vmcnt(1)
	;; [unrolled: 3-line block ×3, first 2 shown]
	v_mul_f64 v[46:47], v[8:9], v[24:25]
	v_mul_f64 v[24:25], v[6:7], v[24:25]
	v_fma_f64 v[34:35], v[14:15], v[22:23], -v[26:27]
	v_fma_f64 v[36:37], v[16:17], v[22:23], v[31:32]
	v_fma_f64 v[38:39], v[18:19], v[22:23], -v[38:39]
	v_fma_f64 v[40:41], v[20:21], v[22:23], v[40:41]
	;; [unrolled: 2-line block ×4, first 2 shown]
	ds_read_b128 v[22:25], v144
	ds_read_b128 v[26:29], v144 offset:16
	ds_read_b128 v[30:33], v144 offset:32
	;; [unrolled: 1-line block ×3, first 2 shown]
	ds_write_b128 v146, v[34:37]
	ds_write_b128 v146, v[38:41] offset:1072
	ds_write_b128 v146, v[42:45] offset:2144
	;; [unrolled: 1-line block ×3, first 2 shown]
	s_waitcnt lgkmcnt(0)
	s_barrier
	buffer_gl0_inv
	ds_read_b128 v[86:89], v147
	ds_read_b128 v[90:93], v147 offset:16
	ds_read_b128 v[94:97], v147 offset:32
	;; [unrolled: 1-line block ×3, first 2 shown]
	s_waitcnt lgkmcnt(0)
	s_barrier
	buffer_gl0_inv
	s_clause 0x3
	flat_load_dwordx4 v[50:53], v[54:55]
	flat_load_dwordx4 v[42:45], v[56:57]
	;; [unrolled: 1-line block ×4, first 2 shown]
	ds_read_b128 v[54:57], v145
	v_add_f64 v[86:87], v[86:87], 0
	v_add_f64 v[88:89], v[88:89], 0
	;; [unrolled: 1-line block ×7, first 2 shown]
	s_waitcnt vmcnt(2) lgkmcnt(0)
	v_mul_f64 v[62:63], v[44:45], v[56:57]
	v_mul_f64 v[58:59], v[52:53], v[56:57]
	;; [unrolled: 1-line block ×4, first 2 shown]
	s_waitcnt vmcnt(1)
	v_mul_f64 v[69:70], v[40:41], v[56:57]
	v_mul_f64 v[71:72], v[38:39], v[56:57]
	s_waitcnt vmcnt(0)
	v_mul_f64 v[73:74], v[36:37], v[56:57]
	v_mul_f64 v[75:76], v[34:35], v[56:57]
	v_fma_f64 v[56:57], v[50:51], v[54:55], -v[58:59]
	v_fma_f64 v[58:59], v[52:53], v[54:55], v[60:61]
	v_fma_f64 v[60:61], v[42:43], v[54:55], -v[62:63]
	v_fma_f64 v[62:63], v[44:45], v[54:55], v[64:65]
	;; [unrolled: 2-line block ×4, first 2 shown]
	v_add_co_u32 v54, s3, v102, s4
	v_add_co_ci_u32_e64 v55, null, s5, v103, s3
	ds_read_b128 v[82:85], v144 offset:256
	ds_read_b128 v[78:81], v144 offset:272
	;; [unrolled: 1-line block ×4, first 2 shown]
	v_add_co_u32 v104, s3, v54, s4
	v_add_co_ci_u32_e64 v105, null, s5, v55, s3
	ds_write_b128 v146, v[56:59]
	ds_write_b128 v146, v[60:63] offset:1072
	ds_write_b128 v146, v[64:67] offset:2144
	;; [unrolled: 1-line block ×3, first 2 shown]
	v_add_co_u32 v106, s3, v104, s4
	s_waitcnt lgkmcnt(0)
	s_barrier
	buffer_gl0_inv
	ds_read_b128 v[98:101], v147
	ds_read_b128 v[114:117], v147 offset:16
	ds_read_b128 v[118:121], v147 offset:32
	;; [unrolled: 1-line block ×3, first 2 shown]
	s_waitcnt lgkmcnt(0)
	s_barrier
	buffer_gl0_inv
	flat_load_dwordx4 v[66:69], v[102:103]
	v_add_co_ci_u32_e64 v107, null, s5, v105, s3
	s_clause 0x1
	flat_load_dwordx4 v[62:65], v[54:55]
	flat_load_dwordx4 v[58:61], v[104:105]
	;; [unrolled: 1-line block ×3, first 2 shown]
	ds_read_b128 v[102:105], v145
	v_add_f64 v[157:158], v[98:99], 0
	v_add_f64 v[161:162], v[100:101], 0
	v_add_f64 v[114:115], v[157:158], v[114:115]
	v_add_f64 v[116:117], v[161:162], v[116:117]
	v_add_f64 v[161:162], v[163:164], v[112:113]
	v_add_f64 v[114:115], v[114:115], v[118:119]
	v_add_f64 v[116:117], v[116:117], v[120:121]
	v_add_f64 v[163:164], v[114:115], v[122:123]
	v_add_f64 v[165:166], v[116:117], v[124:125]
	s_waitcnt vmcnt(3) lgkmcnt(0)
	v_mul_f64 v[108:109], v[68:69], v[104:105]
	v_mul_f64 v[126:127], v[66:67], v[104:105]
	s_waitcnt vmcnt(2)
	v_mul_f64 v[128:129], v[64:65], v[104:105]
	v_mul_f64 v[130:131], v[62:63], v[104:105]
	s_waitcnt vmcnt(1)
	;; [unrolled: 3-line block ×3, first 2 shown]
	v_mul_f64 v[151:152], v[56:57], v[104:105]
	v_mul_f64 v[104:105], v[54:55], v[104:105]
	v_fma_f64 v[86:87], v[66:67], v[102:103], -v[108:109]
	v_fma_f64 v[88:89], v[68:69], v[102:103], v[126:127]
	v_fma_f64 v[90:91], v[62:63], v[102:103], -v[128:129]
	v_fma_f64 v[92:93], v[64:65], v[102:103], v[130:131]
	;; [unrolled: 2-line block ×4, first 2 shown]
	v_add_co_u32 v138, s3, v106, s10
	v_add_co_ci_u32_e64 v139, null, s9, v107, s3
	ds_read_b128 v[106:109], v144 offset:512
	ds_read_b128 v[102:105], v144 offset:528
	;; [unrolled: 1-line block ×4, first 2 shown]
	ds_write_b128 v146, v[86:89]
	ds_write_b128 v146, v[90:93] offset:1072
	ds_write_b128 v146, v[126:129] offset:2144
	;; [unrolled: 1-line block ×3, first 2 shown]
	s_waitcnt lgkmcnt(0)
	s_barrier
	buffer_gl0_inv
	ds_read_b128 v[126:129], v147
	ds_read_b128 v[130:133], v147 offset:16
	ds_read_b128 v[151:154], v147 offset:32
	;; [unrolled: 1-line block ×3, first 2 shown]
	s_waitcnt lgkmcnt(0)
	s_barrier
	buffer_gl0_inv
	flat_load_dwordx4 v[90:93], v[138:139]
	ds_read_b128 v[118:121], v145
	v_add_co_u32 v167, s3, v138, s4
	v_add_co_ci_u32_e64 v168, null, s5, v139, s3
	v_add_co_u32 v171, s3, v167, s4
	flat_load_dwordx4 v[86:89], v[167:168]
	v_add_co_ci_u32_e64 v172, null, s5, v168, s3
	v_add_co_u32 v138, s3, v171, s4
	v_add_co_ci_u32_e64 v139, null, s5, v172, s3
	s_waitcnt vmcnt(1) lgkmcnt(1)
	v_mul_f64 v[110:111], v[92:93], v[120:121]
	v_mul_f64 v[112:113], v[90:91], v[120:121]
	s_waitcnt vmcnt(0) lgkmcnt(0)
	v_mul_f64 v[114:115], v[88:89], v[120:121]
	v_mul_f64 v[116:117], v[86:87], v[120:121]
	v_fma_f64 v[122:123], v[90:91], v[118:119], -v[110:111]
	v_fma_f64 v[124:125], v[92:93], v[118:119], v[112:113]
	flat_load_dwordx4 v[110:113], v[171:172]
	v_fma_f64 v[167:168], v[86:87], v[118:119], -v[114:115]
	v_fma_f64 v[169:170], v[88:89], v[118:119], v[116:117]
	ds_write_b128 v146, v[122:125]
	ds_read_b128 v[122:125], v144 offset:800
	ds_write_b128 v146, v[167:170] offset:1072
	s_waitcnt vmcnt(0) lgkmcnt(3)
	v_mul_f64 v[114:115], v[112:113], v[120:121]
	v_mul_f64 v[116:117], v[110:111], v[120:121]
	v_fma_f64 v[171:172], v[110:111], v[118:119], -v[114:115]
	v_fma_f64 v[173:174], v[112:113], v[118:119], v[116:117]
	flat_load_dwordx4 v[114:117], v[138:139]
	ds_write_b128 v146, v[171:174] offset:2144
	s_waitcnt vmcnt(0) lgkmcnt(1)
	v_mul_f64 v[175:176], v[116:117], v[120:121]
	v_mul_f64 v[120:121], v[114:115], v[120:121]
	v_fma_f64 v[175:176], v[114:115], v[118:119], -v[175:176]
	v_fma_f64 v[177:178], v[116:117], v[118:119], v[120:121]
	v_add_f64 v[118:119], v[126:127], 0
	v_add_f64 v[120:121], v[128:129], 0
	ds_read_b128 v[126:129], v144 offset:784
	ds_write_b128 v146, v[175:178] offset:3216
	v_add_f64 v[118:119], v[118:119], v[130:131]
	v_add_f64 v[120:121], v[120:121], v[132:133]
	ds_read_b128 v[130:133], v144 offset:768
	v_add_f64 v[118:119], v[118:119], v[151:152]
	v_add_f64 v[120:121], v[120:121], v[153:154]
	;; [unrolled: 1-line block ×4, first 2 shown]
	ds_read_b128 v[118:121], v144 offset:816
	s_waitcnt lgkmcnt(0)
	s_barrier
	buffer_gl0_inv
	ds_read_b128 v[155:158], v147
	s_waitcnt lgkmcnt(0)
	v_add_f64 v[167:168], v[155:156], 0
	v_add_f64 v[169:170], v[157:158], 0
	ds_read_b128 v[155:158], v147 offset:16
	s_waitcnt lgkmcnt(0)
	v_add_f64 v[167:168], v[167:168], v[155:156]
	v_add_f64 v[169:170], v[169:170], v[157:158]
	ds_read_b128 v[155:158], v147 offset:32
	;; [unrolled: 4-line block ×3, first 2 shown]
	s_waitcnt lgkmcnt(0)
	s_barrier
	buffer_gl0_inv
	v_add_f64 v[155:156], v[167:168], v[155:156]
	v_add_f64 v[157:158], v[169:170], v[157:158]
	ds_write_b128 v150, v[159:162]
	ds_write_b128 v150, v[163:166] offset:256
	ds_write_b128 v150, v[151:154] offset:512
	;; [unrolled: 1-line block ×3, first 2 shown]
	s_waitcnt lgkmcnt(0)
	s_barrier
	buffer_gl0_inv
	s_and_saveexec_b32 s14, s2
	s_cbranch_execz .LBB194_97
; %bb.101:                              ;   in Loop: Header=BB194_98 Depth=1
	ds_read_b128 v[151:154], v148
	ds_read_b128 v[155:158], v148 offset:16
	v_add_nc_u32_e32 v136, s11, v0
	s_waitcnt lgkmcnt(0)
	v_add_f64 v[159:160], v[155:156], v[151:152]
	v_add_f64 v[161:162], v[157:158], v[153:154]
	ds_read_b128 v[151:154], v148 offset:32
	ds_read_b128 v[155:158], v148 offset:48
	s_waitcnt lgkmcnt(1)
	v_add_f64 v[151:152], v[159:160], v[151:152]
	v_add_f64 v[153:154], v[161:162], v[153:154]
	s_waitcnt lgkmcnt(0)
	v_add_f64 v[159:160], v[151:152], v[155:156]
	v_add_f64 v[161:162], v[153:154], v[157:158]
	ds_read_b128 v[151:154], v148 offset:64
	ds_read_b128 v[155:158], v148 offset:80
	s_waitcnt lgkmcnt(1)
	v_add_f64 v[151:152], v[159:160], v[151:152]
	v_add_f64 v[153:154], v[161:162], v[153:154]
	;; [unrolled: 8-line block ×6, first 2 shown]
	s_waitcnt lgkmcnt(0)
	v_add_f64 v[159:160], v[151:152], v[155:156]
	v_add_f64 v[161:162], v[153:154], v[157:158]
	ds_read_b128 v[151:154], v148 offset:224
	ds_read_b128 v[155:158], v149
	s_waitcnt lgkmcnt(1)
	v_add_f64 v[151:152], v[159:160], v[151:152]
	v_add_f64 v[153:154], v[161:162], v[153:154]
	s_waitcnt lgkmcnt(0)
	v_add_f64 v[151:152], v[151:152], v[155:156]
	v_add_f64 v[153:154], v[153:154], v[157:158]
	v_lshlrev_b64 v[155:156], 4, v[136:137]
	v_add_co_u32 v155, s3, s7, v155
	v_add_co_ci_u32_e64 v156, null, s8, v156, s3
	global_store_dwordx4 v[155:156], v[151:154], off
	s_branch .LBB194_97
.LBB194_102:
	v_mad_u32_u24 v0, 0x430, v1, v140
	s_nor_b32 s0, s0, vcc_lo
	ds_write_b128 v0, v[2:5]
	s_waitcnt lgkmcnt(0)
	s_barrier
	buffer_gl0_inv
	s_and_saveexec_b32 s1, s0
	s_cbranch_execz .LBB194_104
; %bb.103:
	ds_read_b128 v[0:3], v140 offset:1072
	ds_read_b128 v[4:7], v140
	s_waitcnt lgkmcnt(0)
	v_add_f64 v[8:9], v[0:1], v[4:5]
	v_add_f64 v[10:11], v[2:3], v[6:7]
	ds_read_b128 v[0:3], v140 offset:2144
	ds_read_b128 v[4:7], v140 offset:3216
	s_waitcnt lgkmcnt(1)
	v_add_f64 v[0:1], v[8:9], v[0:1]
	v_add_f64 v[2:3], v[10:11], v[2:3]
	s_waitcnt lgkmcnt(0)
	v_add_f64 v[0:1], v[0:1], v[4:5]
	v_add_f64 v[2:3], v[2:3], v[6:7]
	v_lshlrev_b64 v[4:5], 4, v[134:135]
	v_add_co_u32 v4, vcc_lo, s7, v4
	v_add_co_ci_u32_e64 v5, null, s8, v5, vcc_lo
	global_store_dwordx4 v[4:5], v[0:3], off
.LBB194_104:
	s_endpgm
	.section	.rodata,"a",@progbits
	.p2align	6, 0x0
	.amdhsa_kernel _ZL26rocblas_hemvn_kernel_lowerILb0ELi64ELi4ELi33ELi32ELi16El19rocblas_complex_numIdEPKPKS1_PS1_EviT6_lT7_lT5_lS8_lS9_lS7_lT8_i
		.amdhsa_group_segment_fixed_size 19200
		.amdhsa_private_segment_fixed_size 0
		.amdhsa_kernarg_size 392
		.amdhsa_user_sgpr_count 6
		.amdhsa_user_sgpr_private_segment_buffer 1
		.amdhsa_user_sgpr_dispatch_ptr 0
		.amdhsa_user_sgpr_queue_ptr 0
		.amdhsa_user_sgpr_kernarg_segment_ptr 1
		.amdhsa_user_sgpr_dispatch_id 0
		.amdhsa_user_sgpr_flat_scratch_init 0
		.amdhsa_user_sgpr_private_segment_size 0
		.amdhsa_wavefront_size32 1
		.amdhsa_uses_dynamic_stack 0
		.amdhsa_system_sgpr_private_segment_wavefront_offset 0
		.amdhsa_system_sgpr_workgroup_id_x 1
		.amdhsa_system_sgpr_workgroup_id_y 0
		.amdhsa_system_sgpr_workgroup_id_z 1
		.amdhsa_system_sgpr_workgroup_info 0
		.amdhsa_system_vgpr_workitem_id 1
		.amdhsa_next_free_vgpr 179
		.amdhsa_next_free_sgpr 32
		.amdhsa_reserve_vcc 1
		.amdhsa_reserve_flat_scratch 1
		.amdhsa_float_round_mode_32 0
		.amdhsa_float_round_mode_16_64 0
		.amdhsa_float_denorm_mode_32 3
		.amdhsa_float_denorm_mode_16_64 3
		.amdhsa_dx10_clamp 1
		.amdhsa_ieee_mode 1
		.amdhsa_fp16_overflow 0
		.amdhsa_workgroup_processor_mode 1
		.amdhsa_memory_ordered 1
		.amdhsa_forward_progress 1
		.amdhsa_shared_vgpr_count 0
		.amdhsa_exception_fp_ieee_invalid_op 0
		.amdhsa_exception_fp_denorm_src 0
		.amdhsa_exception_fp_ieee_div_zero 0
		.amdhsa_exception_fp_ieee_overflow 0
		.amdhsa_exception_fp_ieee_underflow 0
		.amdhsa_exception_fp_ieee_inexact 0
		.amdhsa_exception_int_div_zero 0
	.end_amdhsa_kernel
	.section	.text._ZL26rocblas_hemvn_kernel_lowerILb0ELi64ELi4ELi33ELi32ELi16El19rocblas_complex_numIdEPKPKS1_PS1_EviT6_lT7_lT5_lS8_lS9_lS7_lT8_i,"axG",@progbits,_ZL26rocblas_hemvn_kernel_lowerILb0ELi64ELi4ELi33ELi32ELi16El19rocblas_complex_numIdEPKPKS1_PS1_EviT6_lT7_lT5_lS8_lS9_lS7_lT8_i,comdat
.Lfunc_end194:
	.size	_ZL26rocblas_hemvn_kernel_lowerILb0ELi64ELi4ELi33ELi32ELi16El19rocblas_complex_numIdEPKPKS1_PS1_EviT6_lT7_lT5_lS8_lS9_lS7_lT8_i, .Lfunc_end194-_ZL26rocblas_hemvn_kernel_lowerILb0ELi64ELi4ELi33ELi32ELi16El19rocblas_complex_numIdEPKPKS1_PS1_EviT6_lT7_lT5_lS8_lS9_lS7_lT8_i
                                        ; -- End function
	.set _ZL26rocblas_hemvn_kernel_lowerILb0ELi64ELi4ELi33ELi32ELi16El19rocblas_complex_numIdEPKPKS1_PS1_EviT6_lT7_lT5_lS8_lS9_lS7_lT8_i.num_vgpr, 179
	.set _ZL26rocblas_hemvn_kernel_lowerILb0ELi64ELi4ELi33ELi32ELi16El19rocblas_complex_numIdEPKPKS1_PS1_EviT6_lT7_lT5_lS8_lS9_lS7_lT8_i.num_agpr, 0
	.set _ZL26rocblas_hemvn_kernel_lowerILb0ELi64ELi4ELi33ELi32ELi16El19rocblas_complex_numIdEPKPKS1_PS1_EviT6_lT7_lT5_lS8_lS9_lS7_lT8_i.numbered_sgpr, 32
	.set _ZL26rocblas_hemvn_kernel_lowerILb0ELi64ELi4ELi33ELi32ELi16El19rocblas_complex_numIdEPKPKS1_PS1_EviT6_lT7_lT5_lS8_lS9_lS7_lT8_i.num_named_barrier, 0
	.set _ZL26rocblas_hemvn_kernel_lowerILb0ELi64ELi4ELi33ELi32ELi16El19rocblas_complex_numIdEPKPKS1_PS1_EviT6_lT7_lT5_lS8_lS9_lS7_lT8_i.private_seg_size, 0
	.set _ZL26rocblas_hemvn_kernel_lowerILb0ELi64ELi4ELi33ELi32ELi16El19rocblas_complex_numIdEPKPKS1_PS1_EviT6_lT7_lT5_lS8_lS9_lS7_lT8_i.uses_vcc, 1
	.set _ZL26rocblas_hemvn_kernel_lowerILb0ELi64ELi4ELi33ELi32ELi16El19rocblas_complex_numIdEPKPKS1_PS1_EviT6_lT7_lT5_lS8_lS9_lS7_lT8_i.uses_flat_scratch, 1
	.set _ZL26rocblas_hemvn_kernel_lowerILb0ELi64ELi4ELi33ELi32ELi16El19rocblas_complex_numIdEPKPKS1_PS1_EviT6_lT7_lT5_lS8_lS9_lS7_lT8_i.has_dyn_sized_stack, 0
	.set _ZL26rocblas_hemvn_kernel_lowerILb0ELi64ELi4ELi33ELi32ELi16El19rocblas_complex_numIdEPKPKS1_PS1_EviT6_lT7_lT5_lS8_lS9_lS7_lT8_i.has_recursion, 0
	.set _ZL26rocblas_hemvn_kernel_lowerILb0ELi64ELi4ELi33ELi32ELi16El19rocblas_complex_numIdEPKPKS1_PS1_EviT6_lT7_lT5_lS8_lS9_lS7_lT8_i.has_indirect_call, 0
	.section	.AMDGPU.csdata,"",@progbits
; Kernel info:
; codeLenInByte = 9796
; TotalNumSgprs: 34
; NumVgprs: 179
; ScratchSize: 0
; MemoryBound: 0
; FloatMode: 240
; IeeeMode: 1
; LDSByteSize: 19200 bytes/workgroup (compile time only)
; SGPRBlocks: 0
; VGPRBlocks: 22
; NumSGPRsForWavesPerEU: 34
; NumVGPRsForWavesPerEU: 179
; Occupancy: 5
; WaveLimiterHint : 0
; COMPUTE_PGM_RSRC2:SCRATCH_EN: 0
; COMPUTE_PGM_RSRC2:USER_SGPR: 6
; COMPUTE_PGM_RSRC2:TRAP_HANDLER: 0
; COMPUTE_PGM_RSRC2:TGID_X_EN: 1
; COMPUTE_PGM_RSRC2:TGID_Y_EN: 0
; COMPUTE_PGM_RSRC2:TGID_Z_EN: 1
; COMPUTE_PGM_RSRC2:TIDIG_COMP_CNT: 1
	.section	.text._ZL26rocblas_hemvn_kernel_lowerILb0ELi64ELi4ELi33ELi32ELi16Ei19rocblas_complex_numIdEPKPKS1_PS1_EviT6_lT7_lT5_lS8_lS9_lS7_lT8_i,"axG",@progbits,_ZL26rocblas_hemvn_kernel_lowerILb0ELi64ELi4ELi33ELi32ELi16Ei19rocblas_complex_numIdEPKPKS1_PS1_EviT6_lT7_lT5_lS8_lS9_lS7_lT8_i,comdat
	.globl	_ZL26rocblas_hemvn_kernel_lowerILb0ELi64ELi4ELi33ELi32ELi16Ei19rocblas_complex_numIdEPKPKS1_PS1_EviT6_lT7_lT5_lS8_lS9_lS7_lT8_i ; -- Begin function _ZL26rocblas_hemvn_kernel_lowerILb0ELi64ELi4ELi33ELi32ELi16Ei19rocblas_complex_numIdEPKPKS1_PS1_EviT6_lT7_lT5_lS8_lS9_lS7_lT8_i
	.p2align	8
	.type	_ZL26rocblas_hemvn_kernel_lowerILb0ELi64ELi4ELi33ELi32ELi16Ei19rocblas_complex_numIdEPKPKS1_PS1_EviT6_lT7_lT5_lS8_lS9_lS7_lT8_i,@function
_ZL26rocblas_hemvn_kernel_lowerILb0ELi64ELi4ELi33ELi32ELi16Ei19rocblas_complex_numIdEPKPKS1_PS1_EviT6_lT7_lT5_lS8_lS9_lS7_lT8_i: ; @_ZL26rocblas_hemvn_kernel_lowerILb0ELi64ELi4ELi33ELi32ELi16Ei19rocblas_complex_numIdEPKPKS1_PS1_EviT6_lT7_lT5_lS8_lS9_lS7_lT8_i
; %bb.0:
	s_load_dwordx2 s[0:1], s[4:5], 0x94
	s_add_u32 s8, s4, 0x88
	s_addc_u32 s9, s5, 0
	s_waitcnt lgkmcnt(0)
	s_lshr_b32 s2, s0, 16
	s_and_b32 s0, s0, 0xffff
	s_and_b32 s1, s1, 0xffff
	s_mul_i32 s0, s2, s0
	s_mul_i32 s0, s0, s1
	s_cmpk_lg_i32 s0, 0x100
	s_cbranch_scc1 .LBB195_104
; %bb.1:
	s_load_dwordx4 s[0:3], s[4:5], 0x8
	v_mov_b32_e32 v2, v1
	s_mov_b32 s12, s7
	s_waitcnt lgkmcnt(0)
	v_cmp_neq_f64_e64 s0, s[0:1], 0
	v_cmp_neq_f64_e64 s1, s[2:3], 0
	s_or_b32 s0, s0, s1
	s_and_b32 vcc_lo, exec_lo, s0
	s_mov_b32 s0, -1
	s_cbranch_vccnz .LBB195_3
; %bb.2:
	s_load_dwordx4 s[0:3], s[4:5], 0x60
	s_waitcnt lgkmcnt(0)
	v_cmp_eq_f64_e64 s0, s[0:1], 1.0
	v_cmp_eq_f64_e64 s1, s[2:3], 0
	s_and_b32 s0, s0, s1
	s_andn2_b32 vcc_lo, exec_lo, s0
	s_mov_b32 s0, 0
.LBB195_3:
	s_andn2_b32 vcc_lo, exec_lo, s0
	s_cbranch_vccnz .LBB195_104
; %bb.4:
	s_clause 0x1
	s_load_dwordx4 s[0:3], s[4:5], 0x20
	s_load_dwordx4 s[16:19], s[4:5], 0x40
	s_mov_b32 s13, 0
	s_load_dword s11, s[4:5], 0x50
	s_lshl_b64 s[14:15], s[12:13], 3
	s_waitcnt lgkmcnt(0)
	s_add_u32 s0, s0, s14
	s_addc_u32 s1, s1, s15
	s_add_u32 s14, s16, s14
	s_addc_u32 s15, s17, s15
	s_lshl_b64 s[16:17], s[18:19], 4
	s_load_dwordx2 s[14:15], s[14:15], 0x0
	s_load_dword s13, s[4:5], 0x0
	s_load_dword s26, s[8:9], 0x0
	s_load_dwordx2 s[8:9], s[0:1], 0x0
	s_waitcnt lgkmcnt(0)
	s_add_u32 s7, s14, s16
	s_addc_u32 s10, s15, s17
	s_lshl_b32 s14, s6, 6
	s_ashr_i32 s27, s13, 31
	v_add_nc_u32_e32 v135, s14, v0
	s_lshr_b32 s0, s27, 26
	s_add_i32 s15, s26, -1
	s_add_i32 s1, s13, s0
	v_cmp_ne_u32_e64 s0, 0, v2
	v_mul_lo_u32 v3, s11, v135
	s_andn2_b32 s1, s1, 63
	s_sub_i32 s16, s13, s1
	v_cmp_eq_u32_e64 s1, 0, v2
	s_cmp_eq_u32 s6, s15
	s_cselect_b32 s16, s16, 0
	v_ashrrev_i32_e32 v4, 31, v3
	v_lshlrev_b64 v[3:4], 4, v[3:4]
	v_add_co_u32 v39, vcc_lo, s7, v3
	v_add_co_ci_u32_e64 v40, null, s10, v4, vcc_lo
	s_mov_b32 s7, -1
	s_and_saveexec_b32 s10, s1
	s_cbranch_execz .LBB195_9
; %bb.5:
	v_cmp_le_i32_e32 vcc_lo, s16, v0
	s_cmp_lg_u32 s16, 0
	v_lshl_add_u32 v1, v0, 4, 0x4700
	s_cselect_b32 s15, -1, 0
	s_and_b32 s15, s15, vcc_lo
	s_and_saveexec_b32 s17, s15
	s_xor_b32 s15, exec_lo, s17
	s_cbranch_execz .LBB195_7
; %bb.6:
	v_mov_b32_e32 v3, 0
	v_mov_b32_e32 v4, v3
	;; [unrolled: 1-line block ×4, first 2 shown]
	ds_write_b128 v1, v[3:6]
                                        ; implicit-def: $vgpr1
.LBB195_7:
	s_andn2_saveexec_b32 s15, s15
	s_cbranch_execz .LBB195_9
; %bb.8:
	flat_load_dwordx4 v[3:6], v[39:40]
	s_waitcnt vmcnt(0) lgkmcnt(0)
	ds_write2_b64 v1, v[3:4], v[5:6] offset1:1
.LBB195_9:
	s_or_b32 exec_lo, exec_lo, s10
	s_load_dword s18, s[4:5], 0x30
	v_lshl_add_u32 v45, v2, 6, v0
	v_and_b32_e32 v1, 31, v0
	s_lshl_b64 s[2:3], s[2:3], 4
	s_add_u32 s8, s8, s2
	v_lshrrev_b32_e32 v11, 5, v45
	s_addc_u32 s9, s9, s3
	s_ashr_i32 s15, s14, 31
	s_lshl_b64 s[2:3], s[14:15], 4
	s_add_u32 s8, s8, s2
	s_addc_u32 s9, s9, s3
	s_waitcnt lgkmcnt(0)
	v_mad_u64_u32 v[3:4], null, s18, v11, v[1:2]
	s_mul_i32 s2, s18, s14
	s_ashr_i32 s3, s2, 31
	s_lshl_b64 s[20:21], s[2:3], 4
	s_cmp_lg_u32 s16, 0
	v_ashrrev_i32_e32 v4, 31, v3
	s_cselect_b32 s15, -1, 0
	s_cmp_eq_u32 s16, 0
	s_cselect_b32 s10, -1, 0
	v_lshlrev_b64 v[41:42], 4, v[3:4]
	v_add_co_u32 v3, vcc_lo, s8, v41
	v_add_co_ci_u32_e64 v4, null, s9, v42, vcc_lo
	v_add_co_u32 v7, vcc_lo, v3, s20
	v_add_co_ci_u32_e64 v8, null, s21, v4, vcc_lo
	s_and_b32 vcc_lo, exec_lo, s15
	s_cbranch_vccnz .LBB195_11
; %bb.10:
	flat_load_dwordx4 v[3:6], v[7:8]
	s_lshl_b32 s2, s18, 3
	v_mul_u32_u24_e32 v9, 0x210, v11
	s_ashr_i32 s3, s2, 31
	s_ashr_i32 s19, s18, 31
	s_lshl_b64 s[2:3], s[2:3], 4
	s_mov_b32 s7, 0
	v_lshl_add_u32 v12, v1, 4, v9
	v_add_co_u32 v9, vcc_lo, v7, s2
	v_add_co_ci_u32_e64 v10, null, s3, v8, vcc_lo
	s_lshl_b64 s[2:3], s[18:19], 7
	v_add_nc_u32_e32 v13, 0x1080, v12
	s_waitcnt vmcnt(0) lgkmcnt(0)
	ds_write2_b64 v12, v[3:4], v[5:6] offset1:1
	flat_load_dwordx4 v[3:6], v[9:10]
	v_add_co_u32 v9, vcc_lo, v9, s2
	v_add_co_ci_u32_e64 v10, null, s3, v10, vcc_lo
	s_waitcnt vmcnt(0) lgkmcnt(0)
	ds_write2_b64 v13, v[3:4], v[5:6] offset1:1
	flat_load_dwordx4 v[3:6], v[9:10]
	v_add_co_u32 v9, vcc_lo, v9, s2
	v_add_nc_u32_e32 v13, 0x2100, v12
	v_add_co_ci_u32_e64 v10, null, s3, v10, vcc_lo
	s_waitcnt vmcnt(0) lgkmcnt(0)
	ds_write2_b64 v13, v[3:4], v[5:6] offset1:1
	flat_load_dwordx4 v[3:6], v[9:10]
	v_add_nc_u32_e32 v9, 0x3180, v12
	s_waitcnt vmcnt(0) lgkmcnt(0)
	ds_write2_b64 v9, v[3:4], v[5:6] offset1:1
.LBB195_11:
	v_lshlrev_b32_e32 v12, 4, v1
	s_andn2_b32 vcc_lo, exec_lo, s7
	s_cbranch_vccnz .LBB195_29
; %bb.12:
	v_sub_co_u32 v3, vcc_lo, v7, v12
	s_ashr_i32 s17, s16, 31
	v_subrev_co_ci_u32_e64 v4, null, 0, v8, vcc_lo
	s_lshl_b64 s[8:9], s[16:17], 4
	v_cmp_le_i32_e64 s2, s16, v11
	v_add_co_u32 v3, vcc_lo, v3, s8
	v_add_co_ci_u32_e64 v4, null, s9, v4, vcc_lo
	v_mad_u32_u24 v5, 0x210, v11, v12
	v_add_co_u32 v3, vcc_lo, v3, -16
	v_add_co_ci_u32_e64 v4, null, -1, v4, vcc_lo
	v_cmp_gt_i32_e32 vcc_lo, s16, v1
	v_cndmask_b32_e32 v4, v4, v8, vcc_lo
	v_cndmask_b32_e32 v3, v3, v7, vcc_lo
	s_and_saveexec_b32 s3, s2
	s_xor_b32 s2, exec_lo, s3
	s_cbranch_execz .LBB195_14
; %bb.13:
	v_mov_b32_e32 v13, 0
	v_mov_b32_e32 v14, v13
	;; [unrolled: 1-line block ×4, first 2 shown]
	ds_write_b128 v5, v[13:16]
                                        ; implicit-def: $vgpr5
.LBB195_14:
	s_andn2_saveexec_b32 s2, s2
	s_cbranch_execz .LBB195_16
; %bb.15:
	flat_load_dwordx4 v[13:16], v[3:4]
	s_waitcnt vmcnt(0) lgkmcnt(0)
	ds_write2_b64 v5, v[13:14], v[15:16] offset1:1
.LBB195_16:
	s_or_b32 exec_lo, exec_lo, s2
	v_add_nc_u32_e32 v6, 8, v11
	v_mul_u32_u24_e32 v5, 0x210, v11
	v_cmp_le_i32_e64 s2, s16, v6
	s_and_saveexec_b32 s3, s2
	s_xor_b32 s2, exec_lo, s3
	s_cbranch_execz .LBB195_18
; %bb.17:
	v_mov_b32_e32 v13, 0
	v_add_nc_u32_e32 v6, v5, v12
	v_mov_b32_e32 v14, v13
	v_mov_b32_e32 v15, v13
	;; [unrolled: 1-line block ×3, first 2 shown]
	ds_write_b128 v6, v[13:16] offset:4224
.LBB195_18:
	s_andn2_saveexec_b32 s3, s2
	s_cbranch_execz .LBB195_20
; %bb.19:
	s_lshl_b32 s22, s18, 3
	v_add3_u32 v6, v5, v12, 0x1080
	s_ashr_i32 s23, s22, 31
	s_lshl_b64 s[22:23], s[22:23], 4
	v_add_co_u32 v9, s2, v3, s22
	v_add_co_ci_u32_e64 v10, null, s23, v4, s2
	flat_load_dwordx4 v[13:16], v[9:10]
	s_waitcnt vmcnt(0) lgkmcnt(0)
	ds_write2_b64 v6, v[13:14], v[15:16] offset1:1
.LBB195_20:
	s_or_b32 exec_lo, exec_lo, s3
	v_add_nc_u32_e32 v6, 16, v11
	v_cmp_le_i32_e64 s2, s16, v6
	s_and_saveexec_b32 s3, s2
	s_xor_b32 s2, exec_lo, s3
	s_cbranch_execz .LBB195_22
; %bb.21:
	v_mov_b32_e32 v13, 0
	v_add_nc_u32_e32 v6, v5, v12
	v_mov_b32_e32 v14, v13
	v_mov_b32_e32 v15, v13
	;; [unrolled: 1-line block ×3, first 2 shown]
	ds_write_b128 v6, v[13:16] offset:8448
.LBB195_22:
	s_andn2_saveexec_b32 s3, s2
	s_cbranch_execz .LBB195_24
; %bb.23:
	s_lshl_b32 s22, s18, 4
	v_add3_u32 v6, v5, v12, 0x2100
	s_ashr_i32 s23, s22, 31
	s_lshl_b64 s[22:23], s[22:23], 4
	v_add_co_u32 v9, s2, v3, s22
	v_add_co_ci_u32_e64 v10, null, s23, v4, s2
	flat_load_dwordx4 v[13:16], v[9:10]
	s_waitcnt vmcnt(0) lgkmcnt(0)
	ds_write2_b64 v6, v[13:14], v[15:16] offset1:1
.LBB195_24:
	s_or_b32 exec_lo, exec_lo, s3
	v_add_nc_u32_e32 v6, 24, v11
	v_cmp_le_i32_e64 s2, s16, v6
	s_and_saveexec_b32 s3, s2
	s_xor_b32 s2, exec_lo, s3
	s_cbranch_execz .LBB195_26
; %bb.25:
	v_mov_b32_e32 v13, 0
	v_add_nc_u32_e32 v5, v5, v12
	v_mov_b32_e32 v14, v13
	v_mov_b32_e32 v15, v13
	;; [unrolled: 1-line block ×3, first 2 shown]
	ds_write_b128 v5, v[13:16] offset:12672
                                        ; implicit-def: $vgpr5
.LBB195_26:
	s_andn2_saveexec_b32 s3, s2
	s_cbranch_execz .LBB195_28
; %bb.27:
	s_mul_i32 s22, s18, 24
	v_add3_u32 v5, v5, v12, 0x3180
	s_ashr_i32 s23, s22, 31
	s_lshl_b64 s[22:23], s[22:23], 4
	v_add_co_u32 v9, s2, v3, s22
	v_add_co_ci_u32_e64 v10, null, s23, v4, s2
	flat_load_dwordx4 v[13:16], v[9:10]
	s_waitcnt vmcnt(0) lgkmcnt(0)
	ds_write2_b64 v5, v[13:14], v[15:16] offset1:1
.LBB195_28:
	s_or_b32 exec_lo, exec_lo, s3
	v_add_co_u32 v3, s2, v3, v12
	v_add_co_ci_u32_e64 v4, null, 0, v4, s2
	v_sub_co_u32 v3, s2, v3, s8
	v_subrev_co_ci_u32_e64 v4, null, s9, v4, s2
	v_add_co_u32 v3, s2, v3, 16
	v_add_co_ci_u32_e64 v4, null, 0, v4, s2
	v_cndmask_b32_e32 v7, v3, v7, vcc_lo
	v_cndmask_b32_e32 v8, v4, v8, vcc_lo
.LBB195_29:
	v_lshlrev_b32_e32 v13, 2, v11
	v_lshl_or_b32 v4, v1, 9, v12
	v_mad_u32_u24 v14, 0x840, v11, v12
	s_waitcnt lgkmcnt(0)
	s_barrier
	v_cmp_lt_u32_e64 s3, v13, v1
	buffer_gl0_inv
	s_and_saveexec_b32 s2, s3
	s_cbranch_execz .LBB195_31
; %bb.30:
	ds_read_b128 v[15:18], v14
	v_lshl_add_u32 v3, v13, 4, v4
	s_waitcnt lgkmcnt(0)
	ds_write_b128 v3, v[15:18]
.LBB195_31:
	s_or_b32 exec_lo, exec_lo, s2
	v_or_b32_e32 v3, 1, v13
	v_cmp_lt_u32_e64 s7, v3, v1
	v_mad_u32_u24 v15, 0x210, v3, v12
	s_and_saveexec_b32 s2, s7
	s_cbranch_execz .LBB195_33
; %bb.32:
	ds_read_b128 v[16:19], v15
	v_lshl_add_u32 v3, v13, 4, v4
	s_waitcnt lgkmcnt(0)
	ds_write_b128 v3, v[16:19] offset:16
.LBB195_33:
	s_or_b32 exec_lo, exec_lo, s2
	v_or_b32_e32 v3, 2, v13
	v_cmp_lt_u32_e64 s8, v3, v1
	s_and_saveexec_b32 s2, s8
	s_cbranch_execz .LBB195_35
; %bb.34:
	v_mad_u32_u24 v3, 0x210, v3, v12
	ds_read_b128 v[16:19], v3
	v_lshl_add_u32 v3, v13, 4, v4
	s_waitcnt lgkmcnt(0)
	ds_write_b128 v3, v[16:19] offset:32
.LBB195_35:
	s_or_b32 exec_lo, exec_lo, s2
	v_or_b32_e32 v5, 3, v13
	s_mov_b32 s2, exec_lo
                                        ; implicit-def: $vgpr3
	v_cmp_lt_u32_e64 s9, v5, v1
	v_cmpx_ge_u32_e64 v5, v1
	s_xor_b32 s2, exec_lo, s2
; %bb.36:
	v_mul_u32_u24_e32 v3, 0x210, v5
                                        ; implicit-def: $vgpr4
                                        ; implicit-def: $vgpr5
; %bb.37:
	s_andn2_saveexec_b32 s2, s2
	s_cbranch_execz .LBB195_39
; %bb.38:
	v_mad_u32_u24 v3, 0x210, v5, v12
	v_lshl_add_u32 v4, v13, 4, v4
	ds_read_b128 v[16:19], v3
	v_mul_u32_u24_e32 v3, 0x210, v5
	s_waitcnt lgkmcnt(0)
	ds_write_b128 v4, v[16:19] offset:48
.LBB195_39:
	s_or_b32 exec_lo, exec_lo, s2
	v_lshlrev_b32_e32 v18, 4, v13
	s_waitcnt lgkmcnt(0)
	s_barrier
	buffer_gl0_inv
	ds_read_b128 v[19:22], v14
	ds_read_b128 v[23:26], v18 offset:18176
	v_add_nc_u32_e32 v16, v12, v3
	ds_read_b128 v[3:6], v15 offset:528
	ds_read_b128 v[27:30], v18 offset:18192
	ds_read_b128 v[31:34], v15
	ds_read_b128 v[35:38], v16
	ds_read_b128 v[46:49], v18 offset:18208
	v_cmp_gt_u32_e64 s2, 32, v45
	s_waitcnt lgkmcnt(5)
	v_mul_f64 v[9:10], v[25:26], v[21:22]
	v_mul_f64 v[21:22], v[23:24], v[21:22]
	s_waitcnt lgkmcnt(2)
	v_mul_f64 v[43:44], v[29:30], v[33:34]
	v_mul_f64 v[33:34], v[27:28], v[33:34]
	v_fma_f64 v[9:10], v[23:24], v[19:20], -v[9:10]
	v_fma_f64 v[23:24], v[25:26], v[19:20], v[21:22]
	ds_read_b128 v[19:22], v18 offset:18224
	s_waitcnt lgkmcnt(1)
	v_mul_f64 v[25:26], v[48:49], v[5:6]
	v_mul_f64 v[5:6], v[46:47], v[5:6]
	v_fma_f64 v[27:28], v[27:28], v[31:32], -v[43:44]
	v_fma_f64 v[29:30], v[29:30], v[31:32], v[33:34]
	s_waitcnt lgkmcnt(0)
	s_barrier
	buffer_gl0_inv
	v_mul_f64 v[31:32], v[21:22], v[37:38]
	v_add_f64 v[9:10], v[9:10], 0
	v_add_f64 v[23:24], v[23:24], 0
	v_mul_f64 v[33:34], v[19:20], v[37:38]
	v_fma_f64 v[25:26], v[46:47], v[3:4], -v[25:26]
	v_fma_f64 v[3:4], v[48:49], v[3:4], v[5:6]
	v_fma_f64 v[19:20], v[19:20], v[35:36], -v[31:32]
	v_add_f64 v[5:6], v[9:10], v[27:28]
	v_add_f64 v[9:10], v[23:24], v[29:30]
	v_fma_f64 v[21:22], v[21:22], v[35:36], v[33:34]
	v_add_f64 v[5:6], v[5:6], v[25:26]
	v_add_f64 v[3:4], v[9:10], v[3:4]
	;; [unrolled: 1-line block ×4, first 2 shown]
	v_mul_u32_u24_e32 v3, 33, v1
	v_mov_b32_e32 v5, 0
	v_mov_b32_e32 v6, 0
	v_lshlrev_b32_e32 v46, 4, v3
	v_mov_b32_e32 v3, 0
	v_mov_b32_e32 v4, 0
	v_lshl_add_u32 v47, v11, 4, v46
	ds_write_b128 v47, v[19:22]
	s_waitcnt lgkmcnt(0)
	s_barrier
	buffer_gl0_inv
	s_and_saveexec_b32 s17, s2
	s_cbranch_execz .LBB195_41
; %bb.40:
	ds_read_b128 v[3:6], v46
	ds_read_b128 v[19:22], v46 offset:16
	s_waitcnt lgkmcnt(0)
	v_add_f64 v[9:10], v[19:20], v[3:4]
	v_add_f64 v[23:24], v[21:22], v[5:6]
	ds_read_b128 v[3:6], v46 offset:32
	ds_read_b128 v[19:22], v46 offset:48
	s_waitcnt lgkmcnt(1)
	v_add_f64 v[3:4], v[9:10], v[3:4]
	v_add_f64 v[5:6], v[23:24], v[5:6]
	s_waitcnt lgkmcnt(0)
	v_add_f64 v[9:10], v[3:4], v[19:20]
	v_add_f64 v[23:24], v[5:6], v[21:22]
	ds_read_b128 v[3:6], v46 offset:64
	ds_read_b128 v[19:22], v46 offset:80
	s_waitcnt lgkmcnt(1)
	v_add_f64 v[3:4], v[9:10], v[3:4]
	v_add_f64 v[5:6], v[23:24], v[5:6]
	;; [unrolled: 8-line block ×3, first 2 shown]
	s_waitcnt lgkmcnt(0)
	v_add_f64 v[3:4], v[3:4], v[19:20]
	v_add_f64 v[5:6], v[5:6], v[21:22]
.LBB195_41:
	s_or_b32 exec_lo, exec_lo, s17
	s_lshl_b32 s22, s18, 5
	v_cndmask_b32_e64 v17, 0, 1, s10
	s_ashr_i32 s23, s22, 31
	s_lshl_b64 s[22:23], s[22:23], 4
	s_barrier
	v_add_co_u32 v9, vcc_lo, v7, s22
	v_add_co_ci_u32_e64 v10, null, s23, v8, vcc_lo
	buffer_gl0_inv
	v_add_co_u32 v7, vcc_lo, 0x200, v9
	v_add_co_ci_u32_e64 v8, null, 0, v10, vcc_lo
	s_andn2_b32 vcc_lo, exec_lo, s10
	s_mov_b32 s10, -1
	s_cbranch_vccnz .LBB195_43
; %bb.42:
	flat_load_dwordx4 v[19:22], v[7:8]
	s_lshl_b32 s24, s18, 3
	v_mad_u32_u24 v25, 0x210, v11, v12
	s_ashr_i32 s25, s24, 31
	s_ashr_i32 s19, s18, 31
	s_lshl_b64 s[24:25], s[24:25], 4
	s_mov_b32 s10, 0
	v_add_co_u32 v23, vcc_lo, v9, s24
	v_add_co_ci_u32_e64 v24, null, s25, v10, vcc_lo
	s_lshl_b64 s[24:25], s[18:19], 7
	v_add_nc_u32_e32 v26, 0x1080, v25
	s_waitcnt vmcnt(0) lgkmcnt(0)
	ds_write2_b64 v25, v[19:20], v[21:22] offset1:1
	flat_load_dwordx4 v[19:22], v[23:24] offset:512
	v_add_co_u32 v23, vcc_lo, v23, s24
	v_add_co_ci_u32_e64 v24, null, s25, v24, vcc_lo
	s_waitcnt vmcnt(0) lgkmcnt(0)
	ds_write2_b64 v26, v[19:20], v[21:22] offset1:1
	flat_load_dwordx4 v[19:22], v[23:24] offset:512
	v_add_co_u32 v23, vcc_lo, v23, s24
	v_add_nc_u32_e32 v26, 0x2100, v25
	v_add_co_ci_u32_e64 v24, null, s25, v24, vcc_lo
	s_waitcnt vmcnt(0) lgkmcnt(0)
	ds_write2_b64 v26, v[19:20], v[21:22] offset1:1
	flat_load_dwordx4 v[19:22], v[23:24] offset:512
	v_add_nc_u32_e32 v23, 0x3180, v25
	s_waitcnt vmcnt(0) lgkmcnt(0)
	ds_write2_b64 v23, v[19:20], v[21:22] offset1:1
.LBB195_43:
	s_andn2_b32 vcc_lo, exec_lo, s10
	s_cbranch_vccnz .LBB195_61
; %bb.44:
	v_sub_co_u32 v9, vcc_lo, v9, v12
	s_ashr_i32 s17, s16, 31
	v_subrev_co_ci_u32_e64 v10, null, 0, v10, vcc_lo
	s_lshl_b64 s[24:25], s[16:17], 4
	v_or_b32_e32 v19, 32, v1
	v_add_co_u32 v9, vcc_lo, v9, s24
	v_add_co_ci_u32_e64 v10, null, s25, v10, vcc_lo
	s_sub_i32 s17, s16, 32
	v_add_co_u32 v9, vcc_lo, v9, -16
	v_add_co_ci_u32_e64 v10, null, -1, v10, vcc_lo
	v_cmp_gt_i32_e32 vcc_lo, s16, v19
	v_cmp_le_i32_e64 s10, s17, v11
	v_mad_u32_u24 v19, 0x210, v11, v12
	v_cndmask_b32_e32 v10, v10, v8, vcc_lo
	v_cndmask_b32_e32 v9, v9, v7, vcc_lo
	s_and_saveexec_b32 s19, s10
	s_xor_b32 s10, exec_lo, s19
	s_cbranch_execz .LBB195_46
; %bb.45:
	v_mov_b32_e32 v20, 0
	v_mov_b32_e32 v21, v20
	;; [unrolled: 1-line block ×4, first 2 shown]
	ds_write_b128 v19, v[20:23]
                                        ; implicit-def: $vgpr19
.LBB195_46:
	s_andn2_saveexec_b32 s10, s10
	s_cbranch_execz .LBB195_48
; %bb.47:
	flat_load_dwordx4 v[20:23], v[9:10]
	s_waitcnt vmcnt(0) lgkmcnt(0)
	ds_write2_b64 v19, v[20:21], v[22:23] offset1:1
.LBB195_48:
	s_or_b32 exec_lo, exec_lo, s10
	v_add_nc_u32_e32 v20, 8, v11
	v_mul_u32_u24_e32 v19, 0x210, v11
	v_cmp_le_i32_e64 s10, s17, v20
	s_and_saveexec_b32 s19, s10
	s_xor_b32 s10, exec_lo, s19
	s_cbranch_execz .LBB195_50
; %bb.49:
	v_mov_b32_e32 v20, 0
	v_add_nc_u32_e32 v24, v19, v12
	v_mov_b32_e32 v21, v20
	v_mov_b32_e32 v22, v20
	;; [unrolled: 1-line block ×3, first 2 shown]
	ds_write_b128 v24, v[20:23] offset:4224
.LBB195_50:
	s_andn2_saveexec_b32 s19, s10
	s_cbranch_execz .LBB195_52
; %bb.51:
	s_lshl_b32 s28, s18, 3
	v_add3_u32 v24, v19, v12, 0x1080
	s_ashr_i32 s29, s28, 31
	s_lshl_b64 s[28:29], s[28:29], 4
	v_add_co_u32 v20, s10, v9, s28
	v_add_co_ci_u32_e64 v21, null, s29, v10, s10
	flat_load_dwordx4 v[20:23], v[20:21]
	s_waitcnt vmcnt(0) lgkmcnt(0)
	ds_write2_b64 v24, v[20:21], v[22:23] offset1:1
.LBB195_52:
	s_or_b32 exec_lo, exec_lo, s19
	v_add_nc_u32_e32 v20, 16, v11
	v_cmp_le_i32_e64 s10, s17, v20
	s_and_saveexec_b32 s19, s10
	s_xor_b32 s10, exec_lo, s19
	s_cbranch_execz .LBB195_54
; %bb.53:
	v_mov_b32_e32 v20, 0
	v_add_nc_u32_e32 v24, v19, v12
	v_mov_b32_e32 v21, v20
	v_mov_b32_e32 v22, v20
	;; [unrolled: 1-line block ×3, first 2 shown]
	ds_write_b128 v24, v[20:23] offset:8448
.LBB195_54:
	s_andn2_saveexec_b32 s19, s10
	s_cbranch_execz .LBB195_56
; %bb.55:
	s_lshl_b32 s28, s18, 4
	v_add3_u32 v24, v19, v12, 0x2100
	s_ashr_i32 s29, s28, 31
	s_lshl_b64 s[28:29], s[28:29], 4
	v_add_co_u32 v20, s10, v9, s28
	v_add_co_ci_u32_e64 v21, null, s29, v10, s10
	flat_load_dwordx4 v[20:23], v[20:21]
	s_waitcnt vmcnt(0) lgkmcnt(0)
	ds_write2_b64 v24, v[20:21], v[22:23] offset1:1
.LBB195_56:
	s_or_b32 exec_lo, exec_lo, s19
	v_add_nc_u32_e32 v20, 24, v11
	v_cmp_le_i32_e64 s10, s17, v20
	s_and_saveexec_b32 s17, s10
	s_xor_b32 s10, exec_lo, s17
	s_cbranch_execz .LBB195_58
; %bb.57:
	v_mov_b32_e32 v20, 0
	v_add_nc_u32_e32 v19, v19, v12
	v_mov_b32_e32 v21, v20
	v_mov_b32_e32 v22, v20
	;; [unrolled: 1-line block ×3, first 2 shown]
	ds_write_b128 v19, v[20:23] offset:12672
                                        ; implicit-def: $vgpr19
.LBB195_58:
	s_andn2_saveexec_b32 s17, s10
	s_cbranch_execz .LBB195_60
; %bb.59:
	s_mul_i32 s28, s18, 24
	v_add3_u32 v19, v19, v12, 0x3180
	s_ashr_i32 s29, s28, 31
	s_lshl_b64 s[28:29], s[28:29], 4
	v_add_co_u32 v20, s10, v9, s28
	v_add_co_ci_u32_e64 v21, null, s29, v10, s10
	flat_load_dwordx4 v[20:23], v[20:21]
	s_waitcnt vmcnt(0) lgkmcnt(0)
	ds_write2_b64 v19, v[20:21], v[22:23] offset1:1
.LBB195_60:
	s_or_b32 exec_lo, exec_lo, s17
	v_add_co_u32 v9, s10, v9, v12
	v_add_co_ci_u32_e64 v10, null, 0, v10, s10
	v_sub_co_u32 v9, s10, v9, s24
	v_subrev_co_ci_u32_e64 v10, null, s25, v10, s10
	v_add_co_u32 v9, s10, 0x210, v9
	v_add_co_ci_u32_e64 v10, null, 0, v10, s10
	v_cndmask_b32_e32 v7, v9, v7, vcc_lo
	v_cndmask_b32_e32 v8, v10, v8, vcc_lo
.LBB195_61:
	v_add_nc_u32_e32 v9, 0x4700, v18
	v_add_nc_u32_e32 v10, 0x210, v15
	s_waitcnt lgkmcnt(0)
	s_barrier
	buffer_gl0_inv
	s_and_saveexec_b32 s10, s3
	s_cbranch_execnz .LBB195_70
; %bb.62:
	s_or_b32 exec_lo, exec_lo, s10
	s_and_saveexec_b32 s3, s7
	s_cbranch_execnz .LBB195_71
.LBB195_63:
	s_or_b32 exec_lo, exec_lo, s3
	s_and_saveexec_b32 s3, s8
	s_cbranch_execnz .LBB195_72
.LBB195_64:
	s_or_b32 exec_lo, exec_lo, s3
	s_and_saveexec_b32 s3, s9
	s_cbranch_execz .LBB195_66
.LBB195_65:
	ds_read_b128 v[18:21], v16
	v_lshl_add_u32 v22, v13, 4, v46
	s_waitcnt lgkmcnt(0)
	ds_write_b128 v22, v[18:21] offset:48
.LBB195_66:
	s_or_b32 exec_lo, exec_lo, s3
	s_waitcnt lgkmcnt(0)
	s_barrier
	buffer_gl0_inv
	ds_read_b128 v[18:21], v14
	ds_read_b128 v[22:25], v9 offset:512
	ds_read_b128 v[26:29], v9 offset:528
	ds_read_b128 v[30:33], v15
	ds_read_b128 v[34:37], v9 offset:544
	ds_read_b128 v[48:51], v10
	v_cmp_eq_u32_e64 s3, 1, v11
	s_waitcnt lgkmcnt(4)
	v_mul_f64 v[14:15], v[24:25], v[20:21]
	v_mul_f64 v[20:21], v[22:23], v[20:21]
	s_waitcnt lgkmcnt(2)
	v_mul_f64 v[43:44], v[28:29], v[32:33]
	v_mul_f64 v[32:33], v[26:27], v[32:33]
	;; [unrolled: 3-line block ×3, first 2 shown]
	v_fma_f64 v[14:15], v[22:23], v[18:19], -v[14:15]
	v_fma_f64 v[52:53], v[24:25], v[18:19], v[20:21]
	v_fma_f64 v[26:27], v[26:27], v[30:31], -v[43:44]
	v_fma_f64 v[28:29], v[28:29], v[30:31], v[32:33]
	ds_read_b128 v[18:21], v9 offset:560
	ds_read_b128 v[22:25], v16
	v_fma_f64 v[34:35], v[34:35], v[48:49], -v[54:55]
	v_fma_f64 v[36:37], v[36:37], v[48:49], v[50:51]
	s_waitcnt lgkmcnt(0)
	s_barrier
	buffer_gl0_inv
	v_add_f64 v[14:15], v[14:15], 0
	v_add_f64 v[30:31], v[52:53], 0
	v_mul_f64 v[32:33], v[20:21], v[24:25]
	v_mul_f64 v[24:25], v[18:19], v[24:25]
	v_add_f64 v[14:15], v[14:15], v[26:27]
	v_add_f64 v[26:27], v[30:31], v[28:29]
	v_fma_f64 v[18:19], v[18:19], v[22:23], -v[32:33]
	v_fma_f64 v[20:21], v[20:21], v[22:23], v[24:25]
	v_add_f64 v[14:15], v[14:15], v[34:35]
	v_add_f64 v[22:23], v[26:27], v[36:37]
	;; [unrolled: 1-line block ×4, first 2 shown]
	ds_write_b128 v47, v[18:21]
	s_waitcnt lgkmcnt(0)
	s_barrier
	buffer_gl0_inv
	s_and_saveexec_b32 s7, s3
	s_cbranch_execz .LBB195_68
; %bb.67:
	ds_read_b128 v[3:6], v46
	ds_read_b128 v[18:21], v46 offset:16
	s_waitcnt lgkmcnt(0)
	v_add_f64 v[14:15], v[18:19], v[3:4]
	v_add_f64 v[22:23], v[20:21], v[5:6]
	ds_read_b128 v[3:6], v46 offset:32
	ds_read_b128 v[18:21], v46 offset:48
	s_waitcnt lgkmcnt(1)
	v_add_f64 v[3:4], v[14:15], v[3:4]
	v_add_f64 v[5:6], v[22:23], v[5:6]
	s_waitcnt lgkmcnt(0)
	v_add_f64 v[14:15], v[3:4], v[18:19]
	v_add_f64 v[22:23], v[5:6], v[20:21]
	ds_read_b128 v[3:6], v46 offset:64
	ds_read_b128 v[18:21], v46 offset:80
	s_waitcnt lgkmcnt(1)
	v_add_f64 v[3:4], v[14:15], v[3:4]
	v_add_f64 v[5:6], v[22:23], v[5:6]
	;; [unrolled: 8-line block ×3, first 2 shown]
	s_waitcnt lgkmcnt(0)
	v_add_f64 v[3:4], v[3:4], v[18:19]
	v_add_f64 v[5:6], v[5:6], v[20:21]
.LBB195_68:
	s_or_b32 exec_lo, exec_lo, s7
	v_cmp_ne_u32_e32 vcc_lo, 1, v17
	v_sub_co_u32 v43, s7, v7, s22
	v_subrev_co_ci_u32_e64 v44, null, s23, v8, s7
	s_barrier
	buffer_gl0_inv
	s_cbranch_vccnz .LBB195_73
; %bb.69:
	flat_load_dwordx4 v[14:17], v[43:44]
	s_lshl_b32 s8, s18, 3
	v_mad_u32_u24 v7, 0x210, v11, v12
	s_ashr_i32 s9, s8, 31
	s_movk_i32 s7, 0x1080
	s_lshl_b64 s[8:9], s[8:9], 4
	v_mad_u32_u24 v8, 0x210, v11, s7
	v_add_co_u32 v18, vcc_lo, v43, s8
	v_add_co_ci_u32_e64 v19, null, s9, v44, vcc_lo
	s_ashr_i32 s19, s18, 31
	s_movk_i32 s7, 0x2100
	s_lshl_b64 s[8:9], s[18:19], 7
	s_waitcnt vmcnt(0) lgkmcnt(0)
	ds_write2_b64 v7, v[14:15], v[16:17] offset1:1
	flat_load_dwordx4 v[14:17], v[18:19]
	v_add_co_u32 v18, vcc_lo, v18, s8
	v_add_nc_u32_e32 v7, v12, v8
	v_add_co_ci_u32_e64 v19, null, s9, v19, vcc_lo
	s_waitcnt vmcnt(0) lgkmcnt(0)
	ds_write2_b64 v7, v[14:15], v[16:17] offset1:1
	flat_load_dwordx4 v[14:17], v[18:19]
	v_mad_u32_u24 v7, 0x210, v11, s7
	v_add_co_u32 v18, vcc_lo, v18, s8
	v_add_co_ci_u32_e64 v19, null, s9, v19, vcc_lo
	v_add_nc_u32_e32 v10, v12, v7
	s_movk_i32 s7, 0x3180
	s_waitcnt vmcnt(0) lgkmcnt(0)
	ds_write2_b64 v10, v[14:15], v[16:17] offset1:1
	flat_load_dwordx4 v[18:21], v[18:19]
	v_mad_u32_u24 v17, 0x210, v11, s7
	v_mul_u32_u24_e32 v15, 0x210, v11
	v_add_nc_u32_e32 v14, 8, v11
	v_add_nc_u32_e32 v10, 16, v11
	;; [unrolled: 1-line block ×4, first 2 shown]
	s_waitcnt vmcnt(0) lgkmcnt(0)
	ds_write2_b64 v22, v[18:19], v[20:21] offset1:1
	s_cbranch_execz .LBB195_74
	s_branch .LBB195_91
.LBB195_70:
	ds_read_b128 v[18:21], v14
	v_lshl_add_u32 v22, v13, 4, v46
	s_waitcnt lgkmcnt(0)
	ds_write_b128 v22, v[18:21]
	s_or_b32 exec_lo, exec_lo, s10
	s_and_saveexec_b32 s3, s7
	s_cbranch_execz .LBB195_63
.LBB195_71:
	ds_read_b128 v[18:21], v15
	v_lshl_add_u32 v22, v13, 4, v46
	s_waitcnt lgkmcnt(0)
	ds_write_b128 v22, v[18:21] offset:16
	s_or_b32 exec_lo, exec_lo, s3
	s_and_saveexec_b32 s3, s8
	s_cbranch_execz .LBB195_64
.LBB195_72:
	ds_read_b128 v[18:21], v10
	v_lshl_add_u32 v22, v13, 4, v46
	s_waitcnt lgkmcnt(0)
	ds_write_b128 v22, v[18:21] offset:32
	s_or_b32 exec_lo, exec_lo, s3
	s_and_saveexec_b32 s3, s9
	s_cbranch_execnz .LBB195_65
	s_branch .LBB195_66
.LBB195_73:
                                        ; implicit-def: $vgpr15
                                        ; implicit-def: $vgpr14
                                        ; implicit-def: $vgpr8
                                        ; implicit-def: $vgpr10
                                        ; implicit-def: $vgpr7
                                        ; implicit-def: $vgpr16
                                        ; implicit-def: $vgpr17
.LBB195_74:
	v_or_b32_e32 v1, 32, v1
	s_ashr_i32 s17, s16, 31
	v_cmp_le_i32_e64 s7, s16, v11
	s_lshl_b64 s[8:9], s[16:17], 4
	v_lshlrev_b32_e32 v7, 4, v1
	v_sub_co_u32 v7, vcc_lo, v43, v7
	v_subrev_co_ci_u32_e64 v8, null, 0, v44, vcc_lo
	v_add_co_u32 v7, vcc_lo, v7, s8
	v_add_co_ci_u32_e64 v8, null, s9, v8, vcc_lo
	v_add_co_u32 v7, vcc_lo, v7, -16
	v_add_co_ci_u32_e64 v8, null, -1, v8, vcc_lo
	v_cmp_gt_i32_e32 vcc_lo, s16, v1
	v_mad_u32_u24 v1, 0x210, v11, v12
	v_cndmask_b32_e32 v8, v8, v44, vcc_lo
	v_cndmask_b32_e32 v7, v7, v43, vcc_lo
	s_and_saveexec_b32 s10, s7
	s_xor_b32 s7, exec_lo, s10
	s_cbranch_execz .LBB195_76
; %bb.75:
	v_mov_b32_e32 v14, 0
	v_mov_b32_e32 v15, v14
	;; [unrolled: 1-line block ×4, first 2 shown]
	ds_write_b128 v1, v[14:17]
                                        ; implicit-def: $vgpr1
.LBB195_76:
	s_andn2_saveexec_b32 s7, s7
	s_cbranch_execz .LBB195_78
; %bb.77:
	flat_load_dwordx4 v[14:17], v[7:8]
	s_waitcnt vmcnt(0) lgkmcnt(0)
	ds_write2_b64 v1, v[14:15], v[16:17] offset1:1
.LBB195_78:
	s_or_b32 exec_lo, exec_lo, s7
	v_add_nc_u32_e32 v14, 8, v11
	v_mul_u32_u24_e32 v15, 0x210, v11
	v_cmp_le_i32_e64 s7, s16, v14
	s_and_saveexec_b32 s10, s7
	s_xor_b32 s7, exec_lo, s10
	s_cbranch_execz .LBB195_80
; %bb.79:
	v_mov_b32_e32 v16, 0
	v_add_nc_u32_e32 v1, v15, v12
	v_mov_b32_e32 v17, v16
	v_mov_b32_e32 v18, v16
	;; [unrolled: 1-line block ×3, first 2 shown]
	ds_write_b128 v1, v[16:19] offset:4224
.LBB195_80:
	s_andn2_saveexec_b32 s10, s7
	s_cbranch_execz .LBB195_82
; %bb.81:
	s_lshl_b32 s22, s18, 3
	v_add3_u32 v1, v15, v12, 0x1080
	s_ashr_i32 s23, s22, 31
	s_lshl_b64 s[22:23], s[22:23], 4
	v_add_co_u32 v16, s7, v7, s22
	v_add_co_ci_u32_e64 v17, null, s23, v8, s7
	flat_load_dwordx4 v[16:19], v[16:17]
	s_waitcnt vmcnt(0) lgkmcnt(0)
	ds_write2_b64 v1, v[16:17], v[18:19] offset1:1
.LBB195_82:
	s_or_b32 exec_lo, exec_lo, s10
	v_add_nc_u32_e32 v10, 16, v11
	v_cmp_le_i32_e64 s7, s16, v10
	s_and_saveexec_b32 s10, s7
	s_xor_b32 s7, exec_lo, s10
	s_cbranch_execz .LBB195_84
; %bb.83:
	v_mov_b32_e32 v16, 0
	v_add_nc_u32_e32 v1, v15, v12
	v_mov_b32_e32 v17, v16
	v_mov_b32_e32 v18, v16
	;; [unrolled: 1-line block ×3, first 2 shown]
	ds_write_b128 v1, v[16:19] offset:8448
.LBB195_84:
	s_andn2_saveexec_b32 s10, s7
	s_cbranch_execz .LBB195_86
; %bb.85:
	s_lshl_b32 s22, s18, 4
	v_add3_u32 v1, v15, v12, 0x2100
	s_ashr_i32 s23, s22, 31
	s_lshl_b64 s[22:23], s[22:23], 4
	v_add_co_u32 v16, s7, v7, s22
	v_add_co_ci_u32_e64 v17, null, s23, v8, s7
	flat_load_dwordx4 v[16:19], v[16:17]
	s_waitcnt vmcnt(0) lgkmcnt(0)
	ds_write2_b64 v1, v[16:17], v[18:19] offset1:1
.LBB195_86:
	s_or_b32 exec_lo, exec_lo, s10
	v_add_nc_u32_e32 v16, 24, v11
                                        ; implicit-def: $vgpr17
	v_cmp_le_i32_e64 s7, s16, v16
	s_and_saveexec_b32 s10, s7
	s_xor_b32 s7, exec_lo, s10
	s_cbranch_execz .LBB195_88
; %bb.87:
	v_add_nc_u32_e32 v17, 0x3180, v15
	v_mov_b32_e32 v18, 0
	v_add_nc_u32_e32 v1, v12, v17
	v_mov_b32_e32 v19, v18
	v_mov_b32_e32 v20, v18
	;; [unrolled: 1-line block ×3, first 2 shown]
	ds_write_b128 v1, v[18:21]
.LBB195_88:
	s_andn2_saveexec_b32 s10, s7
	s_cbranch_execz .LBB195_90
; %bb.89:
	s_mul_i32 s22, s18, 24
	s_ashr_i32 s23, s22, 31
	s_lshl_b64 s[22:23], s[22:23], 4
	v_add_co_u32 v17, s7, v7, s22
	v_add_co_ci_u32_e64 v18, null, s23, v8, s7
	flat_load_dwordx4 v[18:21], v[17:18]
	v_add_nc_u32_e32 v17, 0x3180, v15
	v_add_nc_u32_e32 v1, v12, v17
	s_waitcnt vmcnt(0) lgkmcnt(0)
	ds_write2_b64 v1, v[18:19], v[20:21] offset1:1
.LBB195_90:
	s_or_b32 exec_lo, exec_lo, s10
	v_add_co_u32 v1, s7, v7, v12
	v_add_co_ci_u32_e64 v7, null, 0, v8, s7
	v_add_nc_u32_e32 v8, 0x1080, v15
	v_sub_co_u32 v1, s7, v1, s8
	v_subrev_co_ci_u32_e64 v7, null, s9, v7, s7
	v_add_co_u32 v1, s7, 0x210, v1
	v_add_co_ci_u32_e64 v7, null, 0, v7, s7
	v_cndmask_b32_e32 v43, v1, v43, vcc_lo
	v_cndmask_b32_e32 v44, v7, v44, vcc_lo
	v_add_nc_u32_e32 v7, 0x2100, v15
.LBB195_91:
	v_lshlrev_b32_e32 v1, 4, v11
	v_add_nc_u32_e32 v11, v12, v15
	s_waitcnt lgkmcnt(0)
	s_barrier
	buffer_gl0_inv
	ds_read_b128 v[18:21], v1 offset:18176
	ds_read_b128 v[22:25], v11
	v_lshlrev_b32_e32 v1, 4, v14
	v_add_nc_u32_e32 v8, v12, v8
	v_add_nc_u32_e32 v7, v12, v7
	;; [unrolled: 1-line block ×3, first 2 shown]
	ds_read_b128 v[26:29], v1 offset:18176
	ds_read_b128 v[30:33], v8
	v_lshlrev_b32_e32 v1, 4, v10
	ds_read_b128 v[34:37], v1 offset:18176
	ds_read_b128 v[48:51], v7
	v_lshlrev_b32_e32 v1, 4, v16
	s_waitcnt lgkmcnt(4)
	v_mul_f64 v[14:15], v[20:21], v[24:25]
	v_mul_f64 v[24:25], v[18:19], v[24:25]
	s_waitcnt lgkmcnt(2)
	v_mul_f64 v[7:8], v[28:29], v[32:33]
	v_mul_f64 v[10:11], v[26:27], v[32:33]
	v_fma_f64 v[32:33], v[18:19], v[22:23], -v[14:15]
	v_fma_f64 v[22:23], v[20:21], v[22:23], v[24:25]
	s_waitcnt lgkmcnt(0)
	v_mul_f64 v[24:25], v[36:37], v[50:51]
	v_mul_f64 v[50:51], v[34:35], v[50:51]
	ds_read_b128 v[14:17], v1 offset:18176
	ds_read2_b64 v[18:21], v12 offset1:1
	v_lshl_add_u32 v1, v13, 4, v46
	v_fma_f64 v[7:8], v[26:27], v[30:31], -v[7:8]
	v_fma_f64 v[10:11], v[28:29], v[30:31], v[10:11]
	v_add_f64 v[26:27], v[32:33], 0
	v_add_f64 v[22:23], v[22:23], 0
	s_waitcnt lgkmcnt(0)
	v_mul_f64 v[28:29], v[16:17], v[20:21]
	v_mul_f64 v[20:21], v[14:15], v[20:21]
	v_fma_f64 v[24:25], v[34:35], v[48:49], -v[24:25]
	v_fma_f64 v[30:31], v[36:37], v[48:49], v[50:51]
	v_add_f64 v[7:8], v[26:27], v[7:8]
	v_add_f64 v[10:11], v[22:23], v[10:11]
	v_fma_f64 v[14:15], v[14:15], v[18:19], -v[28:29]
	v_fma_f64 v[16:17], v[16:17], v[18:19], v[20:21]
	v_add_f64 v[7:8], v[7:8], v[24:25]
	v_add_f64 v[10:11], v[10:11], v[30:31]
	ds_read_b128 v[31:34], v9 offset:512
	ds_read_b128 v[23:26], v9 offset:528
	v_add_f64 v[48:49], v[7:8], v[14:15]
	v_add_f64 v[50:51], v[10:11], v[16:17]
	ds_read_b128 v[11:14], v9 offset:544
	ds_read_b128 v[7:10], v9 offset:560
	ds_read_b128 v[35:38], v1
	ds_read_b128 v[27:30], v1 offset:16
	ds_read_b128 v[19:22], v1 offset:32
	;; [unrolled: 1-line block ×3, first 2 shown]
	s_waitcnt lgkmcnt(0)
	s_barrier
	buffer_gl0_inv
	ds_write_b128 v47, v[48:51]
	s_waitcnt lgkmcnt(0)
	s_barrier
	buffer_gl0_inv
	s_and_saveexec_b32 s7, s3
	s_cbranch_execz .LBB195_93
; %bb.92:
	ds_read_b128 v[48:51], v46
	ds_read_b128 v[52:55], v46 offset:16
	s_waitcnt lgkmcnt(1)
	v_add_f64 v[3:4], v[3:4], v[48:49]
	v_add_f64 v[5:6], v[5:6], v[50:51]
	s_waitcnt lgkmcnt(0)
	v_add_f64 v[52:53], v[3:4], v[52:53]
	v_add_f64 v[54:55], v[5:6], v[54:55]
	ds_read_b128 v[3:6], v46 offset:32
	ds_read_b128 v[48:51], v46 offset:48
	s_waitcnt lgkmcnt(1)
	v_add_f64 v[3:4], v[52:53], v[3:4]
	v_add_f64 v[5:6], v[54:55], v[5:6]
	s_waitcnt lgkmcnt(0)
	v_add_f64 v[52:53], v[3:4], v[48:49]
	v_add_f64 v[54:55], v[5:6], v[50:51]
	ds_read_b128 v[3:6], v46 offset:64
	;; [unrolled: 8-line block ×3, first 2 shown]
	ds_read_b128 v[48:51], v46 offset:112
	s_waitcnt lgkmcnt(1)
	v_add_f64 v[3:4], v[52:53], v[3:4]
	v_add_f64 v[5:6], v[54:55], v[5:6]
	s_waitcnt lgkmcnt(0)
	v_add_f64 v[3:4], v[3:4], v[48:49]
	v_add_f64 v[5:6], v[5:6], v[50:51]
.LBB195_93:
	s_or_b32 exec_lo, exec_lo, s7
	v_mul_f64 v[48:49], v[37:38], v[33:34]
	v_mul_f64 v[33:34], v[35:36], v[33:34]
	;; [unrolled: 1-line block ×4, first 2 shown]
	s_barrier
	buffer_gl0_inv
	v_fma_f64 v[35:36], v[35:36], v[31:32], -v[48:49]
	v_fma_f64 v[31:32], v[37:38], v[31:32], v[33:34]
	v_mul_f64 v[33:34], v[21:22], v[13:14]
	v_mul_f64 v[13:14], v[19:20], v[13:14]
	v_fma_f64 v[27:28], v[27:28], v[23:24], -v[50:51]
	v_fma_f64 v[23:24], v[29:30], v[23:24], v[25:26]
	v_add_f64 v[25:26], v[35:36], 0
	v_add_f64 v[29:30], v[31:32], 0
	v_mul_f64 v[31:32], v[17:18], v[9:10]
	v_mul_f64 v[9:10], v[15:16], v[9:10]
	v_fma_f64 v[19:20], v[19:20], v[11:12], -v[33:34]
	v_fma_f64 v[11:12], v[21:22], v[11:12], v[13:14]
	v_add_f64 v[13:14], v[25:26], v[27:28]
	v_add_f64 v[21:22], v[29:30], v[23:24]
	v_fma_f64 v[15:16], v[15:16], v[7:8], -v[31:32]
	v_fma_f64 v[9:10], v[17:18], v[7:8], v[9:10]
	v_add_f64 v[7:8], v[13:14], v[19:20]
	v_add_f64 v[11:12], v[21:22], v[11:12]
	;; [unrolled: 1-line block ×4, first 2 shown]
	ds_write_b128 v47, v[7:10]
	s_waitcnt lgkmcnt(0)
	s_barrier
	buffer_gl0_inv
	s_and_saveexec_b32 s3, s2
	s_cbranch_execz .LBB195_95
; %bb.94:
	ds_read_b128 v[7:10], v46
	ds_read_b128 v[11:14], v46 offset:16
	s_waitcnt lgkmcnt(1)
	v_add_f64 v[3:4], v[3:4], v[7:8]
	v_add_f64 v[5:6], v[5:6], v[9:10]
	s_waitcnt lgkmcnt(0)
	v_add_f64 v[11:12], v[3:4], v[11:12]
	v_add_f64 v[13:14], v[5:6], v[13:14]
	ds_read_b128 v[3:6], v46 offset:32
	ds_read_b128 v[7:10], v46 offset:48
	s_waitcnt lgkmcnt(1)
	v_add_f64 v[3:4], v[11:12], v[3:4]
	v_add_f64 v[5:6], v[13:14], v[5:6]
	s_waitcnt lgkmcnt(0)
	v_add_f64 v[11:12], v[3:4], v[7:8]
	v_add_f64 v[13:14], v[5:6], v[9:10]
	ds_read_b128 v[3:6], v46 offset:64
	;; [unrolled: 8-line block ×3, first 2 shown]
	ds_read_b128 v[7:10], v46 offset:112
	s_waitcnt lgkmcnt(1)
	v_add_f64 v[3:4], v[11:12], v[3:4]
	v_add_f64 v[5:6], v[13:14], v[5:6]
	s_waitcnt lgkmcnt(0)
	v_add_f64 v[3:4], v[3:4], v[7:8]
	v_add_f64 v[5:6], v[5:6], v[9:10]
.LBB195_95:
	s_or_b32 exec_lo, exec_lo, s3
	s_load_dwordx2 s[2:3], s[4:5], 0x78
	s_mul_hi_u32 s4, s13, s12
	s_mul_i32 s27, s27, s12
	s_mul_i32 s5, s13, s12
	s_add_i32 s4, s4, s27
	s_mul_hi_u32 s7, s5, s26
	s_mul_i32 s8, s4, s26
	s_mul_i32 s4, s5, s26
	s_add_i32 s5, s7, s8
	s_mul_i32 s8, s13, s6
	s_lshl_b64 s[4:5], s[4:5], 4
	v_cmp_le_i32_e32 vcc_lo, s16, v0
	v_lshlrev_b32_e32 v138, 4, v0
	s_waitcnt lgkmcnt(0)
	s_barrier
	buffer_gl0_inv
	s_add_u32 s4, s2, s4
	s_addc_u32 s5, s3, s5
	s_ashr_i32 s9, s8, 31
	s_lshl_b64 s[2:3], s[8:9], 4
	s_add_u32 s7, s4, s2
	s_addc_u32 s10, s5, s3
	s_and_b32 vcc_lo, s15, vcc_lo
	s_cmp_lt_i32 s6, 1
	s_cbranch_scc1 .LBB195_102
; %bb.96:
	v_mul_lo_u32 v1, v2, s18
	v_sub_co_u32 v11, s2, v43, s20
	v_subrev_co_ci_u32_e64 v12, null, s21, v44, s2
	s_ashr_i32 s17, s16, 31
	v_add_co_u32 v11, s2, 0xfffffe00, v11
	v_lshl_add_u32 v7, v1, 2, v0
	v_add_co_ci_u32_e64 v12, null, -1, v12, s2
	v_sub_co_u32 v11, s2, v11, v41
	v_ashrrev_i32_e32 v8, 31, v7
	v_sub_co_ci_u32_e64 v12, null, v12, v42, s2
	v_lshrrev_b32_e32 v9, 4, v45
	v_and_b32_e32 v10, 15, v0
	v_lshlrev_b64 v[7:8], 4, v[7:8]
	s_mul_i32 s4, s11, s14
	v_mov_b32_e32 v1, 0
	s_ashr_i32 s5, s4, 31
	v_add_nc_u32_e32 v141, 0x4300, v138
	s_lshl_b64 s[4:5], s[4:5], 4
	v_add_co_u32 v7, s2, v11, v7
	v_add_co_ci_u32_e64 v8, null, v12, v8, s2
	v_lshl_add_u32 v142, v2, 6, 0x4300
	v_sub_co_u32 v11, s2, v7, v138
	v_subrev_co_ci_u32_e64 v12, null, 0, v8, s2
	s_lshl_b64 s[2:3], s[16:17], 4
	v_add_nc_u32_e32 v143, 0x4700, v138
	v_add_co_u32 v11, s2, v11, s2
	v_add_co_ci_u32_e64 v12, null, s3, v12, s2
	v_mad_u32_u24 v144, 0x10c0, v2, v138
	v_add_co_u32 v11, s2, v11, -16
	v_add_co_ci_u32_e64 v12, null, -1, v12, s2
	v_sub_co_u32 v139, s2, v39, s4
	v_cndmask_b32_e32 v7, v7, v11, vcc_lo
	v_cndmask_b32_e32 v8, v8, v12, vcc_lo
	v_and_b32_e32 v11, 48, v0
	v_lshlrev_b32_e32 v12, 6, v9
	v_mul_i32_i24_e32 v9, 0xffffffd0, v9
	v_subrev_co_ci_u32_e64 v140, null, s5, v40, s2
	v_lshlrev_b32_e32 v11, 4, v11
	v_mad_u32_u24 v145, 0x430, v10, v12
	v_or_b32_e32 v12, 0xf0, v138
	v_cmp_gt_u32_e64 s2, 64, v45
	s_ashr_i32 s19, s18, 31
	v_mad_u32_u24 v146, 0x430, v10, v11
	v_add_nc_u32_e32 v148, v145, v9
	v_mad_u32_u24 v147, 0x430, v10, v12
	s_lshl_b32 s11, s11, 6
	s_lshl_b64 s[4:5], s[18:19], 4
	s_mul_hi_i32 s12, s18, 0xd0
	s_mul_i32 s13, s18, 0xd0
	s_mov_b32 s8, 0
	s_branch .LBB195_98
.LBB195_97:                             ;   in Loop: Header=BB195_98 Depth=1
	s_or_b32 exec_lo, exec_lo, s9
	v_mul_f64 v[149:150], v[17:18], v[25:26]
	v_mul_f64 v[25:26], v[15:16], v[25:26]
	;; [unrolled: 1-line block ×4, first 2 shown]
	v_add_nc_u32_e32 v0, 64, v0
	s_add_i32 s6, s6, -1
	s_add_i32 s8, s8, s11
	s_cmp_eq_u32 s6, 0
	s_waitcnt_vscnt null, 0x0
	s_barrier
	buffer_gl0_inv
	v_fma_f64 v[15:16], v[15:16], v[23:24], -v[149:150]
	v_fma_f64 v[17:18], v[17:18], v[23:24], v[25:26]
	v_mul_f64 v[23:24], v[13:14], v[33:34]
	v_mul_f64 v[25:26], v[11:12], v[33:34]
	v_fma_f64 v[19:20], v[19:20], v[27:28], -v[151:152]
	v_fma_f64 v[21:22], v[21:22], v[27:28], v[29:30]
	v_add_f64 v[3:4], v[3:4], v[15:16]
	v_add_f64 v[5:6], v[5:6], v[17:18]
	v_mul_f64 v[15:16], v[9:10], v[49:50]
	v_mul_f64 v[17:18], v[7:8], v[49:50]
	v_fma_f64 v[11:12], v[11:12], v[31:32], -v[23:24]
	v_fma_f64 v[13:14], v[13:14], v[31:32], v[25:26]
	v_add_f64 v[3:4], v[3:4], v[19:20]
	v_add_f64 v[5:6], v[5:6], v[21:22]
	v_mul_f64 v[19:20], v[53:54], v[85:86]
	v_mul_f64 v[21:22], v[51:52], v[85:86]
	v_fma_f64 v[7:8], v[7:8], v[47:48], -v[15:16]
	v_fma_f64 v[9:10], v[9:10], v[47:48], v[17:18]
	v_add_f64 v[3:4], v[3:4], v[11:12]
	v_add_f64 v[5:6], v[5:6], v[13:14]
	v_mul_f64 v[11:12], v[45:46], v[81:82]
	v_mul_f64 v[13:14], v[43:44], v[81:82]
	v_fma_f64 v[15:16], v[51:52], v[83:84], -v[19:20]
	v_fma_f64 v[17:18], v[53:54], v[83:84], v[21:22]
	v_add_f64 v[3:4], v[3:4], v[7:8]
	v_add_f64 v[5:6], v[5:6], v[9:10]
	v_mul_f64 v[7:8], v[41:42], v[77:78]
	v_mul_f64 v[9:10], v[39:40], v[77:78]
	v_fma_f64 v[11:12], v[43:44], v[79:80], -v[11:12]
	v_fma_f64 v[13:14], v[45:46], v[79:80], v[13:14]
	v_add_f64 v[3:4], v[3:4], v[15:16]
	v_add_f64 v[5:6], v[5:6], v[17:18]
	v_mul_f64 v[15:16], v[37:38], v[73:74]
	v_mul_f64 v[17:18], v[35:36], v[73:74]
	v_fma_f64 v[7:8], v[39:40], v[75:76], -v[7:8]
	v_fma_f64 v[9:10], v[41:42], v[75:76], v[9:10]
	v_add_f64 v[3:4], v[3:4], v[11:12]
	v_add_f64 v[5:6], v[5:6], v[13:14]
	v_mul_f64 v[11:12], v[69:70], v[109:110]
	v_mul_f64 v[13:14], v[67:68], v[109:110]
	v_fma_f64 v[15:16], v[35:36], v[71:72], -v[15:16]
	v_fma_f64 v[17:18], v[37:38], v[71:72], v[17:18]
	v_add_f64 v[3:4], v[3:4], v[7:8]
	v_add_f64 v[5:6], v[5:6], v[9:10]
	v_mul_f64 v[7:8], v[65:66], v[105:106]
	v_mul_f64 v[9:10], v[63:64], v[105:106]
	v_fma_f64 v[11:12], v[67:68], v[107:108], -v[11:12]
	v_fma_f64 v[13:14], v[69:70], v[107:108], v[13:14]
	v_add_f64 v[3:4], v[3:4], v[15:16]
	v_add_f64 v[5:6], v[5:6], v[17:18]
	v_mul_f64 v[15:16], v[61:62], v[101:102]
	v_mul_f64 v[17:18], v[59:60], v[101:102]
	v_fma_f64 v[7:8], v[63:64], v[103:104], -v[7:8]
	v_fma_f64 v[9:10], v[65:66], v[103:104], v[9:10]
	v_add_f64 v[3:4], v[3:4], v[11:12]
	v_add_f64 v[5:6], v[5:6], v[13:14]
	v_mul_f64 v[11:12], v[57:58], v[97:98]
	v_mul_f64 v[13:14], v[55:56], v[97:98]
	v_fma_f64 v[15:16], v[59:60], v[99:100], -v[15:16]
	v_fma_f64 v[17:18], v[61:62], v[99:100], v[17:18]
	v_add_f64 v[3:4], v[3:4], v[7:8]
	v_add_f64 v[5:6], v[5:6], v[9:10]
	v_mul_f64 v[7:8], v[93:94], v[133:134]
	v_mul_f64 v[9:10], v[91:92], v[133:134]
	v_fma_f64 v[11:12], v[55:56], v[95:96], -v[11:12]
	v_fma_f64 v[13:14], v[57:58], v[95:96], v[13:14]
	v_add_f64 v[3:4], v[3:4], v[15:16]
	v_add_f64 v[5:6], v[5:6], v[17:18]
	v_mul_f64 v[15:16], v[89:90], v[129:130]
	v_mul_f64 v[17:18], v[87:88], v[129:130]
	v_fma_f64 v[7:8], v[91:92], v[131:132], -v[7:8]
	v_fma_f64 v[9:10], v[93:94], v[131:132], v[9:10]
	v_add_f64 v[3:4], v[3:4], v[11:12]
	v_add_f64 v[5:6], v[5:6], v[13:14]
	v_mul_f64 v[11:12], v[113:114], v[125:126]
	v_mul_f64 v[13:14], v[111:112], v[125:126]
	v_fma_f64 v[15:16], v[87:88], v[127:128], -v[15:16]
	v_fma_f64 v[17:18], v[89:90], v[127:128], v[17:18]
	v_add_f64 v[3:4], v[3:4], v[7:8]
	v_add_f64 v[5:6], v[5:6], v[9:10]
	v_mul_f64 v[7:8], v[117:118], v[121:122]
	v_mul_f64 v[9:10], v[115:116], v[121:122]
	v_fma_f64 v[11:12], v[111:112], v[123:124], -v[11:12]
	v_fma_f64 v[13:14], v[113:114], v[123:124], v[13:14]
	v_add_f64 v[3:4], v[3:4], v[15:16]
	v_add_f64 v[5:6], v[5:6], v[17:18]
	v_fma_f64 v[7:8], v[115:116], v[119:120], -v[7:8]
	v_fma_f64 v[9:10], v[117:118], v[119:120], v[9:10]
	v_add_f64 v[3:4], v[3:4], v[11:12]
	v_add_f64 v[5:6], v[5:6], v[13:14]
	;; [unrolled: 1-line block ×4, first 2 shown]
	v_add_co_u32 v7, s3, v136, s13
	v_add_co_ci_u32_e64 v8, null, s12, v137, s3
	s_cbranch_scc1 .LBB195_102
.LBB195_98:                             ; =>This Inner Loop Header: Depth=1
	s_and_saveexec_b32 s14, s1
	s_cbranch_execz .LBB195_100
; %bb.99:                               ;   in Loop: Header=BB195_98 Depth=1
	s_ashr_i32 s9, s8, 31
	s_lshl_b64 s[16:17], s[8:9], 4
	v_add_co_u32 v9, s3, v139, s16
	v_add_co_ci_u32_e64 v10, null, s17, v140, s3
	flat_load_dwordx4 v[9:12], v[9:10]
	s_waitcnt vmcnt(0) lgkmcnt(0)
	ds_write2_b64 v141, v[9:10], v[11:12] offset1:1
.LBB195_100:                            ;   in Loop: Header=BB195_98 Depth=1
	s_or_b32 exec_lo, exec_lo, s14
	v_add_co_u32 v9, s3, v7, s4
	v_add_co_ci_u32_e64 v10, null, s5, v8, s3
	s_waitcnt lgkmcnt(0)
	v_add_co_u32 v11, s3, v9, s4
	v_add_co_ci_u32_e64 v12, null, s5, v10, s3
	s_barrier
	v_add_co_u32 v30, s3, v11, s4
	buffer_gl0_inv
	flat_load_dwordx4 v[15:18], v[7:8]
	v_add_co_ci_u32_e64 v31, null, s5, v12, s3
	s_clause 0x2
	flat_load_dwordx4 v[19:22], v[9:10]
	flat_load_dwordx4 v[11:14], v[11:12]
	;; [unrolled: 1-line block ×3, first 2 shown]
	ds_read_b128 v[23:26], v143
	v_add_co_u32 v55, s3, v30, s13
	v_add_co_ci_u32_e64 v56, null, s12, v31, s3
	v_add_co_u32 v57, s3, v55, s4
	v_add_co_ci_u32_e64 v58, null, s5, v56, s3
	;; [unrolled: 2-line block ×5, first 2 shown]
	s_waitcnt vmcnt(3) lgkmcnt(0)
	v_mul_f64 v[27:28], v[17:18], v[25:26]
	v_mul_f64 v[32:33], v[15:16], v[25:26]
	s_waitcnt vmcnt(2)
	v_mul_f64 v[39:40], v[21:22], v[25:26]
	v_mul_f64 v[41:42], v[19:20], v[25:26]
	s_waitcnt vmcnt(1)
	v_mul_f64 v[43:44], v[13:14], v[25:26]
	v_mul_f64 v[45:46], v[11:12], v[25:26]
	s_waitcnt vmcnt(0)
	v_mul_f64 v[47:48], v[9:10], v[25:26]
	v_mul_f64 v[25:26], v[7:8], v[25:26]
	v_fma_f64 v[35:36], v[15:16], v[23:24], -v[27:28]
	v_fma_f64 v[37:38], v[17:18], v[23:24], v[32:33]
	v_fma_f64 v[39:40], v[19:20], v[23:24], -v[39:40]
	v_fma_f64 v[41:42], v[21:22], v[23:24], v[41:42]
	;; [unrolled: 2-line block ×4, first 2 shown]
	ds_read_b128 v[23:26], v142
	ds_read_b128 v[27:30], v142 offset:16
	ds_read_b128 v[31:34], v142 offset:32
	;; [unrolled: 1-line block ×3, first 2 shown]
	ds_write_b128 v144, v[35:38]
	ds_write_b128 v144, v[39:42] offset:1072
	ds_write_b128 v144, v[43:46] offset:2144
	;; [unrolled: 1-line block ×3, first 2 shown]
	s_waitcnt lgkmcnt(0)
	s_barrier
	buffer_gl0_inv
	ds_read_b128 v[87:90], v145
	ds_read_b128 v[91:94], v145 offset:16
	ds_read_b128 v[95:98], v145 offset:32
	;; [unrolled: 1-line block ×3, first 2 shown]
	s_waitcnt lgkmcnt(0)
	s_barrier
	buffer_gl0_inv
	s_clause 0x3
	flat_load_dwordx4 v[51:54], v[55:56]
	flat_load_dwordx4 v[43:46], v[57:58]
	;; [unrolled: 1-line block ×4, first 2 shown]
	ds_read_b128 v[55:58], v143
	v_add_f64 v[87:88], v[87:88], 0
	v_add_f64 v[89:90], v[89:90], 0
	;; [unrolled: 1-line block ×7, first 2 shown]
	s_waitcnt vmcnt(2) lgkmcnt(0)
	v_mul_f64 v[63:64], v[45:46], v[57:58]
	v_mul_f64 v[59:60], v[53:54], v[57:58]
	;; [unrolled: 1-line block ×4, first 2 shown]
	s_waitcnt vmcnt(1)
	v_mul_f64 v[70:71], v[41:42], v[57:58]
	v_mul_f64 v[72:73], v[39:40], v[57:58]
	s_waitcnt vmcnt(0)
	v_mul_f64 v[74:75], v[37:38], v[57:58]
	v_mul_f64 v[76:77], v[35:36], v[57:58]
	v_fma_f64 v[57:58], v[51:52], v[55:56], -v[59:60]
	v_fma_f64 v[59:60], v[53:54], v[55:56], v[61:62]
	v_fma_f64 v[61:62], v[43:44], v[55:56], -v[63:64]
	v_fma_f64 v[63:64], v[45:46], v[55:56], v[65:66]
	;; [unrolled: 2-line block ×4, first 2 shown]
	v_add_co_u32 v55, s3, v103, s4
	v_add_co_ci_u32_e64 v56, null, s5, v104, s3
	ds_read_b128 v[83:86], v142 offset:256
	ds_read_b128 v[79:82], v142 offset:272
	;; [unrolled: 1-line block ×4, first 2 shown]
	v_add_co_u32 v105, s3, v55, s4
	v_add_co_ci_u32_e64 v106, null, s5, v56, s3
	ds_write_b128 v144, v[57:60]
	ds_write_b128 v144, v[61:64] offset:1072
	ds_write_b128 v144, v[65:68] offset:2144
	;; [unrolled: 1-line block ×3, first 2 shown]
	v_add_co_u32 v107, s3, v105, s4
	s_waitcnt lgkmcnt(0)
	s_barrier
	buffer_gl0_inv
	ds_read_b128 v[99:102], v145
	ds_read_b128 v[115:118], v145 offset:16
	ds_read_b128 v[119:122], v145 offset:32
	ds_read_b128 v[123:126], v145 offset:48
	s_waitcnt lgkmcnt(0)
	s_barrier
	buffer_gl0_inv
	flat_load_dwordx4 v[67:70], v[103:104]
	v_add_co_ci_u32_e64 v108, null, s5, v106, s3
	s_clause 0x1
	flat_load_dwordx4 v[63:66], v[55:56]
	flat_load_dwordx4 v[59:62], v[105:106]
	;; [unrolled: 1-line block ×3, first 2 shown]
	ds_read_b128 v[103:106], v143
	v_add_f64 v[155:156], v[99:100], 0
	v_add_f64 v[159:160], v[101:102], 0
	;; [unrolled: 1-line block ×9, first 2 shown]
	s_waitcnt vmcnt(3) lgkmcnt(0)
	v_mul_f64 v[109:110], v[69:70], v[105:106]
	v_mul_f64 v[127:128], v[67:68], v[105:106]
	s_waitcnt vmcnt(2)
	v_mul_f64 v[129:130], v[65:66], v[105:106]
	v_mul_f64 v[131:132], v[63:64], v[105:106]
	s_waitcnt vmcnt(1)
	;; [unrolled: 3-line block ×3, first 2 shown]
	v_mul_f64 v[149:150], v[57:58], v[105:106]
	v_mul_f64 v[105:106], v[55:56], v[105:106]
	v_fma_f64 v[87:88], v[67:68], v[103:104], -v[109:110]
	v_fma_f64 v[89:90], v[69:70], v[103:104], v[127:128]
	v_fma_f64 v[91:92], v[63:64], v[103:104], -v[129:130]
	v_fma_f64 v[93:94], v[65:66], v[103:104], v[131:132]
	;; [unrolled: 2-line block ×4, first 2 shown]
	v_add_co_u32 v136, s3, v107, s13
	v_add_co_ci_u32_e64 v137, null, s12, v108, s3
	ds_read_b128 v[107:110], v142 offset:512
	ds_read_b128 v[103:106], v142 offset:528
	;; [unrolled: 1-line block ×4, first 2 shown]
	ds_write_b128 v144, v[87:90]
	ds_write_b128 v144, v[91:94] offset:1072
	ds_write_b128 v144, v[127:130] offset:2144
	;; [unrolled: 1-line block ×3, first 2 shown]
	s_waitcnt lgkmcnt(0)
	s_barrier
	buffer_gl0_inv
	ds_read_b128 v[127:130], v145
	ds_read_b128 v[131:134], v145 offset:16
	ds_read_b128 v[149:152], v145 offset:32
	;; [unrolled: 1-line block ×3, first 2 shown]
	s_waitcnt lgkmcnt(0)
	s_barrier
	buffer_gl0_inv
	flat_load_dwordx4 v[91:94], v[136:137]
	ds_read_b128 v[119:122], v143
	v_add_co_u32 v165, s3, v136, s4
	v_add_co_ci_u32_e64 v166, null, s5, v137, s3
	v_add_co_u32 v169, s3, v165, s4
	flat_load_dwordx4 v[87:90], v[165:166]
	v_add_co_ci_u32_e64 v170, null, s5, v166, s3
	v_add_co_u32 v136, s3, v169, s4
	v_add_co_ci_u32_e64 v137, null, s5, v170, s3
	s_waitcnt vmcnt(1) lgkmcnt(1)
	v_mul_f64 v[111:112], v[93:94], v[121:122]
	v_mul_f64 v[113:114], v[91:92], v[121:122]
	s_waitcnt vmcnt(0) lgkmcnt(0)
	v_mul_f64 v[115:116], v[89:90], v[121:122]
	v_mul_f64 v[117:118], v[87:88], v[121:122]
	v_fma_f64 v[123:124], v[91:92], v[119:120], -v[111:112]
	v_fma_f64 v[125:126], v[93:94], v[119:120], v[113:114]
	flat_load_dwordx4 v[111:114], v[169:170]
	v_fma_f64 v[165:166], v[87:88], v[119:120], -v[115:116]
	v_fma_f64 v[167:168], v[89:90], v[119:120], v[117:118]
	ds_write_b128 v144, v[123:126]
	ds_read_b128 v[123:126], v142 offset:800
	ds_write_b128 v144, v[165:168] offset:1072
	s_waitcnt vmcnt(0) lgkmcnt(3)
	v_mul_f64 v[115:116], v[113:114], v[121:122]
	v_mul_f64 v[117:118], v[111:112], v[121:122]
	v_fma_f64 v[169:170], v[111:112], v[119:120], -v[115:116]
	v_fma_f64 v[171:172], v[113:114], v[119:120], v[117:118]
	flat_load_dwordx4 v[115:118], v[136:137]
	ds_write_b128 v144, v[169:172] offset:2144
	s_waitcnt vmcnt(0) lgkmcnt(1)
	v_mul_f64 v[173:174], v[117:118], v[121:122]
	v_mul_f64 v[121:122], v[115:116], v[121:122]
	v_fma_f64 v[173:174], v[115:116], v[119:120], -v[173:174]
	v_fma_f64 v[175:176], v[117:118], v[119:120], v[121:122]
	v_add_f64 v[119:120], v[127:128], 0
	v_add_f64 v[121:122], v[129:130], 0
	ds_read_b128 v[127:130], v142 offset:784
	ds_write_b128 v144, v[173:176] offset:3216
	v_add_f64 v[119:120], v[119:120], v[131:132]
	v_add_f64 v[121:122], v[121:122], v[133:134]
	ds_read_b128 v[131:134], v142 offset:768
	v_add_f64 v[119:120], v[119:120], v[149:150]
	v_add_f64 v[121:122], v[121:122], v[151:152]
	;; [unrolled: 1-line block ×4, first 2 shown]
	ds_read_b128 v[119:122], v142 offset:816
	s_waitcnt lgkmcnt(0)
	s_barrier
	buffer_gl0_inv
	ds_read_b128 v[153:156], v145
	s_waitcnt lgkmcnt(0)
	v_add_f64 v[165:166], v[153:154], 0
	v_add_f64 v[167:168], v[155:156], 0
	ds_read_b128 v[153:156], v145 offset:16
	s_waitcnt lgkmcnt(0)
	v_add_f64 v[165:166], v[165:166], v[153:154]
	v_add_f64 v[167:168], v[167:168], v[155:156]
	ds_read_b128 v[153:156], v145 offset:32
	;; [unrolled: 4-line block ×3, first 2 shown]
	s_waitcnt lgkmcnt(0)
	s_barrier
	buffer_gl0_inv
	v_add_f64 v[153:154], v[165:166], v[153:154]
	v_add_f64 v[155:156], v[167:168], v[155:156]
	ds_write_b128 v148, v[157:160]
	ds_write_b128 v148, v[161:164] offset:256
	ds_write_b128 v148, v[149:152] offset:512
	ds_write_b128 v148, v[153:156] offset:768
	s_waitcnt lgkmcnt(0)
	s_barrier
	buffer_gl0_inv
	s_and_saveexec_b32 s9, s2
	s_cbranch_execz .LBB195_97
; %bb.101:                              ;   in Loop: Header=BB195_98 Depth=1
	ds_read_b128 v[149:152], v146
	ds_read_b128 v[153:156], v146 offset:16
	s_waitcnt lgkmcnt(0)
	v_add_f64 v[157:158], v[153:154], v[149:150]
	v_add_f64 v[159:160], v[155:156], v[151:152]
	ds_read_b128 v[149:152], v146 offset:32
	ds_read_b128 v[153:156], v146 offset:48
	s_waitcnt lgkmcnt(1)
	v_add_f64 v[149:150], v[157:158], v[149:150]
	v_add_f64 v[151:152], v[159:160], v[151:152]
	s_waitcnt lgkmcnt(0)
	v_add_f64 v[157:158], v[149:150], v[153:154]
	v_add_f64 v[159:160], v[151:152], v[155:156]
	ds_read_b128 v[149:152], v146 offset:64
	ds_read_b128 v[153:156], v146 offset:80
	s_waitcnt lgkmcnt(1)
	v_add_f64 v[149:150], v[157:158], v[149:150]
	v_add_f64 v[151:152], v[159:160], v[151:152]
	;; [unrolled: 8-line block ×6, first 2 shown]
	s_waitcnt lgkmcnt(0)
	v_add_f64 v[157:158], v[149:150], v[153:154]
	v_add_f64 v[159:160], v[151:152], v[155:156]
	ds_read_b128 v[149:152], v146 offset:224
	ds_read_b128 v[153:156], v147
	s_waitcnt lgkmcnt(1)
	v_add_f64 v[149:150], v[157:158], v[149:150]
	v_add_f64 v[151:152], v[159:160], v[151:152]
	s_waitcnt lgkmcnt(0)
	v_add_f64 v[149:150], v[149:150], v[153:154]
	v_add_f64 v[151:152], v[151:152], v[155:156]
	v_lshlrev_b64 v[153:154], 4, v[0:1]
	v_add_co_u32 v153, s3, s7, v153
	v_add_co_ci_u32_e64 v154, null, s10, v154, s3
	global_store_dwordx4 v[153:154], v[149:152], off
	s_branch .LBB195_97
.LBB195_102:
	v_mad_u32_u24 v0, 0x430, v2, v138
	s_nor_b32 s0, s0, vcc_lo
	ds_write_b128 v0, v[3:6]
	s_waitcnt lgkmcnt(0)
	s_barrier
	buffer_gl0_inv
	s_and_saveexec_b32 s1, s0
	s_cbranch_execz .LBB195_104
; %bb.103:
	ds_read_b128 v[0:3], v138 offset:1072
	ds_read_b128 v[4:7], v138
	v_ashrrev_i32_e32 v136, 31, v135
	s_waitcnt lgkmcnt(0)
	v_add_f64 v[8:9], v[0:1], v[4:5]
	v_add_f64 v[10:11], v[2:3], v[6:7]
	ds_read_b128 v[0:3], v138 offset:2144
	ds_read_b128 v[4:7], v138 offset:3216
	s_waitcnt lgkmcnt(1)
	v_add_f64 v[0:1], v[8:9], v[0:1]
	v_add_f64 v[2:3], v[10:11], v[2:3]
	s_waitcnt lgkmcnt(0)
	v_add_f64 v[0:1], v[0:1], v[4:5]
	v_add_f64 v[2:3], v[2:3], v[6:7]
	v_lshlrev_b64 v[4:5], 4, v[135:136]
	v_add_co_u32 v4, vcc_lo, s7, v4
	v_add_co_ci_u32_e64 v5, null, s10, v5, vcc_lo
	global_store_dwordx4 v[4:5], v[0:3], off
.LBB195_104:
	s_endpgm
	.section	.rodata,"a",@progbits
	.p2align	6, 0x0
	.amdhsa_kernel _ZL26rocblas_hemvn_kernel_lowerILb0ELi64ELi4ELi33ELi32ELi16Ei19rocblas_complex_numIdEPKPKS1_PS1_EviT6_lT7_lT5_lS8_lS9_lS7_lT8_i
		.amdhsa_group_segment_fixed_size 19200
		.amdhsa_private_segment_fixed_size 0
		.amdhsa_kernarg_size 392
		.amdhsa_user_sgpr_count 6
		.amdhsa_user_sgpr_private_segment_buffer 1
		.amdhsa_user_sgpr_dispatch_ptr 0
		.amdhsa_user_sgpr_queue_ptr 0
		.amdhsa_user_sgpr_kernarg_segment_ptr 1
		.amdhsa_user_sgpr_dispatch_id 0
		.amdhsa_user_sgpr_flat_scratch_init 0
		.amdhsa_user_sgpr_private_segment_size 0
		.amdhsa_wavefront_size32 1
		.amdhsa_uses_dynamic_stack 0
		.amdhsa_system_sgpr_private_segment_wavefront_offset 0
		.amdhsa_system_sgpr_workgroup_id_x 1
		.amdhsa_system_sgpr_workgroup_id_y 0
		.amdhsa_system_sgpr_workgroup_id_z 1
		.amdhsa_system_sgpr_workgroup_info 0
		.amdhsa_system_vgpr_workitem_id 1
		.amdhsa_next_free_vgpr 177
		.amdhsa_next_free_sgpr 30
		.amdhsa_reserve_vcc 1
		.amdhsa_reserve_flat_scratch 1
		.amdhsa_float_round_mode_32 0
		.amdhsa_float_round_mode_16_64 0
		.amdhsa_float_denorm_mode_32 3
		.amdhsa_float_denorm_mode_16_64 3
		.amdhsa_dx10_clamp 1
		.amdhsa_ieee_mode 1
		.amdhsa_fp16_overflow 0
		.amdhsa_workgroup_processor_mode 1
		.amdhsa_memory_ordered 1
		.amdhsa_forward_progress 1
		.amdhsa_shared_vgpr_count 0
		.amdhsa_exception_fp_ieee_invalid_op 0
		.amdhsa_exception_fp_denorm_src 0
		.amdhsa_exception_fp_ieee_div_zero 0
		.amdhsa_exception_fp_ieee_overflow 0
		.amdhsa_exception_fp_ieee_underflow 0
		.amdhsa_exception_fp_ieee_inexact 0
		.amdhsa_exception_int_div_zero 0
	.end_amdhsa_kernel
	.section	.text._ZL26rocblas_hemvn_kernel_lowerILb0ELi64ELi4ELi33ELi32ELi16Ei19rocblas_complex_numIdEPKPKS1_PS1_EviT6_lT7_lT5_lS8_lS9_lS7_lT8_i,"axG",@progbits,_ZL26rocblas_hemvn_kernel_lowerILb0ELi64ELi4ELi33ELi32ELi16Ei19rocblas_complex_numIdEPKPKS1_PS1_EviT6_lT7_lT5_lS8_lS9_lS7_lT8_i,comdat
.Lfunc_end195:
	.size	_ZL26rocblas_hemvn_kernel_lowerILb0ELi64ELi4ELi33ELi32ELi16Ei19rocblas_complex_numIdEPKPKS1_PS1_EviT6_lT7_lT5_lS8_lS9_lS7_lT8_i, .Lfunc_end195-_ZL26rocblas_hemvn_kernel_lowerILb0ELi64ELi4ELi33ELi32ELi16Ei19rocblas_complex_numIdEPKPKS1_PS1_EviT6_lT7_lT5_lS8_lS9_lS7_lT8_i
                                        ; -- End function
	.set _ZL26rocblas_hemvn_kernel_lowerILb0ELi64ELi4ELi33ELi32ELi16Ei19rocblas_complex_numIdEPKPKS1_PS1_EviT6_lT7_lT5_lS8_lS9_lS7_lT8_i.num_vgpr, 177
	.set _ZL26rocblas_hemvn_kernel_lowerILb0ELi64ELi4ELi33ELi32ELi16Ei19rocblas_complex_numIdEPKPKS1_PS1_EviT6_lT7_lT5_lS8_lS9_lS7_lT8_i.num_agpr, 0
	.set _ZL26rocblas_hemvn_kernel_lowerILb0ELi64ELi4ELi33ELi32ELi16Ei19rocblas_complex_numIdEPKPKS1_PS1_EviT6_lT7_lT5_lS8_lS9_lS7_lT8_i.numbered_sgpr, 30
	.set _ZL26rocblas_hemvn_kernel_lowerILb0ELi64ELi4ELi33ELi32ELi16Ei19rocblas_complex_numIdEPKPKS1_PS1_EviT6_lT7_lT5_lS8_lS9_lS7_lT8_i.num_named_barrier, 0
	.set _ZL26rocblas_hemvn_kernel_lowerILb0ELi64ELi4ELi33ELi32ELi16Ei19rocblas_complex_numIdEPKPKS1_PS1_EviT6_lT7_lT5_lS8_lS9_lS7_lT8_i.private_seg_size, 0
	.set _ZL26rocblas_hemvn_kernel_lowerILb0ELi64ELi4ELi33ELi32ELi16Ei19rocblas_complex_numIdEPKPKS1_PS1_EviT6_lT7_lT5_lS8_lS9_lS7_lT8_i.uses_vcc, 1
	.set _ZL26rocblas_hemvn_kernel_lowerILb0ELi64ELi4ELi33ELi32ELi16Ei19rocblas_complex_numIdEPKPKS1_PS1_EviT6_lT7_lT5_lS8_lS9_lS7_lT8_i.uses_flat_scratch, 1
	.set _ZL26rocblas_hemvn_kernel_lowerILb0ELi64ELi4ELi33ELi32ELi16Ei19rocblas_complex_numIdEPKPKS1_PS1_EviT6_lT7_lT5_lS8_lS9_lS7_lT8_i.has_dyn_sized_stack, 0
	.set _ZL26rocblas_hemvn_kernel_lowerILb0ELi64ELi4ELi33ELi32ELi16Ei19rocblas_complex_numIdEPKPKS1_PS1_EviT6_lT7_lT5_lS8_lS9_lS7_lT8_i.has_recursion, 0
	.set _ZL26rocblas_hemvn_kernel_lowerILb0ELi64ELi4ELi33ELi32ELi16Ei19rocblas_complex_numIdEPKPKS1_PS1_EviT6_lT7_lT5_lS8_lS9_lS7_lT8_i.has_indirect_call, 0
	.section	.AMDGPU.csdata,"",@progbits
; Kernel info:
; codeLenInByte = 9828
; TotalNumSgprs: 32
; NumVgprs: 177
; ScratchSize: 0
; MemoryBound: 0
; FloatMode: 240
; IeeeMode: 1
; LDSByteSize: 19200 bytes/workgroup (compile time only)
; SGPRBlocks: 0
; VGPRBlocks: 22
; NumSGPRsForWavesPerEU: 32
; NumVGPRsForWavesPerEU: 177
; Occupancy: 5
; WaveLimiterHint : 0
; COMPUTE_PGM_RSRC2:SCRATCH_EN: 0
; COMPUTE_PGM_RSRC2:USER_SGPR: 6
; COMPUTE_PGM_RSRC2:TRAP_HANDLER: 0
; COMPUTE_PGM_RSRC2:TGID_X_EN: 1
; COMPUTE_PGM_RSRC2:TGID_Y_EN: 0
; COMPUTE_PGM_RSRC2:TGID_Z_EN: 1
; COMPUTE_PGM_RSRC2:TIDIG_COMP_CNT: 1
	.section	.AMDGPU.gpr_maximums,"",@progbits
	.set amdgpu.max_num_vgpr, 0
	.set amdgpu.max_num_agpr, 0
	.set amdgpu.max_num_sgpr, 0
	.section	.AMDGPU.csdata,"",@progbits
	.type	__hip_cuid_9dda91e12ee39d9d,@object ; @__hip_cuid_9dda91e12ee39d9d
	.section	.bss,"aw",@nobits
	.globl	__hip_cuid_9dda91e12ee39d9d
__hip_cuid_9dda91e12ee39d9d:
	.byte	0                               ; 0x0
	.size	__hip_cuid_9dda91e12ee39d9d, 1

	.ident	"AMD clang version 22.0.0git (https://github.com/RadeonOpenCompute/llvm-project roc-7.2.4 26084 f58b06dce1f9c15707c5f808fd002e18c2accf7e)"
	.section	".note.GNU-stack","",@progbits
	.addrsig
	.addrsig_sym __hip_cuid_9dda91e12ee39d9d
	.amdgpu_metadata
---
amdhsa.kernels:
  - .args:
      - .offset:         0
        .size:           4
        .value_kind:     by_value
      - .address_space:  global
        .offset:         8
        .size:           8
        .value_kind:     global_buffer
      - .offset:         16
        .size:           8
        .value_kind:     by_value
      - .address_space:  global
        .offset:         24
        .size:           8
        .value_kind:     global_buffer
      - .offset:         32
        .size:           8
        .value_kind:     by_value
      - .offset:         40
        .size:           8
        .value_kind:     by_value
      - .offset:         48
        .size:           8
        .value_kind:     by_value
      - .address_space:  global
        .offset:         56
        .size:           8
        .value_kind:     global_buffer
      - .offset:         64
        .size:           8
        .value_kind:     by_value
      - .offset:         72
        .size:           8
        .value_kind:     by_value
      - .offset:         80
        .size:           8
        .value_kind:     by_value
      - .address_space:  global
        .offset:         88
        .size:           8
        .value_kind:     global_buffer
      - .offset:         96
        .size:           8
        .value_kind:     by_value
      - .address_space:  global
        .offset:         104
        .size:           8
        .value_kind:     global_buffer
      - .offset:         112
        .size:           4
        .value_kind:     by_value
      - .offset:         120
        .size:           4
        .value_kind:     hidden_block_count_x
      - .offset:         124
        .size:           4
        .value_kind:     hidden_block_count_y
      - .offset:         128
        .size:           4
        .value_kind:     hidden_block_count_z
      - .offset:         132
        .size:           2
        .value_kind:     hidden_group_size_x
      - .offset:         134
        .size:           2
        .value_kind:     hidden_group_size_y
      - .offset:         136
        .size:           2
        .value_kind:     hidden_group_size_z
      - .offset:         138
        .size:           2
        .value_kind:     hidden_remainder_x
      - .offset:         140
        .size:           2
        .value_kind:     hidden_remainder_y
      - .offset:         142
        .size:           2
        .value_kind:     hidden_remainder_z
      - .offset:         160
        .size:           8
        .value_kind:     hidden_global_offset_x
      - .offset:         168
        .size:           8
        .value_kind:     hidden_global_offset_y
      - .offset:         176
        .size:           8
        .value_kind:     hidden_global_offset_z
      - .offset:         184
        .size:           2
        .value_kind:     hidden_grid_dims
    .group_segment_fixed_size: 9600
    .kernarg_segment_align: 8
    .kernarg_segment_size: 376
    .language:       OpenCL C
    .language_version:
      - 2
      - 0
    .max_flat_workgroup_size: 256
    .name:           _ZL26rocblas_hemvn_kernel_upperILb1ELi64ELi4ELi33ELi32ELi16ElPK19rocblas_complex_numIfES3_PS1_EviT6_lT7_lT5_lS6_lS7_lS5_lT8_i
    .private_segment_fixed_size: 0
    .sgpr_count:     38
    .sgpr_spill_count: 0
    .symbol:         _ZL26rocblas_hemvn_kernel_upperILb1ELi64ELi4ELi33ELi32ELi16ElPK19rocblas_complex_numIfES3_PS1_EviT6_lT7_lT5_lS6_lS7_lS5_lT8_i.kd
    .uniform_work_group_size: 1
    .uses_dynamic_stack: false
    .vgpr_count:     160
    .vgpr_spill_count: 0
    .wavefront_size: 32
    .workgroup_processor_mode: 1
  - .args:
      - .offset:         0
        .size:           4
        .value_kind:     by_value
      - .address_space:  global
        .offset:         8
        .size:           8
        .value_kind:     global_buffer
      - .offset:         16
        .size:           8
        .value_kind:     by_value
      - .address_space:  global
        .offset:         24
        .size:           8
        .value_kind:     global_buffer
      - .offset:         32
        .size:           8
        .value_kind:     by_value
      - .address_space:  global
        .offset:         40
        .size:           8
        .value_kind:     global_buffer
      - .offset:         48
        .size:           8
        .value_kind:     by_value
      - .offset:         56
        .size:           8
        .value_kind:     by_value
      - .offset:         64
        .size:           8
        .value_kind:     by_value
      - .address_space:  global
        .offset:         72
        .size:           8
        .value_kind:     global_buffer
      - .offset:         80
        .size:           4
        .value_kind:     by_value
      - .offset:         88
        .size:           4
        .value_kind:     hidden_block_count_x
      - .offset:         92
        .size:           4
        .value_kind:     hidden_block_count_y
      - .offset:         96
        .size:           4
        .value_kind:     hidden_block_count_z
      - .offset:         100
        .size:           2
        .value_kind:     hidden_group_size_x
      - .offset:         102
        .size:           2
        .value_kind:     hidden_group_size_y
      - .offset:         104
        .size:           2
        .value_kind:     hidden_group_size_z
      - .offset:         106
        .size:           2
        .value_kind:     hidden_remainder_x
      - .offset:         108
        .size:           2
        .value_kind:     hidden_remainder_y
      - .offset:         110
        .size:           2
        .value_kind:     hidden_remainder_z
      - .offset:         128
        .size:           8
        .value_kind:     hidden_global_offset_x
      - .offset:         136
        .size:           8
        .value_kind:     hidden_global_offset_y
      - .offset:         144
        .size:           8
        .value_kind:     hidden_global_offset_z
      - .offset:         152
        .size:           2
        .value_kind:     hidden_grid_dims
    .group_segment_fixed_size: 0
    .kernarg_segment_align: 8
    .kernarg_segment_size: 344
    .language:       OpenCL C
    .language_version:
      - 2
      - 0
    .max_flat_workgroup_size: 64
    .name:           _ZL36rocblas_hemvn_kernel_upper_block_sumILi64ElPK19rocblas_complex_numIfEPS1_S1_EviT1_lS5_lT2_lT0_lPT3_i
    .private_segment_fixed_size: 0
    .sgpr_count:     24
    .sgpr_spill_count: 0
    .symbol:         _ZL36rocblas_hemvn_kernel_upper_block_sumILi64ElPK19rocblas_complex_numIfEPS1_S1_EviT1_lS5_lT2_lT0_lPT3_i.kd
    .uniform_work_group_size: 1
    .uses_dynamic_stack: false
    .vgpr_count:     8
    .vgpr_spill_count: 0
    .wavefront_size: 32
    .workgroup_processor_mode: 1
  - .args:
      - .offset:         0
        .size:           4
        .value_kind:     by_value
      - .address_space:  global
        .offset:         8
        .size:           8
        .value_kind:     global_buffer
      - .offset:         16
        .size:           8
        .value_kind:     by_value
      - .address_space:  global
        .offset:         24
        .size:           8
        .value_kind:     global_buffer
      - .offset:         32
        .size:           8
        .value_kind:     by_value
      - .offset:         40
        .size:           4
        .value_kind:     by_value
      - .offset:         48
        .size:           8
        .value_kind:     by_value
      - .address_space:  global
        .offset:         56
        .size:           8
        .value_kind:     global_buffer
      - .offset:         64
        .size:           8
        .value_kind:     by_value
      - .offset:         72
        .size:           4
        .value_kind:     by_value
      - .offset:         80
        .size:           8
        .value_kind:     by_value
      - .address_space:  global
        .offset:         88
        .size:           8
        .value_kind:     global_buffer
      - .offset:         96
        .size:           8
        .value_kind:     by_value
      - .address_space:  global
        .offset:         104
        .size:           8
        .value_kind:     global_buffer
      - .offset:         112
        .size:           4
        .value_kind:     by_value
      - .offset:         120
        .size:           4
        .value_kind:     hidden_block_count_x
      - .offset:         124
        .size:           4
        .value_kind:     hidden_block_count_y
      - .offset:         128
        .size:           4
        .value_kind:     hidden_block_count_z
      - .offset:         132
        .size:           2
        .value_kind:     hidden_group_size_x
      - .offset:         134
        .size:           2
        .value_kind:     hidden_group_size_y
      - .offset:         136
        .size:           2
        .value_kind:     hidden_group_size_z
      - .offset:         138
        .size:           2
        .value_kind:     hidden_remainder_x
      - .offset:         140
        .size:           2
        .value_kind:     hidden_remainder_y
      - .offset:         142
        .size:           2
        .value_kind:     hidden_remainder_z
      - .offset:         160
        .size:           8
        .value_kind:     hidden_global_offset_x
      - .offset:         168
        .size:           8
        .value_kind:     hidden_global_offset_y
      - .offset:         176
        .size:           8
        .value_kind:     hidden_global_offset_z
      - .offset:         184
        .size:           2
        .value_kind:     hidden_grid_dims
    .group_segment_fixed_size: 9600
    .kernarg_segment_align: 8
    .kernarg_segment_size: 376
    .language:       OpenCL C
    .language_version:
      - 2
      - 0
    .max_flat_workgroup_size: 256
    .name:           _ZL26rocblas_hemvn_kernel_upperILb1ELi64ELi4ELi33ELi32ELi16EiPK19rocblas_complex_numIfES3_PS1_EviT6_lT7_lT5_lS6_lS7_lS5_lT8_i
    .private_segment_fixed_size: 0
    .sgpr_count:     37
    .sgpr_spill_count: 0
    .symbol:         _ZL26rocblas_hemvn_kernel_upperILb1ELi64ELi4ELi33ELi32ELi16EiPK19rocblas_complex_numIfES3_PS1_EviT6_lT7_lT5_lS6_lS7_lS5_lT8_i.kd
    .uniform_work_group_size: 1
    .uses_dynamic_stack: false
    .vgpr_count:     161
    .vgpr_spill_count: 0
    .wavefront_size: 32
    .workgroup_processor_mode: 1
  - .args:
      - .offset:         0
        .size:           4
        .value_kind:     by_value
      - .address_space:  global
        .offset:         8
        .size:           8
        .value_kind:     global_buffer
      - .offset:         16
        .size:           8
        .value_kind:     by_value
      - .address_space:  global
        .offset:         24
        .size:           8
        .value_kind:     global_buffer
      - .offset:         32
        .size:           8
        .value_kind:     by_value
      - .address_space:  global
        .offset:         40
        .size:           8
        .value_kind:     global_buffer
      - .offset:         48
        .size:           8
        .value_kind:     by_value
      - .offset:         56
        .size:           4
        .value_kind:     by_value
      - .offset:         64
        .size:           8
        .value_kind:     by_value
      - .address_space:  global
        .offset:         72
        .size:           8
        .value_kind:     global_buffer
      - .offset:         80
        .size:           4
        .value_kind:     by_value
      - .offset:         88
        .size:           4
        .value_kind:     hidden_block_count_x
      - .offset:         92
        .size:           4
        .value_kind:     hidden_block_count_y
      - .offset:         96
        .size:           4
        .value_kind:     hidden_block_count_z
      - .offset:         100
        .size:           2
        .value_kind:     hidden_group_size_x
      - .offset:         102
        .size:           2
        .value_kind:     hidden_group_size_y
      - .offset:         104
        .size:           2
        .value_kind:     hidden_group_size_z
      - .offset:         106
        .size:           2
        .value_kind:     hidden_remainder_x
      - .offset:         108
        .size:           2
        .value_kind:     hidden_remainder_y
      - .offset:         110
        .size:           2
        .value_kind:     hidden_remainder_z
      - .offset:         128
        .size:           8
        .value_kind:     hidden_global_offset_x
      - .offset:         136
        .size:           8
        .value_kind:     hidden_global_offset_y
      - .offset:         144
        .size:           8
        .value_kind:     hidden_global_offset_z
      - .offset:         152
        .size:           2
        .value_kind:     hidden_grid_dims
    .group_segment_fixed_size: 0
    .kernarg_segment_align: 8
    .kernarg_segment_size: 344
    .language:       OpenCL C
    .language_version:
      - 2
      - 0
    .max_flat_workgroup_size: 64
    .name:           _ZL36rocblas_hemvn_kernel_upper_block_sumILi64EiPK19rocblas_complex_numIfEPS1_S1_EviT1_lS5_lT2_lT0_lPT3_i
    .private_segment_fixed_size: 0
    .sgpr_count:     26
    .sgpr_spill_count: 0
    .symbol:         _ZL36rocblas_hemvn_kernel_upper_block_sumILi64EiPK19rocblas_complex_numIfEPS1_S1_EviT1_lS5_lT2_lT0_lPT3_i.kd
    .uniform_work_group_size: 1
    .uses_dynamic_stack: false
    .vgpr_count:     7
    .vgpr_spill_count: 0
    .wavefront_size: 32
    .workgroup_processor_mode: 1
  - .args:
      - .offset:         0
        .size:           4
        .value_kind:     by_value
      - .offset:         4
        .size:           8
        .value_kind:     by_value
      - .offset:         16
        .size:           8
        .value_kind:     by_value
      - .address_space:  global
        .offset:         24
        .size:           8
        .value_kind:     global_buffer
      - .offset:         32
        .size:           8
        .value_kind:     by_value
      - .offset:         40
        .size:           8
        .value_kind:     by_value
      - .offset:         48
        .size:           8
        .value_kind:     by_value
      - .address_space:  global
        .offset:         56
        .size:           8
        .value_kind:     global_buffer
      - .offset:         64
        .size:           8
        .value_kind:     by_value
      - .offset:         72
        .size:           8
        .value_kind:     by_value
      - .offset:         80
        .size:           8
        .value_kind:     by_value
      - .offset:         88
        .size:           8
        .value_kind:     by_value
      - .offset:         96
        .size:           8
        .value_kind:     by_value
      - .address_space:  global
        .offset:         104
        .size:           8
        .value_kind:     global_buffer
      - .offset:         112
        .size:           4
        .value_kind:     by_value
      - .offset:         120
        .size:           4
        .value_kind:     hidden_block_count_x
      - .offset:         124
        .size:           4
        .value_kind:     hidden_block_count_y
      - .offset:         128
        .size:           4
        .value_kind:     hidden_block_count_z
      - .offset:         132
        .size:           2
        .value_kind:     hidden_group_size_x
      - .offset:         134
        .size:           2
        .value_kind:     hidden_group_size_y
      - .offset:         136
        .size:           2
        .value_kind:     hidden_group_size_z
      - .offset:         138
        .size:           2
        .value_kind:     hidden_remainder_x
      - .offset:         140
        .size:           2
        .value_kind:     hidden_remainder_y
      - .offset:         142
        .size:           2
        .value_kind:     hidden_remainder_z
      - .offset:         160
        .size:           8
        .value_kind:     hidden_global_offset_x
      - .offset:         168
        .size:           8
        .value_kind:     hidden_global_offset_y
      - .offset:         176
        .size:           8
        .value_kind:     hidden_global_offset_z
      - .offset:         184
        .size:           2
        .value_kind:     hidden_grid_dims
    .group_segment_fixed_size: 9600
    .kernarg_segment_align: 8
    .kernarg_segment_size: 376
    .language:       OpenCL C
    .language_version:
      - 2
      - 0
    .max_flat_workgroup_size: 256
    .name:           _ZL26rocblas_hemvn_kernel_upperILb1ELi64ELi4ELi33ELi32ELi16El19rocblas_complex_numIfEPKS1_PS1_EviT6_lT7_lT5_lS6_lS7_lS5_lT8_i
    .private_segment_fixed_size: 0
    .sgpr_count:     32
    .sgpr_spill_count: 0
    .symbol:         _ZL26rocblas_hemvn_kernel_upperILb1ELi64ELi4ELi33ELi32ELi16El19rocblas_complex_numIfEPKS1_PS1_EviT6_lT7_lT5_lS6_lS7_lS5_lT8_i.kd
    .uniform_work_group_size: 1
    .uses_dynamic_stack: false
    .vgpr_count:     160
    .vgpr_spill_count: 0
    .wavefront_size: 32
    .workgroup_processor_mode: 1
  - .args:
      - .offset:         0
        .size:           4
        .value_kind:     by_value
      - .offset:         4
        .size:           8
        .value_kind:     by_value
      - .offset:         16
        .size:           8
        .value_kind:     by_value
      - .offset:         24
        .size:           8
        .value_kind:     by_value
      - .offset:         32
        .size:           8
        .value_kind:     by_value
      - .address_space:  global
        .offset:         40
        .size:           8
        .value_kind:     global_buffer
      - .offset:         48
        .size:           8
        .value_kind:     by_value
      - .offset:         56
        .size:           8
        .value_kind:     by_value
      - .offset:         64
        .size:           8
        .value_kind:     by_value
      - .address_space:  global
        .offset:         72
        .size:           8
        .value_kind:     global_buffer
      - .offset:         80
        .size:           4
        .value_kind:     by_value
      - .offset:         88
        .size:           4
        .value_kind:     hidden_block_count_x
      - .offset:         92
        .size:           4
        .value_kind:     hidden_block_count_y
      - .offset:         96
        .size:           4
        .value_kind:     hidden_block_count_z
      - .offset:         100
        .size:           2
        .value_kind:     hidden_group_size_x
      - .offset:         102
        .size:           2
        .value_kind:     hidden_group_size_y
      - .offset:         104
        .size:           2
        .value_kind:     hidden_group_size_z
      - .offset:         106
        .size:           2
        .value_kind:     hidden_remainder_x
      - .offset:         108
        .size:           2
        .value_kind:     hidden_remainder_y
      - .offset:         110
        .size:           2
        .value_kind:     hidden_remainder_z
      - .offset:         128
        .size:           8
        .value_kind:     hidden_global_offset_x
      - .offset:         136
        .size:           8
        .value_kind:     hidden_global_offset_y
      - .offset:         144
        .size:           8
        .value_kind:     hidden_global_offset_z
      - .offset:         152
        .size:           2
        .value_kind:     hidden_grid_dims
    .group_segment_fixed_size: 0
    .kernarg_segment_align: 8
    .kernarg_segment_size: 344
    .language:       OpenCL C
    .language_version:
      - 2
      - 0
    .max_flat_workgroup_size: 64
    .name:           _ZL36rocblas_hemvn_kernel_upper_block_sumILi64El19rocblas_complex_numIfEPS1_S1_EviT1_lS3_lT2_lT0_lPT3_i
    .private_segment_fixed_size: 0
    .sgpr_count:     24
    .sgpr_spill_count: 0
    .symbol:         _ZL36rocblas_hemvn_kernel_upper_block_sumILi64El19rocblas_complex_numIfEPS1_S1_EviT1_lS3_lT2_lT0_lPT3_i.kd
    .uniform_work_group_size: 1
    .uses_dynamic_stack: false
    .vgpr_count:     8
    .vgpr_spill_count: 0
    .wavefront_size: 32
    .workgroup_processor_mode: 1
  - .args:
      - .offset:         0
        .size:           4
        .value_kind:     by_value
      - .offset:         4
        .size:           8
        .value_kind:     by_value
      - .offset:         16
        .size:           8
        .value_kind:     by_value
      - .address_space:  global
        .offset:         24
        .size:           8
        .value_kind:     global_buffer
      - .offset:         32
        .size:           8
        .value_kind:     by_value
      - .offset:         40
        .size:           4
        .value_kind:     by_value
      - .offset:         48
        .size:           8
        .value_kind:     by_value
      - .address_space:  global
        .offset:         56
        .size:           8
        .value_kind:     global_buffer
      - .offset:         64
        .size:           8
        .value_kind:     by_value
      - .offset:         72
        .size:           4
        .value_kind:     by_value
      - .offset:         80
        .size:           8
        .value_kind:     by_value
      - .offset:         88
        .size:           8
        .value_kind:     by_value
      - .offset:         96
        .size:           8
        .value_kind:     by_value
      - .address_space:  global
        .offset:         104
        .size:           8
        .value_kind:     global_buffer
      - .offset:         112
        .size:           4
        .value_kind:     by_value
      - .offset:         120
        .size:           4
        .value_kind:     hidden_block_count_x
      - .offset:         124
        .size:           4
        .value_kind:     hidden_block_count_y
      - .offset:         128
        .size:           4
        .value_kind:     hidden_block_count_z
      - .offset:         132
        .size:           2
        .value_kind:     hidden_group_size_x
      - .offset:         134
        .size:           2
        .value_kind:     hidden_group_size_y
      - .offset:         136
        .size:           2
        .value_kind:     hidden_group_size_z
      - .offset:         138
        .size:           2
        .value_kind:     hidden_remainder_x
      - .offset:         140
        .size:           2
        .value_kind:     hidden_remainder_y
      - .offset:         142
        .size:           2
        .value_kind:     hidden_remainder_z
      - .offset:         160
        .size:           8
        .value_kind:     hidden_global_offset_x
      - .offset:         168
        .size:           8
        .value_kind:     hidden_global_offset_y
      - .offset:         176
        .size:           8
        .value_kind:     hidden_global_offset_z
      - .offset:         184
        .size:           2
        .value_kind:     hidden_grid_dims
    .group_segment_fixed_size: 9600
    .kernarg_segment_align: 8
    .kernarg_segment_size: 376
    .language:       OpenCL C
    .language_version:
      - 2
      - 0
    .max_flat_workgroup_size: 256
    .name:           _ZL26rocblas_hemvn_kernel_upperILb1ELi64ELi4ELi33ELi32ELi16Ei19rocblas_complex_numIfEPKS1_PS1_EviT6_lT7_lT5_lS6_lS7_lS5_lT8_i
    .private_segment_fixed_size: 0
    .sgpr_count:     37
    .sgpr_spill_count: 0
    .symbol:         _ZL26rocblas_hemvn_kernel_upperILb1ELi64ELi4ELi33ELi32ELi16Ei19rocblas_complex_numIfEPKS1_PS1_EviT6_lT7_lT5_lS6_lS7_lS5_lT8_i.kd
    .uniform_work_group_size: 1
    .uses_dynamic_stack: false
    .vgpr_count:     161
    .vgpr_spill_count: 0
    .wavefront_size: 32
    .workgroup_processor_mode: 1
  - .args:
      - .offset:         0
        .size:           4
        .value_kind:     by_value
      - .offset:         4
        .size:           8
        .value_kind:     by_value
      - .offset:         16
        .size:           8
        .value_kind:     by_value
      - .offset:         24
        .size:           8
        .value_kind:     by_value
      - .offset:         32
        .size:           8
        .value_kind:     by_value
      - .address_space:  global
        .offset:         40
        .size:           8
        .value_kind:     global_buffer
      - .offset:         48
        .size:           8
        .value_kind:     by_value
      - .offset:         56
        .size:           4
        .value_kind:     by_value
      - .offset:         64
        .size:           8
        .value_kind:     by_value
      - .address_space:  global
        .offset:         72
        .size:           8
        .value_kind:     global_buffer
      - .offset:         80
        .size:           4
        .value_kind:     by_value
      - .offset:         88
        .size:           4
        .value_kind:     hidden_block_count_x
      - .offset:         92
        .size:           4
        .value_kind:     hidden_block_count_y
      - .offset:         96
        .size:           4
        .value_kind:     hidden_block_count_z
      - .offset:         100
        .size:           2
        .value_kind:     hidden_group_size_x
      - .offset:         102
        .size:           2
        .value_kind:     hidden_group_size_y
      - .offset:         104
        .size:           2
        .value_kind:     hidden_group_size_z
      - .offset:         106
        .size:           2
        .value_kind:     hidden_remainder_x
      - .offset:         108
        .size:           2
        .value_kind:     hidden_remainder_y
      - .offset:         110
        .size:           2
        .value_kind:     hidden_remainder_z
      - .offset:         128
        .size:           8
        .value_kind:     hidden_global_offset_x
      - .offset:         136
        .size:           8
        .value_kind:     hidden_global_offset_y
      - .offset:         144
        .size:           8
        .value_kind:     hidden_global_offset_z
      - .offset:         152
        .size:           2
        .value_kind:     hidden_grid_dims
    .group_segment_fixed_size: 0
    .kernarg_segment_align: 8
    .kernarg_segment_size: 344
    .language:       OpenCL C
    .language_version:
      - 2
      - 0
    .max_flat_workgroup_size: 64
    .name:           _ZL36rocblas_hemvn_kernel_upper_block_sumILi64Ei19rocblas_complex_numIfEPS1_S1_EviT1_lS3_lT2_lT0_lPT3_i
    .private_segment_fixed_size: 0
    .sgpr_count:     26
    .sgpr_spill_count: 0
    .symbol:         _ZL36rocblas_hemvn_kernel_upper_block_sumILi64Ei19rocblas_complex_numIfEPS1_S1_EviT1_lS3_lT2_lT0_lPT3_i.kd
    .uniform_work_group_size: 1
    .uses_dynamic_stack: false
    .vgpr_count:     7
    .vgpr_spill_count: 0
    .wavefront_size: 32
    .workgroup_processor_mode: 1
  - .args:
      - .offset:         0
        .size:           4
        .value_kind:     by_value
      - .address_space:  global
        .offset:         8
        .size:           8
        .value_kind:     global_buffer
      - .offset:         16
        .size:           8
        .value_kind:     by_value
      - .address_space:  global
        .offset:         24
        .size:           8
        .value_kind:     global_buffer
      - .offset:         32
        .size:           8
        .value_kind:     by_value
      - .offset:         40
        .size:           8
        .value_kind:     by_value
      - .offset:         48
        .size:           8
        .value_kind:     by_value
      - .address_space:  global
        .offset:         56
        .size:           8
        .value_kind:     global_buffer
      - .offset:         64
        .size:           8
        .value_kind:     by_value
      - .offset:         72
        .size:           8
        .value_kind:     by_value
      - .offset:         80
        .size:           8
        .value_kind:     by_value
      - .address_space:  global
        .offset:         88
        .size:           8
        .value_kind:     global_buffer
      - .offset:         96
        .size:           8
        .value_kind:     by_value
      - .address_space:  global
        .offset:         104
        .size:           8
        .value_kind:     global_buffer
      - .offset:         112
        .size:           4
        .value_kind:     by_value
      - .offset:         120
        .size:           4
        .value_kind:     hidden_block_count_x
      - .offset:         124
        .size:           4
        .value_kind:     hidden_block_count_y
      - .offset:         128
        .size:           4
        .value_kind:     hidden_block_count_z
      - .offset:         132
        .size:           2
        .value_kind:     hidden_group_size_x
      - .offset:         134
        .size:           2
        .value_kind:     hidden_group_size_y
      - .offset:         136
        .size:           2
        .value_kind:     hidden_group_size_z
      - .offset:         138
        .size:           2
        .value_kind:     hidden_remainder_x
      - .offset:         140
        .size:           2
        .value_kind:     hidden_remainder_y
      - .offset:         142
        .size:           2
        .value_kind:     hidden_remainder_z
      - .offset:         160
        .size:           8
        .value_kind:     hidden_global_offset_x
      - .offset:         168
        .size:           8
        .value_kind:     hidden_global_offset_y
      - .offset:         176
        .size:           8
        .value_kind:     hidden_global_offset_z
      - .offset:         184
        .size:           2
        .value_kind:     hidden_grid_dims
    .group_segment_fixed_size: 9600
    .kernarg_segment_align: 8
    .kernarg_segment_size: 376
    .language:       OpenCL C
    .language_version:
      - 2
      - 0
    .max_flat_workgroup_size: 256
    .name:           _ZL26rocblas_hemvn_kernel_lowerILb1ELi64ELi4ELi33ELi32ELi16ElPK19rocblas_complex_numIfES3_PS1_EviT6_lT7_lT5_lS6_lS7_lS5_lT8_i
    .private_segment_fixed_size: 0
    .sgpr_count:     34
    .sgpr_spill_count: 0
    .symbol:         _ZL26rocblas_hemvn_kernel_lowerILb1ELi64ELi4ELi33ELi32ELi16ElPK19rocblas_complex_numIfES3_PS1_EviT6_lT7_lT5_lS6_lS7_lS5_lT8_i.kd
    .uniform_work_group_size: 1
    .uses_dynamic_stack: false
    .vgpr_count:     117
    .vgpr_spill_count: 0
    .wavefront_size: 32
    .workgroup_processor_mode: 1
  - .args:
      - .offset:         0
        .size:           4
        .value_kind:     by_value
      - .address_space:  global
        .offset:         8
        .size:           8
        .value_kind:     global_buffer
      - .offset:         16
        .size:           8
        .value_kind:     by_value
      - .address_space:  global
        .offset:         24
        .size:           8
        .value_kind:     global_buffer
      - .offset:         32
        .size:           8
        .value_kind:     by_value
      - .address_space:  global
        .offset:         40
        .size:           8
        .value_kind:     global_buffer
      - .offset:         48
        .size:           8
        .value_kind:     by_value
      - .offset:         56
        .size:           8
        .value_kind:     by_value
      - .offset:         64
        .size:           8
        .value_kind:     by_value
      - .actual_access:  read_only
        .address_space:  global
        .offset:         72
        .size:           8
        .value_kind:     global_buffer
      - .offset:         80
        .size:           4
        .value_kind:     by_value
      - .offset:         88
        .size:           4
        .value_kind:     hidden_block_count_x
      - .offset:         92
        .size:           4
        .value_kind:     hidden_block_count_y
      - .offset:         96
        .size:           4
        .value_kind:     hidden_block_count_z
      - .offset:         100
        .size:           2
        .value_kind:     hidden_group_size_x
      - .offset:         102
        .size:           2
        .value_kind:     hidden_group_size_y
      - .offset:         104
        .size:           2
        .value_kind:     hidden_group_size_z
      - .offset:         106
        .size:           2
        .value_kind:     hidden_remainder_x
      - .offset:         108
        .size:           2
        .value_kind:     hidden_remainder_y
      - .offset:         110
        .size:           2
        .value_kind:     hidden_remainder_z
      - .offset:         128
        .size:           8
        .value_kind:     hidden_global_offset_x
      - .offset:         136
        .size:           8
        .value_kind:     hidden_global_offset_y
      - .offset:         144
        .size:           8
        .value_kind:     hidden_global_offset_z
      - .offset:         152
        .size:           2
        .value_kind:     hidden_grid_dims
    .group_segment_fixed_size: 0
    .kernarg_segment_align: 8
    .kernarg_segment_size: 344
    .language:       OpenCL C
    .language_version:
      - 2
      - 0
    .max_flat_workgroup_size: 64
    .name:           _ZL36rocblas_hemvn_kernel_lower_block_sumILi64ElPK19rocblas_complex_numIfEPS1_S1_EviT1_lS5_lT2_lT0_lPT3_i
    .private_segment_fixed_size: 0
    .sgpr_count:     21
    .sgpr_spill_count: 0
    .symbol:         _ZL36rocblas_hemvn_kernel_lower_block_sumILi64ElPK19rocblas_complex_numIfEPS1_S1_EviT1_lS5_lT2_lT0_lPT3_i.kd
    .uniform_work_group_size: 1
    .uses_dynamic_stack: false
    .vgpr_count:     8
    .vgpr_spill_count: 0
    .wavefront_size: 32
    .workgroup_processor_mode: 1
  - .args:
      - .offset:         0
        .size:           4
        .value_kind:     by_value
      - .address_space:  global
        .offset:         8
        .size:           8
        .value_kind:     global_buffer
      - .offset:         16
        .size:           8
        .value_kind:     by_value
      - .address_space:  global
        .offset:         24
        .size:           8
        .value_kind:     global_buffer
      - .offset:         32
        .size:           8
        .value_kind:     by_value
      - .offset:         40
        .size:           4
        .value_kind:     by_value
      - .offset:         48
        .size:           8
        .value_kind:     by_value
      - .address_space:  global
        .offset:         56
        .size:           8
        .value_kind:     global_buffer
      - .offset:         64
        .size:           8
        .value_kind:     by_value
      - .offset:         72
        .size:           4
        .value_kind:     by_value
      - .offset:         80
        .size:           8
        .value_kind:     by_value
      - .address_space:  global
        .offset:         88
        .size:           8
        .value_kind:     global_buffer
      - .offset:         96
        .size:           8
        .value_kind:     by_value
      - .address_space:  global
        .offset:         104
        .size:           8
        .value_kind:     global_buffer
      - .offset:         112
        .size:           4
        .value_kind:     by_value
      - .offset:         120
        .size:           4
        .value_kind:     hidden_block_count_x
      - .offset:         124
        .size:           4
        .value_kind:     hidden_block_count_y
      - .offset:         128
        .size:           4
        .value_kind:     hidden_block_count_z
      - .offset:         132
        .size:           2
        .value_kind:     hidden_group_size_x
      - .offset:         134
        .size:           2
        .value_kind:     hidden_group_size_y
      - .offset:         136
        .size:           2
        .value_kind:     hidden_group_size_z
      - .offset:         138
        .size:           2
        .value_kind:     hidden_remainder_x
      - .offset:         140
        .size:           2
        .value_kind:     hidden_remainder_y
      - .offset:         142
        .size:           2
        .value_kind:     hidden_remainder_z
      - .offset:         160
        .size:           8
        .value_kind:     hidden_global_offset_x
      - .offset:         168
        .size:           8
        .value_kind:     hidden_global_offset_y
      - .offset:         176
        .size:           8
        .value_kind:     hidden_global_offset_z
      - .offset:         184
        .size:           2
        .value_kind:     hidden_grid_dims
    .group_segment_fixed_size: 9600
    .kernarg_segment_align: 8
    .kernarg_segment_size: 376
    .language:       OpenCL C
    .language_version:
      - 2
      - 0
    .max_flat_workgroup_size: 256
    .name:           _ZL26rocblas_hemvn_kernel_lowerILb1ELi64ELi4ELi33ELi32ELi16EiPK19rocblas_complex_numIfES3_PS1_EviT6_lT7_lT5_lS6_lS7_lS5_lT8_i
    .private_segment_fixed_size: 0
    .sgpr_count:     32
    .sgpr_spill_count: 0
    .symbol:         _ZL26rocblas_hemvn_kernel_lowerILb1ELi64ELi4ELi33ELi32ELi16EiPK19rocblas_complex_numIfES3_PS1_EviT6_lT7_lT5_lS6_lS7_lS5_lT8_i.kd
    .uniform_work_group_size: 1
    .uses_dynamic_stack: false
    .vgpr_count:     115
    .vgpr_spill_count: 0
    .wavefront_size: 32
    .workgroup_processor_mode: 1
  - .args:
      - .offset:         0
        .size:           4
        .value_kind:     by_value
      - .address_space:  global
        .offset:         8
        .size:           8
        .value_kind:     global_buffer
      - .offset:         16
        .size:           8
        .value_kind:     by_value
      - .address_space:  global
        .offset:         24
        .size:           8
        .value_kind:     global_buffer
      - .offset:         32
        .size:           8
        .value_kind:     by_value
      - .address_space:  global
        .offset:         40
        .size:           8
        .value_kind:     global_buffer
      - .offset:         48
        .size:           8
        .value_kind:     by_value
      - .offset:         56
        .size:           4
        .value_kind:     by_value
      - .offset:         64
        .size:           8
        .value_kind:     by_value
      - .actual_access:  read_only
        .address_space:  global
        .offset:         72
        .size:           8
        .value_kind:     global_buffer
      - .offset:         80
        .size:           4
        .value_kind:     by_value
      - .offset:         88
        .size:           4
        .value_kind:     hidden_block_count_x
      - .offset:         92
        .size:           4
        .value_kind:     hidden_block_count_y
      - .offset:         96
        .size:           4
        .value_kind:     hidden_block_count_z
      - .offset:         100
        .size:           2
        .value_kind:     hidden_group_size_x
      - .offset:         102
        .size:           2
        .value_kind:     hidden_group_size_y
      - .offset:         104
        .size:           2
        .value_kind:     hidden_group_size_z
      - .offset:         106
        .size:           2
        .value_kind:     hidden_remainder_x
      - .offset:         108
        .size:           2
        .value_kind:     hidden_remainder_y
      - .offset:         110
        .size:           2
        .value_kind:     hidden_remainder_z
      - .offset:         128
        .size:           8
        .value_kind:     hidden_global_offset_x
      - .offset:         136
        .size:           8
        .value_kind:     hidden_global_offset_y
      - .offset:         144
        .size:           8
        .value_kind:     hidden_global_offset_z
      - .offset:         152
        .size:           2
        .value_kind:     hidden_grid_dims
    .group_segment_fixed_size: 0
    .kernarg_segment_align: 8
    .kernarg_segment_size: 344
    .language:       OpenCL C
    .language_version:
      - 2
      - 0
    .max_flat_workgroup_size: 64
    .name:           _ZL36rocblas_hemvn_kernel_lower_block_sumILi64EiPK19rocblas_complex_numIfEPS1_S1_EviT1_lS5_lT2_lT0_lPT3_i
    .private_segment_fixed_size: 0
    .sgpr_count:     22
    .sgpr_spill_count: 0
    .symbol:         _ZL36rocblas_hemvn_kernel_lower_block_sumILi64EiPK19rocblas_complex_numIfEPS1_S1_EviT1_lS5_lT2_lT0_lPT3_i.kd
    .uniform_work_group_size: 1
    .uses_dynamic_stack: false
    .vgpr_count:     7
    .vgpr_spill_count: 0
    .wavefront_size: 32
    .workgroup_processor_mode: 1
  - .args:
      - .offset:         0
        .size:           4
        .value_kind:     by_value
      - .offset:         4
        .size:           8
        .value_kind:     by_value
      - .offset:         16
        .size:           8
        .value_kind:     by_value
      - .address_space:  global
        .offset:         24
        .size:           8
        .value_kind:     global_buffer
      - .offset:         32
        .size:           8
        .value_kind:     by_value
      - .offset:         40
        .size:           8
        .value_kind:     by_value
      - .offset:         48
        .size:           8
        .value_kind:     by_value
      - .address_space:  global
        .offset:         56
        .size:           8
        .value_kind:     global_buffer
      - .offset:         64
        .size:           8
        .value_kind:     by_value
      - .offset:         72
        .size:           8
        .value_kind:     by_value
      - .offset:         80
        .size:           8
        .value_kind:     by_value
      - .offset:         88
        .size:           8
        .value_kind:     by_value
      - .offset:         96
        .size:           8
        .value_kind:     by_value
      - .address_space:  global
        .offset:         104
        .size:           8
        .value_kind:     global_buffer
      - .offset:         112
        .size:           4
        .value_kind:     by_value
      - .offset:         120
        .size:           4
        .value_kind:     hidden_block_count_x
      - .offset:         124
        .size:           4
        .value_kind:     hidden_block_count_y
      - .offset:         128
        .size:           4
        .value_kind:     hidden_block_count_z
      - .offset:         132
        .size:           2
        .value_kind:     hidden_group_size_x
      - .offset:         134
        .size:           2
        .value_kind:     hidden_group_size_y
      - .offset:         136
        .size:           2
        .value_kind:     hidden_group_size_z
      - .offset:         138
        .size:           2
        .value_kind:     hidden_remainder_x
      - .offset:         140
        .size:           2
        .value_kind:     hidden_remainder_y
      - .offset:         142
        .size:           2
        .value_kind:     hidden_remainder_z
      - .offset:         160
        .size:           8
        .value_kind:     hidden_global_offset_x
      - .offset:         168
        .size:           8
        .value_kind:     hidden_global_offset_y
      - .offset:         176
        .size:           8
        .value_kind:     hidden_global_offset_z
      - .offset:         184
        .size:           2
        .value_kind:     hidden_grid_dims
    .group_segment_fixed_size: 9600
    .kernarg_segment_align: 8
    .kernarg_segment_size: 376
    .language:       OpenCL C
    .language_version:
      - 2
      - 0
    .max_flat_workgroup_size: 256
    .name:           _ZL26rocblas_hemvn_kernel_lowerILb1ELi64ELi4ELi33ELi32ELi16El19rocblas_complex_numIfEPKS1_PS1_EviT6_lT7_lT5_lS6_lS7_lS5_lT8_i
    .private_segment_fixed_size: 0
    .sgpr_count:     34
    .sgpr_spill_count: 0
    .symbol:         _ZL26rocblas_hemvn_kernel_lowerILb1ELi64ELi4ELi33ELi32ELi16El19rocblas_complex_numIfEPKS1_PS1_EviT6_lT7_lT5_lS6_lS7_lS5_lT8_i.kd
    .uniform_work_group_size: 1
    .uses_dynamic_stack: false
    .vgpr_count:     117
    .vgpr_spill_count: 0
    .wavefront_size: 32
    .workgroup_processor_mode: 1
  - .args:
      - .offset:         0
        .size:           4
        .value_kind:     by_value
      - .offset:         4
        .size:           8
        .value_kind:     by_value
      - .offset:         16
        .size:           8
        .value_kind:     by_value
      - .offset:         24
        .size:           8
        .value_kind:     by_value
      - .offset:         32
        .size:           8
        .value_kind:     by_value
      - .address_space:  global
        .offset:         40
        .size:           8
        .value_kind:     global_buffer
      - .offset:         48
        .size:           8
        .value_kind:     by_value
      - .offset:         56
        .size:           8
        .value_kind:     by_value
      - .offset:         64
        .size:           8
        .value_kind:     by_value
      - .actual_access:  read_only
        .address_space:  global
        .offset:         72
        .size:           8
        .value_kind:     global_buffer
      - .offset:         80
        .size:           4
        .value_kind:     by_value
      - .offset:         88
        .size:           4
        .value_kind:     hidden_block_count_x
      - .offset:         92
        .size:           4
        .value_kind:     hidden_block_count_y
      - .offset:         96
        .size:           4
        .value_kind:     hidden_block_count_z
      - .offset:         100
        .size:           2
        .value_kind:     hidden_group_size_x
      - .offset:         102
        .size:           2
        .value_kind:     hidden_group_size_y
      - .offset:         104
        .size:           2
        .value_kind:     hidden_group_size_z
      - .offset:         106
        .size:           2
        .value_kind:     hidden_remainder_x
      - .offset:         108
        .size:           2
        .value_kind:     hidden_remainder_y
      - .offset:         110
        .size:           2
        .value_kind:     hidden_remainder_z
      - .offset:         128
        .size:           8
        .value_kind:     hidden_global_offset_x
      - .offset:         136
        .size:           8
        .value_kind:     hidden_global_offset_y
      - .offset:         144
        .size:           8
        .value_kind:     hidden_global_offset_z
      - .offset:         152
        .size:           2
        .value_kind:     hidden_grid_dims
    .group_segment_fixed_size: 0
    .kernarg_segment_align: 8
    .kernarg_segment_size: 344
    .language:       OpenCL C
    .language_version:
      - 2
      - 0
    .max_flat_workgroup_size: 64
    .name:           _ZL36rocblas_hemvn_kernel_lower_block_sumILi64El19rocblas_complex_numIfEPS1_S1_EviT1_lS3_lT2_lT0_lPT3_i
    .private_segment_fixed_size: 0
    .sgpr_count:     22
    .sgpr_spill_count: 0
    .symbol:         _ZL36rocblas_hemvn_kernel_lower_block_sumILi64El19rocblas_complex_numIfEPS1_S1_EviT1_lS3_lT2_lT0_lPT3_i.kd
    .uniform_work_group_size: 1
    .uses_dynamic_stack: false
    .vgpr_count:     8
    .vgpr_spill_count: 0
    .wavefront_size: 32
    .workgroup_processor_mode: 1
  - .args:
      - .offset:         0
        .size:           4
        .value_kind:     by_value
      - .offset:         4
        .size:           8
        .value_kind:     by_value
      - .offset:         16
        .size:           8
        .value_kind:     by_value
      - .address_space:  global
        .offset:         24
        .size:           8
        .value_kind:     global_buffer
      - .offset:         32
        .size:           8
        .value_kind:     by_value
      - .offset:         40
        .size:           4
        .value_kind:     by_value
      - .offset:         48
        .size:           8
        .value_kind:     by_value
      - .address_space:  global
        .offset:         56
        .size:           8
        .value_kind:     global_buffer
      - .offset:         64
        .size:           8
        .value_kind:     by_value
      - .offset:         72
        .size:           4
        .value_kind:     by_value
      - .offset:         80
        .size:           8
        .value_kind:     by_value
      - .offset:         88
        .size:           8
        .value_kind:     by_value
      - .offset:         96
        .size:           8
        .value_kind:     by_value
      - .address_space:  global
        .offset:         104
        .size:           8
        .value_kind:     global_buffer
      - .offset:         112
        .size:           4
        .value_kind:     by_value
      - .offset:         120
        .size:           4
        .value_kind:     hidden_block_count_x
      - .offset:         124
        .size:           4
        .value_kind:     hidden_block_count_y
      - .offset:         128
        .size:           4
        .value_kind:     hidden_block_count_z
      - .offset:         132
        .size:           2
        .value_kind:     hidden_group_size_x
      - .offset:         134
        .size:           2
        .value_kind:     hidden_group_size_y
      - .offset:         136
        .size:           2
        .value_kind:     hidden_group_size_z
      - .offset:         138
        .size:           2
        .value_kind:     hidden_remainder_x
      - .offset:         140
        .size:           2
        .value_kind:     hidden_remainder_y
      - .offset:         142
        .size:           2
        .value_kind:     hidden_remainder_z
      - .offset:         160
        .size:           8
        .value_kind:     hidden_global_offset_x
      - .offset:         168
        .size:           8
        .value_kind:     hidden_global_offset_y
      - .offset:         176
        .size:           8
        .value_kind:     hidden_global_offset_z
      - .offset:         184
        .size:           2
        .value_kind:     hidden_grid_dims
    .group_segment_fixed_size: 9600
    .kernarg_segment_align: 8
    .kernarg_segment_size: 376
    .language:       OpenCL C
    .language_version:
      - 2
      - 0
    .max_flat_workgroup_size: 256
    .name:           _ZL26rocblas_hemvn_kernel_lowerILb1ELi64ELi4ELi33ELi32ELi16Ei19rocblas_complex_numIfEPKS1_PS1_EviT6_lT7_lT5_lS6_lS7_lS5_lT8_i
    .private_segment_fixed_size: 0
    .sgpr_count:     32
    .sgpr_spill_count: 0
    .symbol:         _ZL26rocblas_hemvn_kernel_lowerILb1ELi64ELi4ELi33ELi32ELi16Ei19rocblas_complex_numIfEPKS1_PS1_EviT6_lT7_lT5_lS6_lS7_lS5_lT8_i.kd
    .uniform_work_group_size: 1
    .uses_dynamic_stack: false
    .vgpr_count:     115
    .vgpr_spill_count: 0
    .wavefront_size: 32
    .workgroup_processor_mode: 1
  - .args:
      - .offset:         0
        .size:           4
        .value_kind:     by_value
      - .offset:         4
        .size:           8
        .value_kind:     by_value
      - .offset:         16
        .size:           8
        .value_kind:     by_value
      - .offset:         24
        .size:           8
        .value_kind:     by_value
      - .offset:         32
        .size:           8
        .value_kind:     by_value
      - .address_space:  global
        .offset:         40
        .size:           8
        .value_kind:     global_buffer
      - .offset:         48
        .size:           8
        .value_kind:     by_value
      - .offset:         56
        .size:           4
        .value_kind:     by_value
      - .offset:         64
        .size:           8
        .value_kind:     by_value
      - .actual_access:  read_only
        .address_space:  global
        .offset:         72
        .size:           8
        .value_kind:     global_buffer
      - .offset:         80
        .size:           4
        .value_kind:     by_value
      - .offset:         88
        .size:           4
        .value_kind:     hidden_block_count_x
      - .offset:         92
        .size:           4
        .value_kind:     hidden_block_count_y
      - .offset:         96
        .size:           4
        .value_kind:     hidden_block_count_z
      - .offset:         100
        .size:           2
        .value_kind:     hidden_group_size_x
      - .offset:         102
        .size:           2
        .value_kind:     hidden_group_size_y
      - .offset:         104
        .size:           2
        .value_kind:     hidden_group_size_z
      - .offset:         106
        .size:           2
        .value_kind:     hidden_remainder_x
      - .offset:         108
        .size:           2
        .value_kind:     hidden_remainder_y
      - .offset:         110
        .size:           2
        .value_kind:     hidden_remainder_z
      - .offset:         128
        .size:           8
        .value_kind:     hidden_global_offset_x
      - .offset:         136
        .size:           8
        .value_kind:     hidden_global_offset_y
      - .offset:         144
        .size:           8
        .value_kind:     hidden_global_offset_z
      - .offset:         152
        .size:           2
        .value_kind:     hidden_grid_dims
    .group_segment_fixed_size: 0
    .kernarg_segment_align: 8
    .kernarg_segment_size: 344
    .language:       OpenCL C
    .language_version:
      - 2
      - 0
    .max_flat_workgroup_size: 64
    .name:           _ZL36rocblas_hemvn_kernel_lower_block_sumILi64Ei19rocblas_complex_numIfEPS1_S1_EviT1_lS3_lT2_lT0_lPT3_i
    .private_segment_fixed_size: 0
    .sgpr_count:     22
    .sgpr_spill_count: 0
    .symbol:         _ZL36rocblas_hemvn_kernel_lower_block_sumILi64Ei19rocblas_complex_numIfEPS1_S1_EviT1_lS3_lT2_lT0_lPT3_i.kd
    .uniform_work_group_size: 1
    .uses_dynamic_stack: false
    .vgpr_count:     7
    .vgpr_spill_count: 0
    .wavefront_size: 32
    .workgroup_processor_mode: 1
  - .args:
      - .offset:         0
        .size:           4
        .value_kind:     by_value
      - .address_space:  global
        .offset:         8
        .size:           8
        .value_kind:     global_buffer
      - .offset:         16
        .size:           8
        .value_kind:     by_value
      - .address_space:  global
        .offset:         24
        .size:           8
        .value_kind:     global_buffer
      - .offset:         32
        .size:           8
        .value_kind:     by_value
      - .offset:         40
        .size:           8
        .value_kind:     by_value
      - .offset:         48
        .size:           8
        .value_kind:     by_value
      - .address_space:  global
        .offset:         56
        .size:           8
        .value_kind:     global_buffer
      - .offset:         64
        .size:           8
        .value_kind:     by_value
      - .offset:         72
        .size:           8
        .value_kind:     by_value
      - .offset:         80
        .size:           8
        .value_kind:     by_value
      - .address_space:  global
        .offset:         88
        .size:           8
        .value_kind:     global_buffer
      - .offset:         96
        .size:           8
        .value_kind:     by_value
      - .address_space:  global
        .offset:         104
        .size:           8
        .value_kind:     global_buffer
      - .offset:         112
        .size:           4
        .value_kind:     by_value
      - .offset:         120
        .size:           4
        .value_kind:     hidden_block_count_x
      - .offset:         124
        .size:           4
        .value_kind:     hidden_block_count_y
      - .offset:         128
        .size:           4
        .value_kind:     hidden_block_count_z
      - .offset:         132
        .size:           2
        .value_kind:     hidden_group_size_x
      - .offset:         134
        .size:           2
        .value_kind:     hidden_group_size_y
      - .offset:         136
        .size:           2
        .value_kind:     hidden_group_size_z
      - .offset:         138
        .size:           2
        .value_kind:     hidden_remainder_x
      - .offset:         140
        .size:           2
        .value_kind:     hidden_remainder_y
      - .offset:         142
        .size:           2
        .value_kind:     hidden_remainder_z
      - .offset:         160
        .size:           8
        .value_kind:     hidden_global_offset_x
      - .offset:         168
        .size:           8
        .value_kind:     hidden_global_offset_y
      - .offset:         176
        .size:           8
        .value_kind:     hidden_global_offset_z
      - .offset:         184
        .size:           2
        .value_kind:     hidden_grid_dims
    .group_segment_fixed_size: 19200
    .kernarg_segment_align: 8
    .kernarg_segment_size: 376
    .language:       OpenCL C
    .language_version:
      - 2
      - 0
    .max_flat_workgroup_size: 256
    .name:           _ZL26rocblas_hemvn_kernel_upperILb1ELi64ELi4ELi33ELi32ELi16ElPK19rocblas_complex_numIdES3_PS1_EviT6_lT7_lT5_lS6_lS7_lS5_lT8_i
    .private_segment_fixed_size: 0
    .sgpr_count:     38
    .sgpr_spill_count: 0
    .symbol:         _ZL26rocblas_hemvn_kernel_upperILb1ELi64ELi4ELi33ELi32ELi16ElPK19rocblas_complex_numIdES3_PS1_EviT6_lT7_lT5_lS6_lS7_lS5_lT8_i.kd
    .uniform_work_group_size: 1
    .uses_dynamic_stack: false
    .vgpr_count:     248
    .vgpr_spill_count: 0
    .wavefront_size: 32
    .workgroup_processor_mode: 1
  - .args:
      - .offset:         0
        .size:           4
        .value_kind:     by_value
      - .address_space:  global
        .offset:         8
        .size:           8
        .value_kind:     global_buffer
      - .offset:         16
        .size:           8
        .value_kind:     by_value
      - .address_space:  global
        .offset:         24
        .size:           8
        .value_kind:     global_buffer
      - .offset:         32
        .size:           8
        .value_kind:     by_value
      - .address_space:  global
        .offset:         40
        .size:           8
        .value_kind:     global_buffer
      - .offset:         48
        .size:           8
        .value_kind:     by_value
      - .offset:         56
        .size:           8
        .value_kind:     by_value
      - .offset:         64
        .size:           8
        .value_kind:     by_value
      - .address_space:  global
        .offset:         72
        .size:           8
        .value_kind:     global_buffer
      - .offset:         80
        .size:           4
        .value_kind:     by_value
      - .offset:         88
        .size:           4
        .value_kind:     hidden_block_count_x
      - .offset:         92
        .size:           4
        .value_kind:     hidden_block_count_y
      - .offset:         96
        .size:           4
        .value_kind:     hidden_block_count_z
      - .offset:         100
        .size:           2
        .value_kind:     hidden_group_size_x
      - .offset:         102
        .size:           2
        .value_kind:     hidden_group_size_y
      - .offset:         104
        .size:           2
        .value_kind:     hidden_group_size_z
      - .offset:         106
        .size:           2
        .value_kind:     hidden_remainder_x
      - .offset:         108
        .size:           2
        .value_kind:     hidden_remainder_y
      - .offset:         110
        .size:           2
        .value_kind:     hidden_remainder_z
      - .offset:         128
        .size:           8
        .value_kind:     hidden_global_offset_x
      - .offset:         136
        .size:           8
        .value_kind:     hidden_global_offset_y
      - .offset:         144
        .size:           8
        .value_kind:     hidden_global_offset_z
      - .offset:         152
        .size:           2
        .value_kind:     hidden_grid_dims
    .group_segment_fixed_size: 0
    .kernarg_segment_align: 8
    .kernarg_segment_size: 344
    .language:       OpenCL C
    .language_version:
      - 2
      - 0
    .max_flat_workgroup_size: 64
    .name:           _ZL36rocblas_hemvn_kernel_upper_block_sumILi64ElPK19rocblas_complex_numIdEPS1_S1_EviT1_lS5_lT2_lT0_lPT3_i
    .private_segment_fixed_size: 0
    .sgpr_count:     28
    .sgpr_spill_count: 0
    .symbol:         _ZL36rocblas_hemvn_kernel_upper_block_sumILi64ElPK19rocblas_complex_numIdEPS1_S1_EviT1_lS5_lT2_lT0_lPT3_i.kd
    .uniform_work_group_size: 1
    .uses_dynamic_stack: false
    .vgpr_count:     13
    .vgpr_spill_count: 0
    .wavefront_size: 32
    .workgroup_processor_mode: 1
  - .args:
      - .offset:         0
        .size:           4
        .value_kind:     by_value
      - .address_space:  global
        .offset:         8
        .size:           8
        .value_kind:     global_buffer
      - .offset:         16
        .size:           8
        .value_kind:     by_value
      - .address_space:  global
        .offset:         24
        .size:           8
        .value_kind:     global_buffer
      - .offset:         32
        .size:           8
        .value_kind:     by_value
      - .offset:         40
        .size:           4
        .value_kind:     by_value
      - .offset:         48
        .size:           8
        .value_kind:     by_value
      - .address_space:  global
        .offset:         56
        .size:           8
        .value_kind:     global_buffer
      - .offset:         64
        .size:           8
        .value_kind:     by_value
      - .offset:         72
        .size:           4
        .value_kind:     by_value
      - .offset:         80
        .size:           8
        .value_kind:     by_value
      - .address_space:  global
        .offset:         88
        .size:           8
        .value_kind:     global_buffer
      - .offset:         96
        .size:           8
        .value_kind:     by_value
      - .address_space:  global
        .offset:         104
        .size:           8
        .value_kind:     global_buffer
      - .offset:         112
        .size:           4
        .value_kind:     by_value
      - .offset:         120
        .size:           4
        .value_kind:     hidden_block_count_x
      - .offset:         124
        .size:           4
        .value_kind:     hidden_block_count_y
      - .offset:         128
        .size:           4
        .value_kind:     hidden_block_count_z
      - .offset:         132
        .size:           2
        .value_kind:     hidden_group_size_x
      - .offset:         134
        .size:           2
        .value_kind:     hidden_group_size_y
      - .offset:         136
        .size:           2
        .value_kind:     hidden_group_size_z
      - .offset:         138
        .size:           2
        .value_kind:     hidden_remainder_x
      - .offset:         140
        .size:           2
        .value_kind:     hidden_remainder_y
      - .offset:         142
        .size:           2
        .value_kind:     hidden_remainder_z
      - .offset:         160
        .size:           8
        .value_kind:     hidden_global_offset_x
      - .offset:         168
        .size:           8
        .value_kind:     hidden_global_offset_y
      - .offset:         176
        .size:           8
        .value_kind:     hidden_global_offset_z
      - .offset:         184
        .size:           2
        .value_kind:     hidden_grid_dims
    .group_segment_fixed_size: 19200
    .kernarg_segment_align: 8
    .kernarg_segment_size: 376
    .language:       OpenCL C
    .language_version:
      - 2
      - 0
    .max_flat_workgroup_size: 256
    .name:           _ZL26rocblas_hemvn_kernel_upperILb1ELi64ELi4ELi33ELi32ELi16EiPK19rocblas_complex_numIdES3_PS1_EviT6_lT7_lT5_lS6_lS7_lS5_lT8_i
    .private_segment_fixed_size: 0
    .sgpr_count:     37
    .sgpr_spill_count: 0
    .symbol:         _ZL26rocblas_hemvn_kernel_upperILb1ELi64ELi4ELi33ELi32ELi16EiPK19rocblas_complex_numIdES3_PS1_EviT6_lT7_lT5_lS6_lS7_lS5_lT8_i.kd
    .uniform_work_group_size: 1
    .uses_dynamic_stack: false
    .vgpr_count:     239
    .vgpr_spill_count: 0
    .wavefront_size: 32
    .workgroup_processor_mode: 1
  - .args:
      - .offset:         0
        .size:           4
        .value_kind:     by_value
      - .address_space:  global
        .offset:         8
        .size:           8
        .value_kind:     global_buffer
      - .offset:         16
        .size:           8
        .value_kind:     by_value
      - .address_space:  global
        .offset:         24
        .size:           8
        .value_kind:     global_buffer
      - .offset:         32
        .size:           8
        .value_kind:     by_value
      - .address_space:  global
        .offset:         40
        .size:           8
        .value_kind:     global_buffer
      - .offset:         48
        .size:           8
        .value_kind:     by_value
      - .offset:         56
        .size:           4
        .value_kind:     by_value
      - .offset:         64
        .size:           8
        .value_kind:     by_value
      - .address_space:  global
        .offset:         72
        .size:           8
        .value_kind:     global_buffer
      - .offset:         80
        .size:           4
        .value_kind:     by_value
      - .offset:         88
        .size:           4
        .value_kind:     hidden_block_count_x
      - .offset:         92
        .size:           4
        .value_kind:     hidden_block_count_y
      - .offset:         96
        .size:           4
        .value_kind:     hidden_block_count_z
      - .offset:         100
        .size:           2
        .value_kind:     hidden_group_size_x
      - .offset:         102
        .size:           2
        .value_kind:     hidden_group_size_y
      - .offset:         104
        .size:           2
        .value_kind:     hidden_group_size_z
      - .offset:         106
        .size:           2
        .value_kind:     hidden_remainder_x
      - .offset:         108
        .size:           2
        .value_kind:     hidden_remainder_y
      - .offset:         110
        .size:           2
        .value_kind:     hidden_remainder_z
      - .offset:         128
        .size:           8
        .value_kind:     hidden_global_offset_x
      - .offset:         136
        .size:           8
        .value_kind:     hidden_global_offset_y
      - .offset:         144
        .size:           8
        .value_kind:     hidden_global_offset_z
      - .offset:         152
        .size:           2
        .value_kind:     hidden_grid_dims
    .group_segment_fixed_size: 0
    .kernarg_segment_align: 8
    .kernarg_segment_size: 344
    .language:       OpenCL C
    .language_version:
      - 2
      - 0
    .max_flat_workgroup_size: 64
    .name:           _ZL36rocblas_hemvn_kernel_upper_block_sumILi64EiPK19rocblas_complex_numIdEPS1_S1_EviT1_lS5_lT2_lT0_lPT3_i
    .private_segment_fixed_size: 0
    .sgpr_count:     30
    .sgpr_spill_count: 0
    .symbol:         _ZL36rocblas_hemvn_kernel_upper_block_sumILi64EiPK19rocblas_complex_numIdEPS1_S1_EviT1_lS5_lT2_lT0_lPT3_i.kd
    .uniform_work_group_size: 1
    .uses_dynamic_stack: false
    .vgpr_count:     13
    .vgpr_spill_count: 0
    .wavefront_size: 32
    .workgroup_processor_mode: 1
  - .args:
      - .offset:         0
        .size:           4
        .value_kind:     by_value
      - .offset:         8
        .size:           16
        .value_kind:     by_value
      - .offset:         24
        .size:           8
        .value_kind:     by_value
      - .address_space:  global
        .offset:         32
        .size:           8
        .value_kind:     global_buffer
      - .offset:         40
        .size:           8
        .value_kind:     by_value
      - .offset:         48
        .size:           8
        .value_kind:     by_value
      - .offset:         56
        .size:           8
        .value_kind:     by_value
      - .address_space:  global
        .offset:         64
        .size:           8
        .value_kind:     global_buffer
      - .offset:         72
        .size:           8
        .value_kind:     by_value
      - .offset:         80
        .size:           8
        .value_kind:     by_value
      - .offset:         88
        .size:           8
        .value_kind:     by_value
      - .offset:         96
        .size:           16
        .value_kind:     by_value
      - .offset:         112
        .size:           8
        .value_kind:     by_value
      - .address_space:  global
        .offset:         120
        .size:           8
        .value_kind:     global_buffer
      - .offset:         128
        .size:           4
        .value_kind:     by_value
      - .offset:         136
        .size:           4
        .value_kind:     hidden_block_count_x
      - .offset:         140
        .size:           4
        .value_kind:     hidden_block_count_y
      - .offset:         144
        .size:           4
        .value_kind:     hidden_block_count_z
      - .offset:         148
        .size:           2
        .value_kind:     hidden_group_size_x
      - .offset:         150
        .size:           2
        .value_kind:     hidden_group_size_y
      - .offset:         152
        .size:           2
        .value_kind:     hidden_group_size_z
      - .offset:         154
        .size:           2
        .value_kind:     hidden_remainder_x
      - .offset:         156
        .size:           2
        .value_kind:     hidden_remainder_y
      - .offset:         158
        .size:           2
        .value_kind:     hidden_remainder_z
      - .offset:         176
        .size:           8
        .value_kind:     hidden_global_offset_x
      - .offset:         184
        .size:           8
        .value_kind:     hidden_global_offset_y
      - .offset:         192
        .size:           8
        .value_kind:     hidden_global_offset_z
      - .offset:         200
        .size:           2
        .value_kind:     hidden_grid_dims
    .group_segment_fixed_size: 19200
    .kernarg_segment_align: 8
    .kernarg_segment_size: 392
    .language:       OpenCL C
    .language_version:
      - 2
      - 0
    .max_flat_workgroup_size: 256
    .name:           _ZL26rocblas_hemvn_kernel_upperILb1ELi64ELi4ELi33ELi32ELi16El19rocblas_complex_numIdEPKS1_PS1_EviT6_lT7_lT5_lS6_lS7_lS5_lT8_i
    .private_segment_fixed_size: 0
    .sgpr_count:     32
    .sgpr_spill_count: 0
    .symbol:         _ZL26rocblas_hemvn_kernel_upperILb1ELi64ELi4ELi33ELi32ELi16El19rocblas_complex_numIdEPKS1_PS1_EviT6_lT7_lT5_lS6_lS7_lS5_lT8_i.kd
    .uniform_work_group_size: 1
    .uses_dynamic_stack: false
    .vgpr_count:     248
    .vgpr_spill_count: 0
    .wavefront_size: 32
    .workgroup_processor_mode: 1
  - .args:
      - .offset:         0
        .size:           4
        .value_kind:     by_value
      - .offset:         8
        .size:           16
        .value_kind:     by_value
      - .offset:         24
        .size:           8
        .value_kind:     by_value
      - .offset:         32
        .size:           16
        .value_kind:     by_value
      - .offset:         48
        .size:           8
        .value_kind:     by_value
      - .address_space:  global
        .offset:         56
        .size:           8
        .value_kind:     global_buffer
      - .offset:         64
        .size:           8
        .value_kind:     by_value
      - .offset:         72
        .size:           8
        .value_kind:     by_value
      - .offset:         80
        .size:           8
        .value_kind:     by_value
      - .address_space:  global
        .offset:         88
        .size:           8
        .value_kind:     global_buffer
      - .offset:         96
        .size:           4
        .value_kind:     by_value
      - .offset:         104
        .size:           4
        .value_kind:     hidden_block_count_x
      - .offset:         108
        .size:           4
        .value_kind:     hidden_block_count_y
      - .offset:         112
        .size:           4
        .value_kind:     hidden_block_count_z
      - .offset:         116
        .size:           2
        .value_kind:     hidden_group_size_x
      - .offset:         118
        .size:           2
        .value_kind:     hidden_group_size_y
      - .offset:         120
        .size:           2
        .value_kind:     hidden_group_size_z
      - .offset:         122
        .size:           2
        .value_kind:     hidden_remainder_x
      - .offset:         124
        .size:           2
        .value_kind:     hidden_remainder_y
      - .offset:         126
        .size:           2
        .value_kind:     hidden_remainder_z
      - .offset:         144
        .size:           8
        .value_kind:     hidden_global_offset_x
      - .offset:         152
        .size:           8
        .value_kind:     hidden_global_offset_y
      - .offset:         160
        .size:           8
        .value_kind:     hidden_global_offset_z
      - .offset:         168
        .size:           2
        .value_kind:     hidden_grid_dims
    .group_segment_fixed_size: 0
    .kernarg_segment_align: 8
    .kernarg_segment_size: 360
    .language:       OpenCL C
    .language_version:
      - 2
      - 0
    .max_flat_workgroup_size: 64
    .name:           _ZL36rocblas_hemvn_kernel_upper_block_sumILi64El19rocblas_complex_numIdEPS1_S1_EviT1_lS3_lT2_lT0_lPT3_i
    .private_segment_fixed_size: 0
    .sgpr_count:     28
    .sgpr_spill_count: 0
    .symbol:         _ZL36rocblas_hemvn_kernel_upper_block_sumILi64El19rocblas_complex_numIdEPS1_S1_EviT1_lS3_lT2_lT0_lPT3_i.kd
    .uniform_work_group_size: 1
    .uses_dynamic_stack: false
    .vgpr_count:     13
    .vgpr_spill_count: 0
    .wavefront_size: 32
    .workgroup_processor_mode: 1
  - .args:
      - .offset:         0
        .size:           4
        .value_kind:     by_value
      - .offset:         8
        .size:           16
        .value_kind:     by_value
      - .offset:         24
        .size:           8
        .value_kind:     by_value
      - .address_space:  global
        .offset:         32
        .size:           8
        .value_kind:     global_buffer
      - .offset:         40
        .size:           8
        .value_kind:     by_value
      - .offset:         48
        .size:           4
        .value_kind:     by_value
      - .offset:         56
        .size:           8
        .value_kind:     by_value
      - .address_space:  global
        .offset:         64
        .size:           8
        .value_kind:     global_buffer
      - .offset:         72
        .size:           8
        .value_kind:     by_value
      - .offset:         80
        .size:           4
        .value_kind:     by_value
      - .offset:         88
        .size:           8
        .value_kind:     by_value
      - .offset:         96
        .size:           16
        .value_kind:     by_value
      - .offset:         112
        .size:           8
        .value_kind:     by_value
      - .address_space:  global
        .offset:         120
        .size:           8
        .value_kind:     global_buffer
      - .offset:         128
        .size:           4
        .value_kind:     by_value
      - .offset:         136
        .size:           4
        .value_kind:     hidden_block_count_x
      - .offset:         140
        .size:           4
        .value_kind:     hidden_block_count_y
      - .offset:         144
        .size:           4
        .value_kind:     hidden_block_count_z
      - .offset:         148
        .size:           2
        .value_kind:     hidden_group_size_x
      - .offset:         150
        .size:           2
        .value_kind:     hidden_group_size_y
      - .offset:         152
        .size:           2
        .value_kind:     hidden_group_size_z
      - .offset:         154
        .size:           2
        .value_kind:     hidden_remainder_x
      - .offset:         156
        .size:           2
        .value_kind:     hidden_remainder_y
      - .offset:         158
        .size:           2
        .value_kind:     hidden_remainder_z
      - .offset:         176
        .size:           8
        .value_kind:     hidden_global_offset_x
      - .offset:         184
        .size:           8
        .value_kind:     hidden_global_offset_y
      - .offset:         192
        .size:           8
        .value_kind:     hidden_global_offset_z
      - .offset:         200
        .size:           2
        .value_kind:     hidden_grid_dims
    .group_segment_fixed_size: 19200
    .kernarg_segment_align: 8
    .kernarg_segment_size: 392
    .language:       OpenCL C
    .language_version:
      - 2
      - 0
    .max_flat_workgroup_size: 256
    .name:           _ZL26rocblas_hemvn_kernel_upperILb1ELi64ELi4ELi33ELi32ELi16Ei19rocblas_complex_numIdEPKS1_PS1_EviT6_lT7_lT5_lS6_lS7_lS5_lT8_i
    .private_segment_fixed_size: 0
    .sgpr_count:     37
    .sgpr_spill_count: 0
    .symbol:         _ZL26rocblas_hemvn_kernel_upperILb1ELi64ELi4ELi33ELi32ELi16Ei19rocblas_complex_numIdEPKS1_PS1_EviT6_lT7_lT5_lS6_lS7_lS5_lT8_i.kd
    .uniform_work_group_size: 1
    .uses_dynamic_stack: false
    .vgpr_count:     239
    .vgpr_spill_count: 0
    .wavefront_size: 32
    .workgroup_processor_mode: 1
  - .args:
      - .offset:         0
        .size:           4
        .value_kind:     by_value
      - .offset:         8
        .size:           16
        .value_kind:     by_value
      - .offset:         24
        .size:           8
        .value_kind:     by_value
      - .offset:         32
        .size:           16
        .value_kind:     by_value
      - .offset:         48
        .size:           8
        .value_kind:     by_value
      - .address_space:  global
        .offset:         56
        .size:           8
        .value_kind:     global_buffer
      - .offset:         64
        .size:           8
        .value_kind:     by_value
      - .offset:         72
        .size:           4
        .value_kind:     by_value
      - .offset:         80
        .size:           8
        .value_kind:     by_value
      - .address_space:  global
        .offset:         88
        .size:           8
        .value_kind:     global_buffer
      - .offset:         96
        .size:           4
        .value_kind:     by_value
      - .offset:         104
        .size:           4
        .value_kind:     hidden_block_count_x
      - .offset:         108
        .size:           4
        .value_kind:     hidden_block_count_y
      - .offset:         112
        .size:           4
        .value_kind:     hidden_block_count_z
      - .offset:         116
        .size:           2
        .value_kind:     hidden_group_size_x
      - .offset:         118
        .size:           2
        .value_kind:     hidden_group_size_y
      - .offset:         120
        .size:           2
        .value_kind:     hidden_group_size_z
      - .offset:         122
        .size:           2
        .value_kind:     hidden_remainder_x
      - .offset:         124
        .size:           2
        .value_kind:     hidden_remainder_y
      - .offset:         126
        .size:           2
        .value_kind:     hidden_remainder_z
      - .offset:         144
        .size:           8
        .value_kind:     hidden_global_offset_x
      - .offset:         152
        .size:           8
        .value_kind:     hidden_global_offset_y
      - .offset:         160
        .size:           8
        .value_kind:     hidden_global_offset_z
      - .offset:         168
        .size:           2
        .value_kind:     hidden_grid_dims
    .group_segment_fixed_size: 0
    .kernarg_segment_align: 8
    .kernarg_segment_size: 360
    .language:       OpenCL C
    .language_version:
      - 2
      - 0
    .max_flat_workgroup_size: 64
    .name:           _ZL36rocblas_hemvn_kernel_upper_block_sumILi64Ei19rocblas_complex_numIdEPS1_S1_EviT1_lS3_lT2_lT0_lPT3_i
    .private_segment_fixed_size: 0
    .sgpr_count:     30
    .sgpr_spill_count: 0
    .symbol:         _ZL36rocblas_hemvn_kernel_upper_block_sumILi64Ei19rocblas_complex_numIdEPS1_S1_EviT1_lS3_lT2_lT0_lPT3_i.kd
    .uniform_work_group_size: 1
    .uses_dynamic_stack: false
    .vgpr_count:     13
    .vgpr_spill_count: 0
    .wavefront_size: 32
    .workgroup_processor_mode: 1
  - .args:
      - .offset:         0
        .size:           4
        .value_kind:     by_value
      - .address_space:  global
        .offset:         8
        .size:           8
        .value_kind:     global_buffer
      - .offset:         16
        .size:           8
        .value_kind:     by_value
      - .address_space:  global
        .offset:         24
        .size:           8
        .value_kind:     global_buffer
      - .offset:         32
        .size:           8
        .value_kind:     by_value
      - .offset:         40
        .size:           8
        .value_kind:     by_value
      - .offset:         48
        .size:           8
        .value_kind:     by_value
      - .address_space:  global
        .offset:         56
        .size:           8
        .value_kind:     global_buffer
      - .offset:         64
        .size:           8
        .value_kind:     by_value
      - .offset:         72
        .size:           8
        .value_kind:     by_value
      - .offset:         80
        .size:           8
        .value_kind:     by_value
      - .address_space:  global
        .offset:         88
        .size:           8
        .value_kind:     global_buffer
      - .offset:         96
        .size:           8
        .value_kind:     by_value
      - .address_space:  global
        .offset:         104
        .size:           8
        .value_kind:     global_buffer
      - .offset:         112
        .size:           4
        .value_kind:     by_value
      - .offset:         120
        .size:           4
        .value_kind:     hidden_block_count_x
      - .offset:         124
        .size:           4
        .value_kind:     hidden_block_count_y
      - .offset:         128
        .size:           4
        .value_kind:     hidden_block_count_z
      - .offset:         132
        .size:           2
        .value_kind:     hidden_group_size_x
      - .offset:         134
        .size:           2
        .value_kind:     hidden_group_size_y
      - .offset:         136
        .size:           2
        .value_kind:     hidden_group_size_z
      - .offset:         138
        .size:           2
        .value_kind:     hidden_remainder_x
      - .offset:         140
        .size:           2
        .value_kind:     hidden_remainder_y
      - .offset:         142
        .size:           2
        .value_kind:     hidden_remainder_z
      - .offset:         160
        .size:           8
        .value_kind:     hidden_global_offset_x
      - .offset:         168
        .size:           8
        .value_kind:     hidden_global_offset_y
      - .offset:         176
        .size:           8
        .value_kind:     hidden_global_offset_z
      - .offset:         184
        .size:           2
        .value_kind:     hidden_grid_dims
    .group_segment_fixed_size: 19200
    .kernarg_segment_align: 8
    .kernarg_segment_size: 376
    .language:       OpenCL C
    .language_version:
      - 2
      - 0
    .max_flat_workgroup_size: 256
    .name:           _ZL26rocblas_hemvn_kernel_lowerILb1ELi64ELi4ELi33ELi32ELi16ElPK19rocblas_complex_numIdES3_PS1_EviT6_lT7_lT5_lS6_lS7_lS5_lT8_i
    .private_segment_fixed_size: 0
    .sgpr_count:     34
    .sgpr_spill_count: 0
    .symbol:         _ZL26rocblas_hemvn_kernel_lowerILb1ELi64ELi4ELi33ELi32ELi16ElPK19rocblas_complex_numIdES3_PS1_EviT6_lT7_lT5_lS6_lS7_lS5_lT8_i.kd
    .uniform_work_group_size: 1
    .uses_dynamic_stack: false
    .vgpr_count:     179
    .vgpr_spill_count: 0
    .wavefront_size: 32
    .workgroup_processor_mode: 1
  - .args:
      - .offset:         0
        .size:           4
        .value_kind:     by_value
      - .address_space:  global
        .offset:         8
        .size:           8
        .value_kind:     global_buffer
      - .offset:         16
        .size:           8
        .value_kind:     by_value
      - .address_space:  global
        .offset:         24
        .size:           8
        .value_kind:     global_buffer
      - .offset:         32
        .size:           8
        .value_kind:     by_value
      - .address_space:  global
        .offset:         40
        .size:           8
        .value_kind:     global_buffer
      - .offset:         48
        .size:           8
        .value_kind:     by_value
      - .offset:         56
        .size:           8
        .value_kind:     by_value
      - .offset:         64
        .size:           8
        .value_kind:     by_value
      - .actual_access:  read_only
        .address_space:  global
        .offset:         72
        .size:           8
        .value_kind:     global_buffer
      - .offset:         80
        .size:           4
        .value_kind:     by_value
      - .offset:         88
        .size:           4
        .value_kind:     hidden_block_count_x
      - .offset:         92
        .size:           4
        .value_kind:     hidden_block_count_y
      - .offset:         96
        .size:           4
        .value_kind:     hidden_block_count_z
      - .offset:         100
        .size:           2
        .value_kind:     hidden_group_size_x
      - .offset:         102
        .size:           2
        .value_kind:     hidden_group_size_y
      - .offset:         104
        .size:           2
        .value_kind:     hidden_group_size_z
      - .offset:         106
        .size:           2
        .value_kind:     hidden_remainder_x
      - .offset:         108
        .size:           2
        .value_kind:     hidden_remainder_y
      - .offset:         110
        .size:           2
        .value_kind:     hidden_remainder_z
      - .offset:         128
        .size:           8
        .value_kind:     hidden_global_offset_x
      - .offset:         136
        .size:           8
        .value_kind:     hidden_global_offset_y
      - .offset:         144
        .size:           8
        .value_kind:     hidden_global_offset_z
      - .offset:         152
        .size:           2
        .value_kind:     hidden_grid_dims
    .group_segment_fixed_size: 0
    .kernarg_segment_align: 8
    .kernarg_segment_size: 344
    .language:       OpenCL C
    .language_version:
      - 2
      - 0
    .max_flat_workgroup_size: 64
    .name:           _ZL36rocblas_hemvn_kernel_lower_block_sumILi64ElPK19rocblas_complex_numIdEPS1_S1_EviT1_lS5_lT2_lT0_lPT3_i
    .private_segment_fixed_size: 0
    .sgpr_count:     26
    .sgpr_spill_count: 0
    .symbol:         _ZL36rocblas_hemvn_kernel_lower_block_sumILi64ElPK19rocblas_complex_numIdEPS1_S1_EviT1_lS5_lT2_lT0_lPT3_i.kd
    .uniform_work_group_size: 1
    .uses_dynamic_stack: false
    .vgpr_count:     13
    .vgpr_spill_count: 0
    .wavefront_size: 32
    .workgroup_processor_mode: 1
  - .args:
      - .offset:         0
        .size:           4
        .value_kind:     by_value
      - .address_space:  global
        .offset:         8
        .size:           8
        .value_kind:     global_buffer
      - .offset:         16
        .size:           8
        .value_kind:     by_value
      - .address_space:  global
        .offset:         24
        .size:           8
        .value_kind:     global_buffer
      - .offset:         32
        .size:           8
        .value_kind:     by_value
      - .offset:         40
        .size:           4
        .value_kind:     by_value
      - .offset:         48
        .size:           8
        .value_kind:     by_value
      - .address_space:  global
        .offset:         56
        .size:           8
        .value_kind:     global_buffer
      - .offset:         64
        .size:           8
        .value_kind:     by_value
      - .offset:         72
        .size:           4
        .value_kind:     by_value
      - .offset:         80
        .size:           8
        .value_kind:     by_value
      - .address_space:  global
        .offset:         88
        .size:           8
        .value_kind:     global_buffer
      - .offset:         96
        .size:           8
        .value_kind:     by_value
      - .address_space:  global
        .offset:         104
        .size:           8
        .value_kind:     global_buffer
      - .offset:         112
        .size:           4
        .value_kind:     by_value
      - .offset:         120
        .size:           4
        .value_kind:     hidden_block_count_x
      - .offset:         124
        .size:           4
        .value_kind:     hidden_block_count_y
      - .offset:         128
        .size:           4
        .value_kind:     hidden_block_count_z
      - .offset:         132
        .size:           2
        .value_kind:     hidden_group_size_x
      - .offset:         134
        .size:           2
        .value_kind:     hidden_group_size_y
      - .offset:         136
        .size:           2
        .value_kind:     hidden_group_size_z
      - .offset:         138
        .size:           2
        .value_kind:     hidden_remainder_x
      - .offset:         140
        .size:           2
        .value_kind:     hidden_remainder_y
      - .offset:         142
        .size:           2
        .value_kind:     hidden_remainder_z
      - .offset:         160
        .size:           8
        .value_kind:     hidden_global_offset_x
      - .offset:         168
        .size:           8
        .value_kind:     hidden_global_offset_y
      - .offset:         176
        .size:           8
        .value_kind:     hidden_global_offset_z
      - .offset:         184
        .size:           2
        .value_kind:     hidden_grid_dims
    .group_segment_fixed_size: 19200
    .kernarg_segment_align: 8
    .kernarg_segment_size: 376
    .language:       OpenCL C
    .language_version:
      - 2
      - 0
    .max_flat_workgroup_size: 256
    .name:           _ZL26rocblas_hemvn_kernel_lowerILb1ELi64ELi4ELi33ELi32ELi16EiPK19rocblas_complex_numIdES3_PS1_EviT6_lT7_lT5_lS6_lS7_lS5_lT8_i
    .private_segment_fixed_size: 0
    .sgpr_count:     32
    .sgpr_spill_count: 0
    .symbol:         _ZL26rocblas_hemvn_kernel_lowerILb1ELi64ELi4ELi33ELi32ELi16EiPK19rocblas_complex_numIdES3_PS1_EviT6_lT7_lT5_lS6_lS7_lS5_lT8_i.kd
    .uniform_work_group_size: 1
    .uses_dynamic_stack: false
    .vgpr_count:     209
    .vgpr_spill_count: 0
    .wavefront_size: 32
    .workgroup_processor_mode: 1
  - .args:
      - .offset:         0
        .size:           4
        .value_kind:     by_value
      - .address_space:  global
        .offset:         8
        .size:           8
        .value_kind:     global_buffer
      - .offset:         16
        .size:           8
        .value_kind:     by_value
      - .address_space:  global
        .offset:         24
        .size:           8
        .value_kind:     global_buffer
      - .offset:         32
        .size:           8
        .value_kind:     by_value
      - .address_space:  global
        .offset:         40
        .size:           8
        .value_kind:     global_buffer
      - .offset:         48
        .size:           8
        .value_kind:     by_value
      - .offset:         56
        .size:           4
        .value_kind:     by_value
      - .offset:         64
        .size:           8
        .value_kind:     by_value
      - .actual_access:  read_only
        .address_space:  global
        .offset:         72
        .size:           8
        .value_kind:     global_buffer
      - .offset:         80
        .size:           4
        .value_kind:     by_value
      - .offset:         88
        .size:           4
        .value_kind:     hidden_block_count_x
      - .offset:         92
        .size:           4
        .value_kind:     hidden_block_count_y
      - .offset:         96
        .size:           4
        .value_kind:     hidden_block_count_z
      - .offset:         100
        .size:           2
        .value_kind:     hidden_group_size_x
      - .offset:         102
        .size:           2
        .value_kind:     hidden_group_size_y
      - .offset:         104
        .size:           2
        .value_kind:     hidden_group_size_z
      - .offset:         106
        .size:           2
        .value_kind:     hidden_remainder_x
      - .offset:         108
        .size:           2
        .value_kind:     hidden_remainder_y
      - .offset:         110
        .size:           2
        .value_kind:     hidden_remainder_z
      - .offset:         128
        .size:           8
        .value_kind:     hidden_global_offset_x
      - .offset:         136
        .size:           8
        .value_kind:     hidden_global_offset_y
      - .offset:         144
        .size:           8
        .value_kind:     hidden_global_offset_z
      - .offset:         152
        .size:           2
        .value_kind:     hidden_grid_dims
    .group_segment_fixed_size: 0
    .kernarg_segment_align: 8
    .kernarg_segment_size: 344
    .language:       OpenCL C
    .language_version:
      - 2
      - 0
    .max_flat_workgroup_size: 64
    .name:           _ZL36rocblas_hemvn_kernel_lower_block_sumILi64EiPK19rocblas_complex_numIdEPS1_S1_EviT1_lS5_lT2_lT0_lPT3_i
    .private_segment_fixed_size: 0
    .sgpr_count:     26
    .sgpr_spill_count: 0
    .symbol:         _ZL36rocblas_hemvn_kernel_lower_block_sumILi64EiPK19rocblas_complex_numIdEPS1_S1_EviT1_lS5_lT2_lT0_lPT3_i.kd
    .uniform_work_group_size: 1
    .uses_dynamic_stack: false
    .vgpr_count:     13
    .vgpr_spill_count: 0
    .wavefront_size: 32
    .workgroup_processor_mode: 1
  - .args:
      - .offset:         0
        .size:           4
        .value_kind:     by_value
      - .offset:         8
        .size:           16
        .value_kind:     by_value
      - .offset:         24
        .size:           8
        .value_kind:     by_value
      - .address_space:  global
        .offset:         32
        .size:           8
        .value_kind:     global_buffer
      - .offset:         40
        .size:           8
        .value_kind:     by_value
      - .offset:         48
        .size:           8
        .value_kind:     by_value
      - .offset:         56
        .size:           8
        .value_kind:     by_value
      - .address_space:  global
        .offset:         64
        .size:           8
        .value_kind:     global_buffer
      - .offset:         72
        .size:           8
        .value_kind:     by_value
      - .offset:         80
        .size:           8
        .value_kind:     by_value
      - .offset:         88
        .size:           8
        .value_kind:     by_value
      - .offset:         96
        .size:           16
        .value_kind:     by_value
      - .offset:         112
        .size:           8
        .value_kind:     by_value
      - .address_space:  global
        .offset:         120
        .size:           8
        .value_kind:     global_buffer
      - .offset:         128
        .size:           4
        .value_kind:     by_value
      - .offset:         136
        .size:           4
        .value_kind:     hidden_block_count_x
      - .offset:         140
        .size:           4
        .value_kind:     hidden_block_count_y
      - .offset:         144
        .size:           4
        .value_kind:     hidden_block_count_z
      - .offset:         148
        .size:           2
        .value_kind:     hidden_group_size_x
      - .offset:         150
        .size:           2
        .value_kind:     hidden_group_size_y
      - .offset:         152
        .size:           2
        .value_kind:     hidden_group_size_z
      - .offset:         154
        .size:           2
        .value_kind:     hidden_remainder_x
      - .offset:         156
        .size:           2
        .value_kind:     hidden_remainder_y
      - .offset:         158
        .size:           2
        .value_kind:     hidden_remainder_z
      - .offset:         176
        .size:           8
        .value_kind:     hidden_global_offset_x
      - .offset:         184
        .size:           8
        .value_kind:     hidden_global_offset_y
      - .offset:         192
        .size:           8
        .value_kind:     hidden_global_offset_z
      - .offset:         200
        .size:           2
        .value_kind:     hidden_grid_dims
    .group_segment_fixed_size: 19200
    .kernarg_segment_align: 8
    .kernarg_segment_size: 392
    .language:       OpenCL C
    .language_version:
      - 2
      - 0
    .max_flat_workgroup_size: 256
    .name:           _ZL26rocblas_hemvn_kernel_lowerILb1ELi64ELi4ELi33ELi32ELi16El19rocblas_complex_numIdEPKS1_PS1_EviT6_lT7_lT5_lS6_lS7_lS5_lT8_i
    .private_segment_fixed_size: 0
    .sgpr_count:     34
    .sgpr_spill_count: 0
    .symbol:         _ZL26rocblas_hemvn_kernel_lowerILb1ELi64ELi4ELi33ELi32ELi16El19rocblas_complex_numIdEPKS1_PS1_EviT6_lT7_lT5_lS6_lS7_lS5_lT8_i.kd
    .uniform_work_group_size: 1
    .uses_dynamic_stack: false
    .vgpr_count:     179
    .vgpr_spill_count: 0
    .wavefront_size: 32
    .workgroup_processor_mode: 1
  - .args:
      - .offset:         0
        .size:           4
        .value_kind:     by_value
      - .offset:         8
        .size:           16
        .value_kind:     by_value
      - .offset:         24
        .size:           8
        .value_kind:     by_value
      - .offset:         32
        .size:           16
        .value_kind:     by_value
      - .offset:         48
        .size:           8
        .value_kind:     by_value
      - .address_space:  global
        .offset:         56
        .size:           8
        .value_kind:     global_buffer
      - .offset:         64
        .size:           8
        .value_kind:     by_value
      - .offset:         72
        .size:           8
        .value_kind:     by_value
      - .offset:         80
        .size:           8
        .value_kind:     by_value
      - .actual_access:  read_only
        .address_space:  global
        .offset:         88
        .size:           8
        .value_kind:     global_buffer
      - .offset:         96
        .size:           4
        .value_kind:     by_value
      - .offset:         104
        .size:           4
        .value_kind:     hidden_block_count_x
      - .offset:         108
        .size:           4
        .value_kind:     hidden_block_count_y
      - .offset:         112
        .size:           4
        .value_kind:     hidden_block_count_z
      - .offset:         116
        .size:           2
        .value_kind:     hidden_group_size_x
      - .offset:         118
        .size:           2
        .value_kind:     hidden_group_size_y
      - .offset:         120
        .size:           2
        .value_kind:     hidden_group_size_z
      - .offset:         122
        .size:           2
        .value_kind:     hidden_remainder_x
      - .offset:         124
        .size:           2
        .value_kind:     hidden_remainder_y
      - .offset:         126
        .size:           2
        .value_kind:     hidden_remainder_z
      - .offset:         144
        .size:           8
        .value_kind:     hidden_global_offset_x
      - .offset:         152
        .size:           8
        .value_kind:     hidden_global_offset_y
      - .offset:         160
        .size:           8
        .value_kind:     hidden_global_offset_z
      - .offset:         168
        .size:           2
        .value_kind:     hidden_grid_dims
    .group_segment_fixed_size: 0
    .kernarg_segment_align: 8
    .kernarg_segment_size: 360
    .language:       OpenCL C
    .language_version:
      - 2
      - 0
    .max_flat_workgroup_size: 64
    .name:           _ZL36rocblas_hemvn_kernel_lower_block_sumILi64El19rocblas_complex_numIdEPS1_S1_EviT1_lS3_lT2_lT0_lPT3_i
    .private_segment_fixed_size: 0
    .sgpr_count:     26
    .sgpr_spill_count: 0
    .symbol:         _ZL36rocblas_hemvn_kernel_lower_block_sumILi64El19rocblas_complex_numIdEPS1_S1_EviT1_lS3_lT2_lT0_lPT3_i.kd
    .uniform_work_group_size: 1
    .uses_dynamic_stack: false
    .vgpr_count:     13
    .vgpr_spill_count: 0
    .wavefront_size: 32
    .workgroup_processor_mode: 1
  - .args:
      - .offset:         0
        .size:           4
        .value_kind:     by_value
      - .offset:         8
        .size:           16
        .value_kind:     by_value
      - .offset:         24
        .size:           8
        .value_kind:     by_value
      - .address_space:  global
        .offset:         32
        .size:           8
        .value_kind:     global_buffer
      - .offset:         40
        .size:           8
        .value_kind:     by_value
      - .offset:         48
        .size:           4
        .value_kind:     by_value
      - .offset:         56
        .size:           8
        .value_kind:     by_value
      - .address_space:  global
        .offset:         64
        .size:           8
        .value_kind:     global_buffer
      - .offset:         72
        .size:           8
        .value_kind:     by_value
      - .offset:         80
        .size:           4
        .value_kind:     by_value
      - .offset:         88
        .size:           8
        .value_kind:     by_value
      - .offset:         96
        .size:           16
        .value_kind:     by_value
      - .offset:         112
        .size:           8
        .value_kind:     by_value
      - .address_space:  global
        .offset:         120
        .size:           8
        .value_kind:     global_buffer
      - .offset:         128
        .size:           4
        .value_kind:     by_value
      - .offset:         136
        .size:           4
        .value_kind:     hidden_block_count_x
      - .offset:         140
        .size:           4
        .value_kind:     hidden_block_count_y
      - .offset:         144
        .size:           4
        .value_kind:     hidden_block_count_z
      - .offset:         148
        .size:           2
        .value_kind:     hidden_group_size_x
      - .offset:         150
        .size:           2
        .value_kind:     hidden_group_size_y
      - .offset:         152
        .size:           2
        .value_kind:     hidden_group_size_z
      - .offset:         154
        .size:           2
        .value_kind:     hidden_remainder_x
      - .offset:         156
        .size:           2
        .value_kind:     hidden_remainder_y
      - .offset:         158
        .size:           2
        .value_kind:     hidden_remainder_z
      - .offset:         176
        .size:           8
        .value_kind:     hidden_global_offset_x
      - .offset:         184
        .size:           8
        .value_kind:     hidden_global_offset_y
      - .offset:         192
        .size:           8
        .value_kind:     hidden_global_offset_z
      - .offset:         200
        .size:           2
        .value_kind:     hidden_grid_dims
    .group_segment_fixed_size: 19200
    .kernarg_segment_align: 8
    .kernarg_segment_size: 392
    .language:       OpenCL C
    .language_version:
      - 2
      - 0
    .max_flat_workgroup_size: 256
    .name:           _ZL26rocblas_hemvn_kernel_lowerILb1ELi64ELi4ELi33ELi32ELi16Ei19rocblas_complex_numIdEPKS1_PS1_EviT6_lT7_lT5_lS6_lS7_lS5_lT8_i
    .private_segment_fixed_size: 0
    .sgpr_count:     32
    .sgpr_spill_count: 0
    .symbol:         _ZL26rocblas_hemvn_kernel_lowerILb1ELi64ELi4ELi33ELi32ELi16Ei19rocblas_complex_numIdEPKS1_PS1_EviT6_lT7_lT5_lS6_lS7_lS5_lT8_i.kd
    .uniform_work_group_size: 1
    .uses_dynamic_stack: false
    .vgpr_count:     209
    .vgpr_spill_count: 0
    .wavefront_size: 32
    .workgroup_processor_mode: 1
  - .args:
      - .offset:         0
        .size:           4
        .value_kind:     by_value
      - .offset:         8
        .size:           16
        .value_kind:     by_value
      - .offset:         24
        .size:           8
        .value_kind:     by_value
      - .offset:         32
        .size:           16
        .value_kind:     by_value
      - .offset:         48
        .size:           8
        .value_kind:     by_value
      - .address_space:  global
        .offset:         56
        .size:           8
        .value_kind:     global_buffer
      - .offset:         64
        .size:           8
        .value_kind:     by_value
      - .offset:         72
        .size:           4
        .value_kind:     by_value
      - .offset:         80
        .size:           8
        .value_kind:     by_value
      - .actual_access:  read_only
        .address_space:  global
        .offset:         88
        .size:           8
        .value_kind:     global_buffer
      - .offset:         96
        .size:           4
        .value_kind:     by_value
      - .offset:         104
        .size:           4
        .value_kind:     hidden_block_count_x
      - .offset:         108
        .size:           4
        .value_kind:     hidden_block_count_y
      - .offset:         112
        .size:           4
        .value_kind:     hidden_block_count_z
      - .offset:         116
        .size:           2
        .value_kind:     hidden_group_size_x
      - .offset:         118
        .size:           2
        .value_kind:     hidden_group_size_y
      - .offset:         120
        .size:           2
        .value_kind:     hidden_group_size_z
      - .offset:         122
        .size:           2
        .value_kind:     hidden_remainder_x
      - .offset:         124
        .size:           2
        .value_kind:     hidden_remainder_y
      - .offset:         126
        .size:           2
        .value_kind:     hidden_remainder_z
      - .offset:         144
        .size:           8
        .value_kind:     hidden_global_offset_x
      - .offset:         152
        .size:           8
        .value_kind:     hidden_global_offset_y
      - .offset:         160
        .size:           8
        .value_kind:     hidden_global_offset_z
      - .offset:         168
        .size:           2
        .value_kind:     hidden_grid_dims
    .group_segment_fixed_size: 0
    .kernarg_segment_align: 8
    .kernarg_segment_size: 360
    .language:       OpenCL C
    .language_version:
      - 2
      - 0
    .max_flat_workgroup_size: 64
    .name:           _ZL36rocblas_hemvn_kernel_lower_block_sumILi64Ei19rocblas_complex_numIdEPS1_S1_EviT1_lS3_lT2_lT0_lPT3_i
    .private_segment_fixed_size: 0
    .sgpr_count:     26
    .sgpr_spill_count: 0
    .symbol:         _ZL36rocblas_hemvn_kernel_lower_block_sumILi64Ei19rocblas_complex_numIdEPS1_S1_EviT1_lS3_lT2_lT0_lPT3_i.kd
    .uniform_work_group_size: 1
    .uses_dynamic_stack: false
    .vgpr_count:     13
    .vgpr_spill_count: 0
    .wavefront_size: 32
    .workgroup_processor_mode: 1
  - .args:
      - .offset:         0
        .size:           4
        .value_kind:     by_value
      - .address_space:  global
        .offset:         8
        .size:           8
        .value_kind:     global_buffer
      - .offset:         16
        .size:           8
        .value_kind:     by_value
      - .address_space:  global
        .offset:         24
        .size:           8
        .value_kind:     global_buffer
      - .offset:         32
        .size:           8
        .value_kind:     by_value
      - .offset:         40
        .size:           8
        .value_kind:     by_value
      - .offset:         48
        .size:           8
        .value_kind:     by_value
      - .address_space:  global
        .offset:         56
        .size:           8
        .value_kind:     global_buffer
      - .offset:         64
        .size:           8
        .value_kind:     by_value
      - .offset:         72
        .size:           8
        .value_kind:     by_value
      - .offset:         80
        .size:           8
        .value_kind:     by_value
      - .address_space:  global
        .offset:         88
        .size:           8
        .value_kind:     global_buffer
      - .offset:         96
        .size:           8
        .value_kind:     by_value
      - .address_space:  global
        .offset:         104
        .size:           8
        .value_kind:     global_buffer
      - .offset:         112
        .size:           4
        .value_kind:     by_value
      - .offset:         120
        .size:           4
        .value_kind:     hidden_block_count_x
      - .offset:         124
        .size:           4
        .value_kind:     hidden_block_count_y
      - .offset:         128
        .size:           4
        .value_kind:     hidden_block_count_z
      - .offset:         132
        .size:           2
        .value_kind:     hidden_group_size_x
      - .offset:         134
        .size:           2
        .value_kind:     hidden_group_size_y
      - .offset:         136
        .size:           2
        .value_kind:     hidden_group_size_z
      - .offset:         138
        .size:           2
        .value_kind:     hidden_remainder_x
      - .offset:         140
        .size:           2
        .value_kind:     hidden_remainder_y
      - .offset:         142
        .size:           2
        .value_kind:     hidden_remainder_z
      - .offset:         160
        .size:           8
        .value_kind:     hidden_global_offset_x
      - .offset:         168
        .size:           8
        .value_kind:     hidden_global_offset_y
      - .offset:         176
        .size:           8
        .value_kind:     hidden_global_offset_z
      - .offset:         184
        .size:           2
        .value_kind:     hidden_grid_dims
    .group_segment_fixed_size: 9600
    .kernarg_segment_align: 8
    .kernarg_segment_size: 376
    .language:       OpenCL C
    .language_version:
      - 2
      - 0
    .max_flat_workgroup_size: 256
    .name:           _ZL26rocblas_hemvn_kernel_upperILb1ELi64ELi4ELi33ELi32ELi16ElPK19rocblas_complex_numIfEPKS3_PS1_EviT6_lT7_lT5_lS8_lS9_lS7_lT8_i
    .private_segment_fixed_size: 0
    .sgpr_count:     32
    .sgpr_spill_count: 0
    .symbol:         _ZL26rocblas_hemvn_kernel_upperILb1ELi64ELi4ELi33ELi32ELi16ElPK19rocblas_complex_numIfEPKS3_PS1_EviT6_lT7_lT5_lS8_lS9_lS7_lT8_i.kd
    .uniform_work_group_size: 1
    .uses_dynamic_stack: false
    .vgpr_count:     160
    .vgpr_spill_count: 0
    .wavefront_size: 32
    .workgroup_processor_mode: 1
  - .args:
      - .offset:         0
        .size:           4
        .value_kind:     by_value
      - .address_space:  global
        .offset:         8
        .size:           8
        .value_kind:     global_buffer
      - .offset:         16
        .size:           8
        .value_kind:     by_value
      - .address_space:  global
        .offset:         24
        .size:           8
        .value_kind:     global_buffer
      - .offset:         32
        .size:           8
        .value_kind:     by_value
      - .actual_access:  read_only
        .address_space:  global
        .offset:         40
        .size:           8
        .value_kind:     global_buffer
      - .offset:         48
        .size:           8
        .value_kind:     by_value
      - .offset:         56
        .size:           8
        .value_kind:     by_value
      - .offset:         64
        .size:           8
        .value_kind:     by_value
      - .address_space:  global
        .offset:         72
        .size:           8
        .value_kind:     global_buffer
      - .offset:         80
        .size:           4
        .value_kind:     by_value
      - .offset:         88
        .size:           4
        .value_kind:     hidden_block_count_x
      - .offset:         92
        .size:           4
        .value_kind:     hidden_block_count_y
      - .offset:         96
        .size:           4
        .value_kind:     hidden_block_count_z
      - .offset:         100
        .size:           2
        .value_kind:     hidden_group_size_x
      - .offset:         102
        .size:           2
        .value_kind:     hidden_group_size_y
      - .offset:         104
        .size:           2
        .value_kind:     hidden_group_size_z
      - .offset:         106
        .size:           2
        .value_kind:     hidden_remainder_x
      - .offset:         108
        .size:           2
        .value_kind:     hidden_remainder_y
      - .offset:         110
        .size:           2
        .value_kind:     hidden_remainder_z
      - .offset:         128
        .size:           8
        .value_kind:     hidden_global_offset_x
      - .offset:         136
        .size:           8
        .value_kind:     hidden_global_offset_y
      - .offset:         144
        .size:           8
        .value_kind:     hidden_global_offset_z
      - .offset:         152
        .size:           2
        .value_kind:     hidden_grid_dims
    .group_segment_fixed_size: 0
    .kernarg_segment_align: 8
    .kernarg_segment_size: 344
    .language:       OpenCL C
    .language_version:
      - 2
      - 0
    .max_flat_workgroup_size: 64
    .name:           _ZL36rocblas_hemvn_kernel_upper_block_sumILi64ElPK19rocblas_complex_numIfEPKPS1_S1_EviT1_lS7_lT2_lT0_lPT3_i
    .private_segment_fixed_size: 0
    .sgpr_count:     26
    .sgpr_spill_count: 0
    .symbol:         _ZL36rocblas_hemvn_kernel_upper_block_sumILi64ElPK19rocblas_complex_numIfEPKPS1_S1_EviT1_lS7_lT2_lT0_lPT3_i.kd
    .uniform_work_group_size: 1
    .uses_dynamic_stack: false
    .vgpr_count:     8
    .vgpr_spill_count: 0
    .wavefront_size: 32
    .workgroup_processor_mode: 1
  - .args:
      - .offset:         0
        .size:           4
        .value_kind:     by_value
      - .address_space:  global
        .offset:         8
        .size:           8
        .value_kind:     global_buffer
      - .offset:         16
        .size:           8
        .value_kind:     by_value
      - .address_space:  global
        .offset:         24
        .size:           8
        .value_kind:     global_buffer
      - .offset:         32
        .size:           8
        .value_kind:     by_value
      - .offset:         40
        .size:           4
        .value_kind:     by_value
      - .offset:         48
        .size:           8
        .value_kind:     by_value
      - .address_space:  global
        .offset:         56
        .size:           8
        .value_kind:     global_buffer
      - .offset:         64
        .size:           8
        .value_kind:     by_value
      - .offset:         72
        .size:           4
        .value_kind:     by_value
      - .offset:         80
        .size:           8
        .value_kind:     by_value
      - .address_space:  global
        .offset:         88
        .size:           8
        .value_kind:     global_buffer
      - .offset:         96
        .size:           8
        .value_kind:     by_value
      - .address_space:  global
        .offset:         104
        .size:           8
        .value_kind:     global_buffer
      - .offset:         112
        .size:           4
        .value_kind:     by_value
      - .offset:         120
        .size:           4
        .value_kind:     hidden_block_count_x
      - .offset:         124
        .size:           4
        .value_kind:     hidden_block_count_y
      - .offset:         128
        .size:           4
        .value_kind:     hidden_block_count_z
      - .offset:         132
        .size:           2
        .value_kind:     hidden_group_size_x
      - .offset:         134
        .size:           2
        .value_kind:     hidden_group_size_y
      - .offset:         136
        .size:           2
        .value_kind:     hidden_group_size_z
      - .offset:         138
        .size:           2
        .value_kind:     hidden_remainder_x
      - .offset:         140
        .size:           2
        .value_kind:     hidden_remainder_y
      - .offset:         142
        .size:           2
        .value_kind:     hidden_remainder_z
      - .offset:         160
        .size:           8
        .value_kind:     hidden_global_offset_x
      - .offset:         168
        .size:           8
        .value_kind:     hidden_global_offset_y
      - .offset:         176
        .size:           8
        .value_kind:     hidden_global_offset_z
      - .offset:         184
        .size:           2
        .value_kind:     hidden_grid_dims
    .group_segment_fixed_size: 9600
    .kernarg_segment_align: 8
    .kernarg_segment_size: 376
    .language:       OpenCL C
    .language_version:
      - 2
      - 0
    .max_flat_workgroup_size: 256
    .name:           _ZL26rocblas_hemvn_kernel_upperILb1ELi64ELi4ELi33ELi32ELi16EiPK19rocblas_complex_numIfEPKS3_PS1_EviT6_lT7_lT5_lS8_lS9_lS7_lT8_i
    .private_segment_fixed_size: 0
    .sgpr_count:     39
    .sgpr_spill_count: 0
    .symbol:         _ZL26rocblas_hemvn_kernel_upperILb1ELi64ELi4ELi33ELi32ELi16EiPK19rocblas_complex_numIfEPKS3_PS1_EviT6_lT7_lT5_lS8_lS9_lS7_lT8_i.kd
    .uniform_work_group_size: 1
    .uses_dynamic_stack: false
    .vgpr_count:     161
    .vgpr_spill_count: 0
    .wavefront_size: 32
    .workgroup_processor_mode: 1
  - .args:
      - .offset:         0
        .size:           4
        .value_kind:     by_value
      - .address_space:  global
        .offset:         8
        .size:           8
        .value_kind:     global_buffer
      - .offset:         16
        .size:           8
        .value_kind:     by_value
      - .address_space:  global
        .offset:         24
        .size:           8
        .value_kind:     global_buffer
      - .offset:         32
        .size:           8
        .value_kind:     by_value
      - .actual_access:  read_only
        .address_space:  global
        .offset:         40
        .size:           8
        .value_kind:     global_buffer
      - .offset:         48
        .size:           8
        .value_kind:     by_value
      - .offset:         56
        .size:           4
        .value_kind:     by_value
      - .offset:         64
        .size:           8
        .value_kind:     by_value
      - .address_space:  global
        .offset:         72
        .size:           8
        .value_kind:     global_buffer
      - .offset:         80
        .size:           4
        .value_kind:     by_value
      - .offset:         88
        .size:           4
        .value_kind:     hidden_block_count_x
      - .offset:         92
        .size:           4
        .value_kind:     hidden_block_count_y
      - .offset:         96
        .size:           4
        .value_kind:     hidden_block_count_z
      - .offset:         100
        .size:           2
        .value_kind:     hidden_group_size_x
      - .offset:         102
        .size:           2
        .value_kind:     hidden_group_size_y
      - .offset:         104
        .size:           2
        .value_kind:     hidden_group_size_z
      - .offset:         106
        .size:           2
        .value_kind:     hidden_remainder_x
      - .offset:         108
        .size:           2
        .value_kind:     hidden_remainder_y
      - .offset:         110
        .size:           2
        .value_kind:     hidden_remainder_z
      - .offset:         128
        .size:           8
        .value_kind:     hidden_global_offset_x
      - .offset:         136
        .size:           8
        .value_kind:     hidden_global_offset_y
      - .offset:         144
        .size:           8
        .value_kind:     hidden_global_offset_z
      - .offset:         152
        .size:           2
        .value_kind:     hidden_grid_dims
    .group_segment_fixed_size: 0
    .kernarg_segment_align: 8
    .kernarg_segment_size: 344
    .language:       OpenCL C
    .language_version:
      - 2
      - 0
    .max_flat_workgroup_size: 64
    .name:           _ZL36rocblas_hemvn_kernel_upper_block_sumILi64EiPK19rocblas_complex_numIfEPKPS1_S1_EviT1_lS7_lT2_lT0_lPT3_i
    .private_segment_fixed_size: 0
    .sgpr_count:     24
    .sgpr_spill_count: 0
    .symbol:         _ZL36rocblas_hemvn_kernel_upper_block_sumILi64EiPK19rocblas_complex_numIfEPKPS1_S1_EviT1_lS7_lT2_lT0_lPT3_i.kd
    .uniform_work_group_size: 1
    .uses_dynamic_stack: false
    .vgpr_count:     7
    .vgpr_spill_count: 0
    .wavefront_size: 32
    .workgroup_processor_mode: 1
  - .args:
      - .offset:         0
        .size:           4
        .value_kind:     by_value
      - .offset:         4
        .size:           8
        .value_kind:     by_value
      - .offset:         16
        .size:           8
        .value_kind:     by_value
      - .address_space:  global
        .offset:         24
        .size:           8
        .value_kind:     global_buffer
      - .offset:         32
        .size:           8
        .value_kind:     by_value
      - .offset:         40
        .size:           8
        .value_kind:     by_value
      - .offset:         48
        .size:           8
        .value_kind:     by_value
      - .address_space:  global
        .offset:         56
        .size:           8
        .value_kind:     global_buffer
      - .offset:         64
        .size:           8
        .value_kind:     by_value
      - .offset:         72
        .size:           8
        .value_kind:     by_value
      - .offset:         80
        .size:           8
        .value_kind:     by_value
      - .offset:         88
        .size:           8
        .value_kind:     by_value
      - .offset:         96
        .size:           8
        .value_kind:     by_value
      - .address_space:  global
        .offset:         104
        .size:           8
        .value_kind:     global_buffer
      - .offset:         112
        .size:           4
        .value_kind:     by_value
      - .offset:         120
        .size:           4
        .value_kind:     hidden_block_count_x
      - .offset:         124
        .size:           4
        .value_kind:     hidden_block_count_y
      - .offset:         128
        .size:           4
        .value_kind:     hidden_block_count_z
      - .offset:         132
        .size:           2
        .value_kind:     hidden_group_size_x
      - .offset:         134
        .size:           2
        .value_kind:     hidden_group_size_y
      - .offset:         136
        .size:           2
        .value_kind:     hidden_group_size_z
      - .offset:         138
        .size:           2
        .value_kind:     hidden_remainder_x
      - .offset:         140
        .size:           2
        .value_kind:     hidden_remainder_y
      - .offset:         142
        .size:           2
        .value_kind:     hidden_remainder_z
      - .offset:         160
        .size:           8
        .value_kind:     hidden_global_offset_x
      - .offset:         168
        .size:           8
        .value_kind:     hidden_global_offset_y
      - .offset:         176
        .size:           8
        .value_kind:     hidden_global_offset_z
      - .offset:         184
        .size:           2
        .value_kind:     hidden_grid_dims
    .group_segment_fixed_size: 9600
    .kernarg_segment_align: 8
    .kernarg_segment_size: 376
    .language:       OpenCL C
    .language_version:
      - 2
      - 0
    .max_flat_workgroup_size: 256
    .name:           _ZL26rocblas_hemvn_kernel_upperILb1ELi64ELi4ELi33ELi32ELi16El19rocblas_complex_numIfEPKPKS1_PS1_EviT6_lT7_lT5_lS8_lS9_lS7_lT8_i
    .private_segment_fixed_size: 0
    .sgpr_count:     32
    .sgpr_spill_count: 0
    .symbol:         _ZL26rocblas_hemvn_kernel_upperILb1ELi64ELi4ELi33ELi32ELi16El19rocblas_complex_numIfEPKPKS1_PS1_EviT6_lT7_lT5_lS8_lS9_lS7_lT8_i.kd
    .uniform_work_group_size: 1
    .uses_dynamic_stack: false
    .vgpr_count:     160
    .vgpr_spill_count: 0
    .wavefront_size: 32
    .workgroup_processor_mode: 1
  - .args:
      - .offset:         0
        .size:           4
        .value_kind:     by_value
      - .offset:         4
        .size:           8
        .value_kind:     by_value
      - .offset:         16
        .size:           8
        .value_kind:     by_value
      - .offset:         24
        .size:           8
        .value_kind:     by_value
      - .offset:         32
        .size:           8
        .value_kind:     by_value
      - .actual_access:  read_only
        .address_space:  global
        .offset:         40
        .size:           8
        .value_kind:     global_buffer
      - .offset:         48
        .size:           8
        .value_kind:     by_value
      - .offset:         56
        .size:           8
        .value_kind:     by_value
      - .offset:         64
        .size:           8
        .value_kind:     by_value
      - .address_space:  global
        .offset:         72
        .size:           8
        .value_kind:     global_buffer
      - .offset:         80
        .size:           4
        .value_kind:     by_value
      - .offset:         88
        .size:           4
        .value_kind:     hidden_block_count_x
      - .offset:         92
        .size:           4
        .value_kind:     hidden_block_count_y
      - .offset:         96
        .size:           4
        .value_kind:     hidden_block_count_z
      - .offset:         100
        .size:           2
        .value_kind:     hidden_group_size_x
      - .offset:         102
        .size:           2
        .value_kind:     hidden_group_size_y
      - .offset:         104
        .size:           2
        .value_kind:     hidden_group_size_z
      - .offset:         106
        .size:           2
        .value_kind:     hidden_remainder_x
      - .offset:         108
        .size:           2
        .value_kind:     hidden_remainder_y
      - .offset:         110
        .size:           2
        .value_kind:     hidden_remainder_z
      - .offset:         128
        .size:           8
        .value_kind:     hidden_global_offset_x
      - .offset:         136
        .size:           8
        .value_kind:     hidden_global_offset_y
      - .offset:         144
        .size:           8
        .value_kind:     hidden_global_offset_z
      - .offset:         152
        .size:           2
        .value_kind:     hidden_grid_dims
    .group_segment_fixed_size: 0
    .kernarg_segment_align: 8
    .kernarg_segment_size: 344
    .language:       OpenCL C
    .language_version:
      - 2
      - 0
    .max_flat_workgroup_size: 64
    .name:           _ZL36rocblas_hemvn_kernel_upper_block_sumILi64El19rocblas_complex_numIfEPKPS1_S1_EviT1_lS5_lT2_lT0_lPT3_i
    .private_segment_fixed_size: 0
    .sgpr_count:     24
    .sgpr_spill_count: 0
    .symbol:         _ZL36rocblas_hemvn_kernel_upper_block_sumILi64El19rocblas_complex_numIfEPKPS1_S1_EviT1_lS5_lT2_lT0_lPT3_i.kd
    .uniform_work_group_size: 1
    .uses_dynamic_stack: false
    .vgpr_count:     8
    .vgpr_spill_count: 0
    .wavefront_size: 32
    .workgroup_processor_mode: 1
  - .args:
      - .offset:         0
        .size:           4
        .value_kind:     by_value
      - .offset:         4
        .size:           8
        .value_kind:     by_value
      - .offset:         16
        .size:           8
        .value_kind:     by_value
      - .address_space:  global
        .offset:         24
        .size:           8
        .value_kind:     global_buffer
      - .offset:         32
        .size:           8
        .value_kind:     by_value
      - .offset:         40
        .size:           4
        .value_kind:     by_value
      - .offset:         48
        .size:           8
        .value_kind:     by_value
      - .address_space:  global
        .offset:         56
        .size:           8
        .value_kind:     global_buffer
      - .offset:         64
        .size:           8
        .value_kind:     by_value
      - .offset:         72
        .size:           4
        .value_kind:     by_value
      - .offset:         80
        .size:           8
        .value_kind:     by_value
      - .offset:         88
        .size:           8
        .value_kind:     by_value
      - .offset:         96
        .size:           8
        .value_kind:     by_value
      - .address_space:  global
        .offset:         104
        .size:           8
        .value_kind:     global_buffer
      - .offset:         112
        .size:           4
        .value_kind:     by_value
      - .offset:         120
        .size:           4
        .value_kind:     hidden_block_count_x
      - .offset:         124
        .size:           4
        .value_kind:     hidden_block_count_y
      - .offset:         128
        .size:           4
        .value_kind:     hidden_block_count_z
      - .offset:         132
        .size:           2
        .value_kind:     hidden_group_size_x
      - .offset:         134
        .size:           2
        .value_kind:     hidden_group_size_y
      - .offset:         136
        .size:           2
        .value_kind:     hidden_group_size_z
      - .offset:         138
        .size:           2
        .value_kind:     hidden_remainder_x
      - .offset:         140
        .size:           2
        .value_kind:     hidden_remainder_y
      - .offset:         142
        .size:           2
        .value_kind:     hidden_remainder_z
      - .offset:         160
        .size:           8
        .value_kind:     hidden_global_offset_x
      - .offset:         168
        .size:           8
        .value_kind:     hidden_global_offset_y
      - .offset:         176
        .size:           8
        .value_kind:     hidden_global_offset_z
      - .offset:         184
        .size:           2
        .value_kind:     hidden_grid_dims
    .group_segment_fixed_size: 9600
    .kernarg_segment_align: 8
    .kernarg_segment_size: 376
    .language:       OpenCL C
    .language_version:
      - 2
      - 0
    .max_flat_workgroup_size: 256
    .name:           _ZL26rocblas_hemvn_kernel_upperILb1ELi64ELi4ELi33ELi32ELi16Ei19rocblas_complex_numIfEPKPKS1_PS1_EviT6_lT7_lT5_lS8_lS9_lS7_lT8_i
    .private_segment_fixed_size: 0
    .sgpr_count:     39
    .sgpr_spill_count: 0
    .symbol:         _ZL26rocblas_hemvn_kernel_upperILb1ELi64ELi4ELi33ELi32ELi16Ei19rocblas_complex_numIfEPKPKS1_PS1_EviT6_lT7_lT5_lS8_lS9_lS7_lT8_i.kd
    .uniform_work_group_size: 1
    .uses_dynamic_stack: false
    .vgpr_count:     161
    .vgpr_spill_count: 0
    .wavefront_size: 32
    .workgroup_processor_mode: 1
  - .args:
      - .offset:         0
        .size:           4
        .value_kind:     by_value
      - .offset:         4
        .size:           8
        .value_kind:     by_value
      - .offset:         16
        .size:           8
        .value_kind:     by_value
      - .offset:         24
        .size:           8
        .value_kind:     by_value
      - .offset:         32
        .size:           8
        .value_kind:     by_value
      - .actual_access:  read_only
        .address_space:  global
        .offset:         40
        .size:           8
        .value_kind:     global_buffer
      - .offset:         48
        .size:           8
        .value_kind:     by_value
      - .offset:         56
        .size:           4
        .value_kind:     by_value
      - .offset:         64
        .size:           8
        .value_kind:     by_value
      - .address_space:  global
        .offset:         72
        .size:           8
        .value_kind:     global_buffer
      - .offset:         80
        .size:           4
        .value_kind:     by_value
      - .offset:         88
        .size:           4
        .value_kind:     hidden_block_count_x
      - .offset:         92
        .size:           4
        .value_kind:     hidden_block_count_y
      - .offset:         96
        .size:           4
        .value_kind:     hidden_block_count_z
      - .offset:         100
        .size:           2
        .value_kind:     hidden_group_size_x
      - .offset:         102
        .size:           2
        .value_kind:     hidden_group_size_y
      - .offset:         104
        .size:           2
        .value_kind:     hidden_group_size_z
      - .offset:         106
        .size:           2
        .value_kind:     hidden_remainder_x
      - .offset:         108
        .size:           2
        .value_kind:     hidden_remainder_y
      - .offset:         110
        .size:           2
        .value_kind:     hidden_remainder_z
      - .offset:         128
        .size:           8
        .value_kind:     hidden_global_offset_x
      - .offset:         136
        .size:           8
        .value_kind:     hidden_global_offset_y
      - .offset:         144
        .size:           8
        .value_kind:     hidden_global_offset_z
      - .offset:         152
        .size:           2
        .value_kind:     hidden_grid_dims
    .group_segment_fixed_size: 0
    .kernarg_segment_align: 8
    .kernarg_segment_size: 344
    .language:       OpenCL C
    .language_version:
      - 2
      - 0
    .max_flat_workgroup_size: 64
    .name:           _ZL36rocblas_hemvn_kernel_upper_block_sumILi64Ei19rocblas_complex_numIfEPKPS1_S1_EviT1_lS5_lT2_lT0_lPT3_i
    .private_segment_fixed_size: 0
    .sgpr_count:     22
    .sgpr_spill_count: 0
    .symbol:         _ZL36rocblas_hemvn_kernel_upper_block_sumILi64Ei19rocblas_complex_numIfEPKPS1_S1_EviT1_lS5_lT2_lT0_lPT3_i.kd
    .uniform_work_group_size: 1
    .uses_dynamic_stack: false
    .vgpr_count:     7
    .vgpr_spill_count: 0
    .wavefront_size: 32
    .workgroup_processor_mode: 1
  - .args:
      - .offset:         0
        .size:           4
        .value_kind:     by_value
      - .address_space:  global
        .offset:         8
        .size:           8
        .value_kind:     global_buffer
      - .offset:         16
        .size:           8
        .value_kind:     by_value
      - .address_space:  global
        .offset:         24
        .size:           8
        .value_kind:     global_buffer
      - .offset:         32
        .size:           8
        .value_kind:     by_value
      - .offset:         40
        .size:           8
        .value_kind:     by_value
      - .offset:         48
        .size:           8
        .value_kind:     by_value
      - .address_space:  global
        .offset:         56
        .size:           8
        .value_kind:     global_buffer
      - .offset:         64
        .size:           8
        .value_kind:     by_value
      - .offset:         72
        .size:           8
        .value_kind:     by_value
      - .offset:         80
        .size:           8
        .value_kind:     by_value
      - .address_space:  global
        .offset:         88
        .size:           8
        .value_kind:     global_buffer
      - .offset:         96
        .size:           8
        .value_kind:     by_value
      - .address_space:  global
        .offset:         104
        .size:           8
        .value_kind:     global_buffer
      - .offset:         112
        .size:           4
        .value_kind:     by_value
      - .offset:         120
        .size:           4
        .value_kind:     hidden_block_count_x
      - .offset:         124
        .size:           4
        .value_kind:     hidden_block_count_y
      - .offset:         128
        .size:           4
        .value_kind:     hidden_block_count_z
      - .offset:         132
        .size:           2
        .value_kind:     hidden_group_size_x
      - .offset:         134
        .size:           2
        .value_kind:     hidden_group_size_y
      - .offset:         136
        .size:           2
        .value_kind:     hidden_group_size_z
      - .offset:         138
        .size:           2
        .value_kind:     hidden_remainder_x
      - .offset:         140
        .size:           2
        .value_kind:     hidden_remainder_y
      - .offset:         142
        .size:           2
        .value_kind:     hidden_remainder_z
      - .offset:         160
        .size:           8
        .value_kind:     hidden_global_offset_x
      - .offset:         168
        .size:           8
        .value_kind:     hidden_global_offset_y
      - .offset:         176
        .size:           8
        .value_kind:     hidden_global_offset_z
      - .offset:         184
        .size:           2
        .value_kind:     hidden_grid_dims
    .group_segment_fixed_size: 9600
    .kernarg_segment_align: 8
    .kernarg_segment_size: 376
    .language:       OpenCL C
    .language_version:
      - 2
      - 0
    .max_flat_workgroup_size: 256
    .name:           _ZL26rocblas_hemvn_kernel_lowerILb1ELi64ELi4ELi33ELi32ELi16ElPK19rocblas_complex_numIfEPKS3_PS1_EviT6_lT7_lT5_lS8_lS9_lS7_lT8_i
    .private_segment_fixed_size: 0
    .sgpr_count:     34
    .sgpr_spill_count: 0
    .symbol:         _ZL26rocblas_hemvn_kernel_lowerILb1ELi64ELi4ELi33ELi32ELi16ElPK19rocblas_complex_numIfEPKS3_PS1_EviT6_lT7_lT5_lS8_lS9_lS7_lT8_i.kd
    .uniform_work_group_size: 1
    .uses_dynamic_stack: false
    .vgpr_count:     117
    .vgpr_spill_count: 0
    .wavefront_size: 32
    .workgroup_processor_mode: 1
  - .args:
      - .offset:         0
        .size:           4
        .value_kind:     by_value
      - .address_space:  global
        .offset:         8
        .size:           8
        .value_kind:     global_buffer
      - .offset:         16
        .size:           8
        .value_kind:     by_value
      - .address_space:  global
        .offset:         24
        .size:           8
        .value_kind:     global_buffer
      - .offset:         32
        .size:           8
        .value_kind:     by_value
      - .actual_access:  read_only
        .address_space:  global
        .offset:         40
        .size:           8
        .value_kind:     global_buffer
      - .offset:         48
        .size:           8
        .value_kind:     by_value
      - .offset:         56
        .size:           8
        .value_kind:     by_value
      - .offset:         64
        .size:           8
        .value_kind:     by_value
      - .actual_access:  read_only
        .address_space:  global
        .offset:         72
        .size:           8
        .value_kind:     global_buffer
      - .offset:         80
        .size:           4
        .value_kind:     by_value
      - .offset:         88
        .size:           4
        .value_kind:     hidden_block_count_x
      - .offset:         92
        .size:           4
        .value_kind:     hidden_block_count_y
      - .offset:         96
        .size:           4
        .value_kind:     hidden_block_count_z
      - .offset:         100
        .size:           2
        .value_kind:     hidden_group_size_x
      - .offset:         102
        .size:           2
        .value_kind:     hidden_group_size_y
      - .offset:         104
        .size:           2
        .value_kind:     hidden_group_size_z
      - .offset:         106
        .size:           2
        .value_kind:     hidden_remainder_x
      - .offset:         108
        .size:           2
        .value_kind:     hidden_remainder_y
      - .offset:         110
        .size:           2
        .value_kind:     hidden_remainder_z
      - .offset:         128
        .size:           8
        .value_kind:     hidden_global_offset_x
      - .offset:         136
        .size:           8
        .value_kind:     hidden_global_offset_y
      - .offset:         144
        .size:           8
        .value_kind:     hidden_global_offset_z
      - .offset:         152
        .size:           2
        .value_kind:     hidden_grid_dims
    .group_segment_fixed_size: 0
    .kernarg_segment_align: 8
    .kernarg_segment_size: 344
    .language:       OpenCL C
    .language_version:
      - 2
      - 0
    .max_flat_workgroup_size: 64
    .name:           _ZL36rocblas_hemvn_kernel_lower_block_sumILi64ElPK19rocblas_complex_numIfEPKPS1_S1_EviT1_lS7_lT2_lT0_lPT3_i
    .private_segment_fixed_size: 0
    .sgpr_count:     26
    .sgpr_spill_count: 0
    .symbol:         _ZL36rocblas_hemvn_kernel_lower_block_sumILi64ElPK19rocblas_complex_numIfEPKPS1_S1_EviT1_lS7_lT2_lT0_lPT3_i.kd
    .uniform_work_group_size: 1
    .uses_dynamic_stack: false
    .vgpr_count:     8
    .vgpr_spill_count: 0
    .wavefront_size: 32
    .workgroup_processor_mode: 1
  - .args:
      - .offset:         0
        .size:           4
        .value_kind:     by_value
      - .address_space:  global
        .offset:         8
        .size:           8
        .value_kind:     global_buffer
      - .offset:         16
        .size:           8
        .value_kind:     by_value
      - .address_space:  global
        .offset:         24
        .size:           8
        .value_kind:     global_buffer
      - .offset:         32
        .size:           8
        .value_kind:     by_value
      - .offset:         40
        .size:           4
        .value_kind:     by_value
      - .offset:         48
        .size:           8
        .value_kind:     by_value
      - .address_space:  global
        .offset:         56
        .size:           8
        .value_kind:     global_buffer
      - .offset:         64
        .size:           8
        .value_kind:     by_value
      - .offset:         72
        .size:           4
        .value_kind:     by_value
      - .offset:         80
        .size:           8
        .value_kind:     by_value
      - .address_space:  global
        .offset:         88
        .size:           8
        .value_kind:     global_buffer
      - .offset:         96
        .size:           8
        .value_kind:     by_value
      - .address_space:  global
        .offset:         104
        .size:           8
        .value_kind:     global_buffer
      - .offset:         112
        .size:           4
        .value_kind:     by_value
      - .offset:         120
        .size:           4
        .value_kind:     hidden_block_count_x
      - .offset:         124
        .size:           4
        .value_kind:     hidden_block_count_y
      - .offset:         128
        .size:           4
        .value_kind:     hidden_block_count_z
      - .offset:         132
        .size:           2
        .value_kind:     hidden_group_size_x
      - .offset:         134
        .size:           2
        .value_kind:     hidden_group_size_y
      - .offset:         136
        .size:           2
        .value_kind:     hidden_group_size_z
      - .offset:         138
        .size:           2
        .value_kind:     hidden_remainder_x
      - .offset:         140
        .size:           2
        .value_kind:     hidden_remainder_y
      - .offset:         142
        .size:           2
        .value_kind:     hidden_remainder_z
      - .offset:         160
        .size:           8
        .value_kind:     hidden_global_offset_x
      - .offset:         168
        .size:           8
        .value_kind:     hidden_global_offset_y
      - .offset:         176
        .size:           8
        .value_kind:     hidden_global_offset_z
      - .offset:         184
        .size:           2
        .value_kind:     hidden_grid_dims
    .group_segment_fixed_size: 9600
    .kernarg_segment_align: 8
    .kernarg_segment_size: 376
    .language:       OpenCL C
    .language_version:
      - 2
      - 0
    .max_flat_workgroup_size: 256
    .name:           _ZL26rocblas_hemvn_kernel_lowerILb1ELi64ELi4ELi33ELi32ELi16EiPK19rocblas_complex_numIfEPKS3_PS1_EviT6_lT7_lT5_lS8_lS9_lS7_lT8_i
    .private_segment_fixed_size: 0
    .sgpr_count:     34
    .sgpr_spill_count: 0
    .symbol:         _ZL26rocblas_hemvn_kernel_lowerILb1ELi64ELi4ELi33ELi32ELi16EiPK19rocblas_complex_numIfEPKS3_PS1_EviT6_lT7_lT5_lS8_lS9_lS7_lT8_i.kd
    .uniform_work_group_size: 1
    .uses_dynamic_stack: false
    .vgpr_count:     115
    .vgpr_spill_count: 0
    .wavefront_size: 32
    .workgroup_processor_mode: 1
  - .args:
      - .offset:         0
        .size:           4
        .value_kind:     by_value
      - .address_space:  global
        .offset:         8
        .size:           8
        .value_kind:     global_buffer
      - .offset:         16
        .size:           8
        .value_kind:     by_value
      - .address_space:  global
        .offset:         24
        .size:           8
        .value_kind:     global_buffer
      - .offset:         32
        .size:           8
        .value_kind:     by_value
      - .actual_access:  read_only
        .address_space:  global
        .offset:         40
        .size:           8
        .value_kind:     global_buffer
      - .offset:         48
        .size:           8
        .value_kind:     by_value
      - .offset:         56
        .size:           4
        .value_kind:     by_value
      - .offset:         64
        .size:           8
        .value_kind:     by_value
      - .actual_access:  read_only
        .address_space:  global
        .offset:         72
        .size:           8
        .value_kind:     global_buffer
      - .offset:         80
        .size:           4
        .value_kind:     by_value
      - .offset:         88
        .size:           4
        .value_kind:     hidden_block_count_x
      - .offset:         92
        .size:           4
        .value_kind:     hidden_block_count_y
      - .offset:         96
        .size:           4
        .value_kind:     hidden_block_count_z
      - .offset:         100
        .size:           2
        .value_kind:     hidden_group_size_x
      - .offset:         102
        .size:           2
        .value_kind:     hidden_group_size_y
      - .offset:         104
        .size:           2
        .value_kind:     hidden_group_size_z
      - .offset:         106
        .size:           2
        .value_kind:     hidden_remainder_x
      - .offset:         108
        .size:           2
        .value_kind:     hidden_remainder_y
      - .offset:         110
        .size:           2
        .value_kind:     hidden_remainder_z
      - .offset:         128
        .size:           8
        .value_kind:     hidden_global_offset_x
      - .offset:         136
        .size:           8
        .value_kind:     hidden_global_offset_y
      - .offset:         144
        .size:           8
        .value_kind:     hidden_global_offset_z
      - .offset:         152
        .size:           2
        .value_kind:     hidden_grid_dims
    .group_segment_fixed_size: 0
    .kernarg_segment_align: 8
    .kernarg_segment_size: 344
    .language:       OpenCL C
    .language_version:
      - 2
      - 0
    .max_flat_workgroup_size: 64
    .name:           _ZL36rocblas_hemvn_kernel_lower_block_sumILi64EiPK19rocblas_complex_numIfEPKPS1_S1_EviT1_lS7_lT2_lT0_lPT3_i
    .private_segment_fixed_size: 0
    .sgpr_count:     24
    .sgpr_spill_count: 0
    .symbol:         _ZL36rocblas_hemvn_kernel_lower_block_sumILi64EiPK19rocblas_complex_numIfEPKPS1_S1_EviT1_lS7_lT2_lT0_lPT3_i.kd
    .uniform_work_group_size: 1
    .uses_dynamic_stack: false
    .vgpr_count:     7
    .vgpr_spill_count: 0
    .wavefront_size: 32
    .workgroup_processor_mode: 1
  - .args:
      - .offset:         0
        .size:           4
        .value_kind:     by_value
      - .offset:         4
        .size:           8
        .value_kind:     by_value
      - .offset:         16
        .size:           8
        .value_kind:     by_value
      - .address_space:  global
        .offset:         24
        .size:           8
        .value_kind:     global_buffer
      - .offset:         32
        .size:           8
        .value_kind:     by_value
      - .offset:         40
        .size:           8
        .value_kind:     by_value
      - .offset:         48
        .size:           8
        .value_kind:     by_value
      - .address_space:  global
        .offset:         56
        .size:           8
        .value_kind:     global_buffer
      - .offset:         64
        .size:           8
        .value_kind:     by_value
      - .offset:         72
        .size:           8
        .value_kind:     by_value
      - .offset:         80
        .size:           8
        .value_kind:     by_value
      - .offset:         88
        .size:           8
        .value_kind:     by_value
      - .offset:         96
        .size:           8
        .value_kind:     by_value
      - .address_space:  global
        .offset:         104
        .size:           8
        .value_kind:     global_buffer
      - .offset:         112
        .size:           4
        .value_kind:     by_value
      - .offset:         120
        .size:           4
        .value_kind:     hidden_block_count_x
      - .offset:         124
        .size:           4
        .value_kind:     hidden_block_count_y
      - .offset:         128
        .size:           4
        .value_kind:     hidden_block_count_z
      - .offset:         132
        .size:           2
        .value_kind:     hidden_group_size_x
      - .offset:         134
        .size:           2
        .value_kind:     hidden_group_size_y
      - .offset:         136
        .size:           2
        .value_kind:     hidden_group_size_z
      - .offset:         138
        .size:           2
        .value_kind:     hidden_remainder_x
      - .offset:         140
        .size:           2
        .value_kind:     hidden_remainder_y
      - .offset:         142
        .size:           2
        .value_kind:     hidden_remainder_z
      - .offset:         160
        .size:           8
        .value_kind:     hidden_global_offset_x
      - .offset:         168
        .size:           8
        .value_kind:     hidden_global_offset_y
      - .offset:         176
        .size:           8
        .value_kind:     hidden_global_offset_z
      - .offset:         184
        .size:           2
        .value_kind:     hidden_grid_dims
    .group_segment_fixed_size: 9600
    .kernarg_segment_align: 8
    .kernarg_segment_size: 376
    .language:       OpenCL C
    .language_version:
      - 2
      - 0
    .max_flat_workgroup_size: 256
    .name:           _ZL26rocblas_hemvn_kernel_lowerILb1ELi64ELi4ELi33ELi32ELi16El19rocblas_complex_numIfEPKPKS1_PS1_EviT6_lT7_lT5_lS8_lS9_lS7_lT8_i
    .private_segment_fixed_size: 0
    .sgpr_count:     34
    .sgpr_spill_count: 0
    .symbol:         _ZL26rocblas_hemvn_kernel_lowerILb1ELi64ELi4ELi33ELi32ELi16El19rocblas_complex_numIfEPKPKS1_PS1_EviT6_lT7_lT5_lS8_lS9_lS7_lT8_i.kd
    .uniform_work_group_size: 1
    .uses_dynamic_stack: false
    .vgpr_count:     117
    .vgpr_spill_count: 0
    .wavefront_size: 32
    .workgroup_processor_mode: 1
  - .args:
      - .offset:         0
        .size:           4
        .value_kind:     by_value
      - .offset:         4
        .size:           8
        .value_kind:     by_value
      - .offset:         16
        .size:           8
        .value_kind:     by_value
      - .offset:         24
        .size:           8
        .value_kind:     by_value
      - .offset:         32
        .size:           8
        .value_kind:     by_value
      - .actual_access:  read_only
        .address_space:  global
        .offset:         40
        .size:           8
        .value_kind:     global_buffer
      - .offset:         48
        .size:           8
        .value_kind:     by_value
      - .offset:         56
        .size:           8
        .value_kind:     by_value
      - .offset:         64
        .size:           8
        .value_kind:     by_value
      - .actual_access:  read_only
        .address_space:  global
        .offset:         72
        .size:           8
        .value_kind:     global_buffer
      - .offset:         80
        .size:           4
        .value_kind:     by_value
      - .offset:         88
        .size:           4
        .value_kind:     hidden_block_count_x
      - .offset:         92
        .size:           4
        .value_kind:     hidden_block_count_y
      - .offset:         96
        .size:           4
        .value_kind:     hidden_block_count_z
      - .offset:         100
        .size:           2
        .value_kind:     hidden_group_size_x
      - .offset:         102
        .size:           2
        .value_kind:     hidden_group_size_y
      - .offset:         104
        .size:           2
        .value_kind:     hidden_group_size_z
      - .offset:         106
        .size:           2
        .value_kind:     hidden_remainder_x
      - .offset:         108
        .size:           2
        .value_kind:     hidden_remainder_y
      - .offset:         110
        .size:           2
        .value_kind:     hidden_remainder_z
      - .offset:         128
        .size:           8
        .value_kind:     hidden_global_offset_x
      - .offset:         136
        .size:           8
        .value_kind:     hidden_global_offset_y
      - .offset:         144
        .size:           8
        .value_kind:     hidden_global_offset_z
      - .offset:         152
        .size:           2
        .value_kind:     hidden_grid_dims
    .group_segment_fixed_size: 0
    .kernarg_segment_align: 8
    .kernarg_segment_size: 344
    .language:       OpenCL C
    .language_version:
      - 2
      - 0
    .max_flat_workgroup_size: 64
    .name:           _ZL36rocblas_hemvn_kernel_lower_block_sumILi64El19rocblas_complex_numIfEPKPS1_S1_EviT1_lS5_lT2_lT0_lPT3_i
    .private_segment_fixed_size: 0
    .sgpr_count:     24
    .sgpr_spill_count: 0
    .symbol:         _ZL36rocblas_hemvn_kernel_lower_block_sumILi64El19rocblas_complex_numIfEPKPS1_S1_EviT1_lS5_lT2_lT0_lPT3_i.kd
    .uniform_work_group_size: 1
    .uses_dynamic_stack: false
    .vgpr_count:     8
    .vgpr_spill_count: 0
    .wavefront_size: 32
    .workgroup_processor_mode: 1
  - .args:
      - .offset:         0
        .size:           4
        .value_kind:     by_value
      - .offset:         4
        .size:           8
        .value_kind:     by_value
      - .offset:         16
        .size:           8
        .value_kind:     by_value
      - .address_space:  global
        .offset:         24
        .size:           8
        .value_kind:     global_buffer
      - .offset:         32
        .size:           8
        .value_kind:     by_value
      - .offset:         40
        .size:           4
        .value_kind:     by_value
      - .offset:         48
        .size:           8
        .value_kind:     by_value
      - .address_space:  global
        .offset:         56
        .size:           8
        .value_kind:     global_buffer
      - .offset:         64
        .size:           8
        .value_kind:     by_value
      - .offset:         72
        .size:           4
        .value_kind:     by_value
      - .offset:         80
        .size:           8
        .value_kind:     by_value
      - .offset:         88
        .size:           8
        .value_kind:     by_value
      - .offset:         96
        .size:           8
        .value_kind:     by_value
      - .address_space:  global
        .offset:         104
        .size:           8
        .value_kind:     global_buffer
      - .offset:         112
        .size:           4
        .value_kind:     by_value
      - .offset:         120
        .size:           4
        .value_kind:     hidden_block_count_x
      - .offset:         124
        .size:           4
        .value_kind:     hidden_block_count_y
      - .offset:         128
        .size:           4
        .value_kind:     hidden_block_count_z
      - .offset:         132
        .size:           2
        .value_kind:     hidden_group_size_x
      - .offset:         134
        .size:           2
        .value_kind:     hidden_group_size_y
      - .offset:         136
        .size:           2
        .value_kind:     hidden_group_size_z
      - .offset:         138
        .size:           2
        .value_kind:     hidden_remainder_x
      - .offset:         140
        .size:           2
        .value_kind:     hidden_remainder_y
      - .offset:         142
        .size:           2
        .value_kind:     hidden_remainder_z
      - .offset:         160
        .size:           8
        .value_kind:     hidden_global_offset_x
      - .offset:         168
        .size:           8
        .value_kind:     hidden_global_offset_y
      - .offset:         176
        .size:           8
        .value_kind:     hidden_global_offset_z
      - .offset:         184
        .size:           2
        .value_kind:     hidden_grid_dims
    .group_segment_fixed_size: 9600
    .kernarg_segment_align: 8
    .kernarg_segment_size: 376
    .language:       OpenCL C
    .language_version:
      - 2
      - 0
    .max_flat_workgroup_size: 256
    .name:           _ZL26rocblas_hemvn_kernel_lowerILb1ELi64ELi4ELi33ELi32ELi16Ei19rocblas_complex_numIfEPKPKS1_PS1_EviT6_lT7_lT5_lS8_lS9_lS7_lT8_i
    .private_segment_fixed_size: 0
    .sgpr_count:     32
    .sgpr_spill_count: 0
    .symbol:         _ZL26rocblas_hemvn_kernel_lowerILb1ELi64ELi4ELi33ELi32ELi16Ei19rocblas_complex_numIfEPKPKS1_PS1_EviT6_lT7_lT5_lS8_lS9_lS7_lT8_i.kd
    .uniform_work_group_size: 1
    .uses_dynamic_stack: false
    .vgpr_count:     115
    .vgpr_spill_count: 0
    .wavefront_size: 32
    .workgroup_processor_mode: 1
  - .args:
      - .offset:         0
        .size:           4
        .value_kind:     by_value
      - .offset:         4
        .size:           8
        .value_kind:     by_value
      - .offset:         16
        .size:           8
        .value_kind:     by_value
      - .offset:         24
        .size:           8
        .value_kind:     by_value
      - .offset:         32
        .size:           8
        .value_kind:     by_value
      - .actual_access:  read_only
        .address_space:  global
        .offset:         40
        .size:           8
        .value_kind:     global_buffer
      - .offset:         48
        .size:           8
        .value_kind:     by_value
      - .offset:         56
        .size:           4
        .value_kind:     by_value
      - .offset:         64
        .size:           8
        .value_kind:     by_value
      - .actual_access:  read_only
        .address_space:  global
        .offset:         72
        .size:           8
        .value_kind:     global_buffer
      - .offset:         80
        .size:           4
        .value_kind:     by_value
      - .offset:         88
        .size:           4
        .value_kind:     hidden_block_count_x
      - .offset:         92
        .size:           4
        .value_kind:     hidden_block_count_y
      - .offset:         96
        .size:           4
        .value_kind:     hidden_block_count_z
      - .offset:         100
        .size:           2
        .value_kind:     hidden_group_size_x
      - .offset:         102
        .size:           2
        .value_kind:     hidden_group_size_y
      - .offset:         104
        .size:           2
        .value_kind:     hidden_group_size_z
      - .offset:         106
        .size:           2
        .value_kind:     hidden_remainder_x
      - .offset:         108
        .size:           2
        .value_kind:     hidden_remainder_y
      - .offset:         110
        .size:           2
        .value_kind:     hidden_remainder_z
      - .offset:         128
        .size:           8
        .value_kind:     hidden_global_offset_x
      - .offset:         136
        .size:           8
        .value_kind:     hidden_global_offset_y
      - .offset:         144
        .size:           8
        .value_kind:     hidden_global_offset_z
      - .offset:         152
        .size:           2
        .value_kind:     hidden_grid_dims
    .group_segment_fixed_size: 0
    .kernarg_segment_align: 8
    .kernarg_segment_size: 344
    .language:       OpenCL C
    .language_version:
      - 2
      - 0
    .max_flat_workgroup_size: 64
    .name:           _ZL36rocblas_hemvn_kernel_lower_block_sumILi64Ei19rocblas_complex_numIfEPKPS1_S1_EviT1_lS5_lT2_lT0_lPT3_i
    .private_segment_fixed_size: 0
    .sgpr_count:     22
    .sgpr_spill_count: 0
    .symbol:         _ZL36rocblas_hemvn_kernel_lower_block_sumILi64Ei19rocblas_complex_numIfEPKPS1_S1_EviT1_lS5_lT2_lT0_lPT3_i.kd
    .uniform_work_group_size: 1
    .uses_dynamic_stack: false
    .vgpr_count:     7
    .vgpr_spill_count: 0
    .wavefront_size: 32
    .workgroup_processor_mode: 1
  - .args:
      - .offset:         0
        .size:           4
        .value_kind:     by_value
      - .address_space:  global
        .offset:         8
        .size:           8
        .value_kind:     global_buffer
      - .offset:         16
        .size:           8
        .value_kind:     by_value
      - .address_space:  global
        .offset:         24
        .size:           8
        .value_kind:     global_buffer
      - .offset:         32
        .size:           8
        .value_kind:     by_value
      - .offset:         40
        .size:           8
        .value_kind:     by_value
      - .offset:         48
        .size:           8
        .value_kind:     by_value
      - .address_space:  global
        .offset:         56
        .size:           8
        .value_kind:     global_buffer
      - .offset:         64
        .size:           8
        .value_kind:     by_value
      - .offset:         72
        .size:           8
        .value_kind:     by_value
      - .offset:         80
        .size:           8
        .value_kind:     by_value
      - .address_space:  global
        .offset:         88
        .size:           8
        .value_kind:     global_buffer
      - .offset:         96
        .size:           8
        .value_kind:     by_value
      - .address_space:  global
        .offset:         104
        .size:           8
        .value_kind:     global_buffer
      - .offset:         112
        .size:           4
        .value_kind:     by_value
      - .offset:         120
        .size:           4
        .value_kind:     hidden_block_count_x
      - .offset:         124
        .size:           4
        .value_kind:     hidden_block_count_y
      - .offset:         128
        .size:           4
        .value_kind:     hidden_block_count_z
      - .offset:         132
        .size:           2
        .value_kind:     hidden_group_size_x
      - .offset:         134
        .size:           2
        .value_kind:     hidden_group_size_y
      - .offset:         136
        .size:           2
        .value_kind:     hidden_group_size_z
      - .offset:         138
        .size:           2
        .value_kind:     hidden_remainder_x
      - .offset:         140
        .size:           2
        .value_kind:     hidden_remainder_y
      - .offset:         142
        .size:           2
        .value_kind:     hidden_remainder_z
      - .offset:         160
        .size:           8
        .value_kind:     hidden_global_offset_x
      - .offset:         168
        .size:           8
        .value_kind:     hidden_global_offset_y
      - .offset:         176
        .size:           8
        .value_kind:     hidden_global_offset_z
      - .offset:         184
        .size:           2
        .value_kind:     hidden_grid_dims
    .group_segment_fixed_size: 19200
    .kernarg_segment_align: 8
    .kernarg_segment_size: 376
    .language:       OpenCL C
    .language_version:
      - 2
      - 0
    .max_flat_workgroup_size: 256
    .name:           _ZL26rocblas_hemvn_kernel_upperILb1ELi64ELi4ELi33ELi32ELi16ElPK19rocblas_complex_numIdEPKS3_PS1_EviT6_lT7_lT5_lS8_lS9_lS7_lT8_i
    .private_segment_fixed_size: 0
    .sgpr_count:     32
    .sgpr_spill_count: 0
    .symbol:         _ZL26rocblas_hemvn_kernel_upperILb1ELi64ELi4ELi33ELi32ELi16ElPK19rocblas_complex_numIdEPKS3_PS1_EviT6_lT7_lT5_lS8_lS9_lS7_lT8_i.kd
    .uniform_work_group_size: 1
    .uses_dynamic_stack: false
    .vgpr_count:     248
    .vgpr_spill_count: 0
    .wavefront_size: 32
    .workgroup_processor_mode: 1
  - .args:
      - .offset:         0
        .size:           4
        .value_kind:     by_value
      - .address_space:  global
        .offset:         8
        .size:           8
        .value_kind:     global_buffer
      - .offset:         16
        .size:           8
        .value_kind:     by_value
      - .address_space:  global
        .offset:         24
        .size:           8
        .value_kind:     global_buffer
      - .offset:         32
        .size:           8
        .value_kind:     by_value
      - .actual_access:  read_only
        .address_space:  global
        .offset:         40
        .size:           8
        .value_kind:     global_buffer
      - .offset:         48
        .size:           8
        .value_kind:     by_value
      - .offset:         56
        .size:           8
        .value_kind:     by_value
      - .offset:         64
        .size:           8
        .value_kind:     by_value
      - .address_space:  global
        .offset:         72
        .size:           8
        .value_kind:     global_buffer
      - .offset:         80
        .size:           4
        .value_kind:     by_value
      - .offset:         88
        .size:           4
        .value_kind:     hidden_block_count_x
      - .offset:         92
        .size:           4
        .value_kind:     hidden_block_count_y
      - .offset:         96
        .size:           4
        .value_kind:     hidden_block_count_z
      - .offset:         100
        .size:           2
        .value_kind:     hidden_group_size_x
      - .offset:         102
        .size:           2
        .value_kind:     hidden_group_size_y
      - .offset:         104
        .size:           2
        .value_kind:     hidden_group_size_z
      - .offset:         106
        .size:           2
        .value_kind:     hidden_remainder_x
      - .offset:         108
        .size:           2
        .value_kind:     hidden_remainder_y
      - .offset:         110
        .size:           2
        .value_kind:     hidden_remainder_z
      - .offset:         128
        .size:           8
        .value_kind:     hidden_global_offset_x
      - .offset:         136
        .size:           8
        .value_kind:     hidden_global_offset_y
      - .offset:         144
        .size:           8
        .value_kind:     hidden_global_offset_z
      - .offset:         152
        .size:           2
        .value_kind:     hidden_grid_dims
    .group_segment_fixed_size: 0
    .kernarg_segment_align: 8
    .kernarg_segment_size: 344
    .language:       OpenCL C
    .language_version:
      - 2
      - 0
    .max_flat_workgroup_size: 64
    .name:           _ZL36rocblas_hemvn_kernel_upper_block_sumILi64ElPK19rocblas_complex_numIdEPKPS1_S1_EviT1_lS7_lT2_lT0_lPT3_i
    .private_segment_fixed_size: 0
    .sgpr_count:     30
    .sgpr_spill_count: 0
    .symbol:         _ZL36rocblas_hemvn_kernel_upper_block_sumILi64ElPK19rocblas_complex_numIdEPKPS1_S1_EviT1_lS7_lT2_lT0_lPT3_i.kd
    .uniform_work_group_size: 1
    .uses_dynamic_stack: false
    .vgpr_count:     13
    .vgpr_spill_count: 0
    .wavefront_size: 32
    .workgroup_processor_mode: 1
  - .args:
      - .offset:         0
        .size:           4
        .value_kind:     by_value
      - .address_space:  global
        .offset:         8
        .size:           8
        .value_kind:     global_buffer
      - .offset:         16
        .size:           8
        .value_kind:     by_value
      - .address_space:  global
        .offset:         24
        .size:           8
        .value_kind:     global_buffer
      - .offset:         32
        .size:           8
        .value_kind:     by_value
      - .offset:         40
        .size:           4
        .value_kind:     by_value
      - .offset:         48
        .size:           8
        .value_kind:     by_value
      - .address_space:  global
        .offset:         56
        .size:           8
        .value_kind:     global_buffer
      - .offset:         64
        .size:           8
        .value_kind:     by_value
      - .offset:         72
        .size:           4
        .value_kind:     by_value
      - .offset:         80
        .size:           8
        .value_kind:     by_value
      - .address_space:  global
        .offset:         88
        .size:           8
        .value_kind:     global_buffer
      - .offset:         96
        .size:           8
        .value_kind:     by_value
      - .address_space:  global
        .offset:         104
        .size:           8
        .value_kind:     global_buffer
      - .offset:         112
        .size:           4
        .value_kind:     by_value
      - .offset:         120
        .size:           4
        .value_kind:     hidden_block_count_x
      - .offset:         124
        .size:           4
        .value_kind:     hidden_block_count_y
      - .offset:         128
        .size:           4
        .value_kind:     hidden_block_count_z
      - .offset:         132
        .size:           2
        .value_kind:     hidden_group_size_x
      - .offset:         134
        .size:           2
        .value_kind:     hidden_group_size_y
      - .offset:         136
        .size:           2
        .value_kind:     hidden_group_size_z
      - .offset:         138
        .size:           2
        .value_kind:     hidden_remainder_x
      - .offset:         140
        .size:           2
        .value_kind:     hidden_remainder_y
      - .offset:         142
        .size:           2
        .value_kind:     hidden_remainder_z
      - .offset:         160
        .size:           8
        .value_kind:     hidden_global_offset_x
      - .offset:         168
        .size:           8
        .value_kind:     hidden_global_offset_y
      - .offset:         176
        .size:           8
        .value_kind:     hidden_global_offset_z
      - .offset:         184
        .size:           2
        .value_kind:     hidden_grid_dims
    .group_segment_fixed_size: 19200
    .kernarg_segment_align: 8
    .kernarg_segment_size: 376
    .language:       OpenCL C
    .language_version:
      - 2
      - 0
    .max_flat_workgroup_size: 256
    .name:           _ZL26rocblas_hemvn_kernel_upperILb1ELi64ELi4ELi33ELi32ELi16EiPK19rocblas_complex_numIdEPKS3_PS1_EviT6_lT7_lT5_lS8_lS9_lS7_lT8_i
    .private_segment_fixed_size: 0
    .sgpr_count:     39
    .sgpr_spill_count: 0
    .symbol:         _ZL26rocblas_hemvn_kernel_upperILb1ELi64ELi4ELi33ELi32ELi16EiPK19rocblas_complex_numIdEPKS3_PS1_EviT6_lT7_lT5_lS8_lS9_lS7_lT8_i.kd
    .uniform_work_group_size: 1
    .uses_dynamic_stack: false
    .vgpr_count:     239
    .vgpr_spill_count: 0
    .wavefront_size: 32
    .workgroup_processor_mode: 1
  - .args:
      - .offset:         0
        .size:           4
        .value_kind:     by_value
      - .address_space:  global
        .offset:         8
        .size:           8
        .value_kind:     global_buffer
      - .offset:         16
        .size:           8
        .value_kind:     by_value
      - .address_space:  global
        .offset:         24
        .size:           8
        .value_kind:     global_buffer
      - .offset:         32
        .size:           8
        .value_kind:     by_value
      - .actual_access:  read_only
        .address_space:  global
        .offset:         40
        .size:           8
        .value_kind:     global_buffer
      - .offset:         48
        .size:           8
        .value_kind:     by_value
      - .offset:         56
        .size:           4
        .value_kind:     by_value
      - .offset:         64
        .size:           8
        .value_kind:     by_value
      - .address_space:  global
        .offset:         72
        .size:           8
        .value_kind:     global_buffer
      - .offset:         80
        .size:           4
        .value_kind:     by_value
      - .offset:         88
        .size:           4
        .value_kind:     hidden_block_count_x
      - .offset:         92
        .size:           4
        .value_kind:     hidden_block_count_y
      - .offset:         96
        .size:           4
        .value_kind:     hidden_block_count_z
      - .offset:         100
        .size:           2
        .value_kind:     hidden_group_size_x
      - .offset:         102
        .size:           2
        .value_kind:     hidden_group_size_y
      - .offset:         104
        .size:           2
        .value_kind:     hidden_group_size_z
      - .offset:         106
        .size:           2
        .value_kind:     hidden_remainder_x
      - .offset:         108
        .size:           2
        .value_kind:     hidden_remainder_y
      - .offset:         110
        .size:           2
        .value_kind:     hidden_remainder_z
      - .offset:         128
        .size:           8
        .value_kind:     hidden_global_offset_x
      - .offset:         136
        .size:           8
        .value_kind:     hidden_global_offset_y
      - .offset:         144
        .size:           8
        .value_kind:     hidden_global_offset_z
      - .offset:         152
        .size:           2
        .value_kind:     hidden_grid_dims
    .group_segment_fixed_size: 0
    .kernarg_segment_align: 8
    .kernarg_segment_size: 344
    .language:       OpenCL C
    .language_version:
      - 2
      - 0
    .max_flat_workgroup_size: 64
    .name:           _ZL36rocblas_hemvn_kernel_upper_block_sumILi64EiPK19rocblas_complex_numIdEPKPS1_S1_EviT1_lS7_lT2_lT0_lPT3_i
    .private_segment_fixed_size: 0
    .sgpr_count:     26
    .sgpr_spill_count: 0
    .symbol:         _ZL36rocblas_hemvn_kernel_upper_block_sumILi64EiPK19rocblas_complex_numIdEPKPS1_S1_EviT1_lS7_lT2_lT0_lPT3_i.kd
    .uniform_work_group_size: 1
    .uses_dynamic_stack: false
    .vgpr_count:     13
    .vgpr_spill_count: 0
    .wavefront_size: 32
    .workgroup_processor_mode: 1
  - .args:
      - .offset:         0
        .size:           4
        .value_kind:     by_value
      - .offset:         8
        .size:           16
        .value_kind:     by_value
      - .offset:         24
        .size:           8
        .value_kind:     by_value
      - .address_space:  global
        .offset:         32
        .size:           8
        .value_kind:     global_buffer
      - .offset:         40
        .size:           8
        .value_kind:     by_value
      - .offset:         48
        .size:           8
        .value_kind:     by_value
      - .offset:         56
        .size:           8
        .value_kind:     by_value
      - .address_space:  global
        .offset:         64
        .size:           8
        .value_kind:     global_buffer
      - .offset:         72
        .size:           8
        .value_kind:     by_value
      - .offset:         80
        .size:           8
        .value_kind:     by_value
      - .offset:         88
        .size:           8
        .value_kind:     by_value
      - .offset:         96
        .size:           16
        .value_kind:     by_value
      - .offset:         112
        .size:           8
        .value_kind:     by_value
      - .address_space:  global
        .offset:         120
        .size:           8
        .value_kind:     global_buffer
      - .offset:         128
        .size:           4
        .value_kind:     by_value
      - .offset:         136
        .size:           4
        .value_kind:     hidden_block_count_x
      - .offset:         140
        .size:           4
        .value_kind:     hidden_block_count_y
      - .offset:         144
        .size:           4
        .value_kind:     hidden_block_count_z
      - .offset:         148
        .size:           2
        .value_kind:     hidden_group_size_x
      - .offset:         150
        .size:           2
        .value_kind:     hidden_group_size_y
      - .offset:         152
        .size:           2
        .value_kind:     hidden_group_size_z
      - .offset:         154
        .size:           2
        .value_kind:     hidden_remainder_x
      - .offset:         156
        .size:           2
        .value_kind:     hidden_remainder_y
      - .offset:         158
        .size:           2
        .value_kind:     hidden_remainder_z
      - .offset:         176
        .size:           8
        .value_kind:     hidden_global_offset_x
      - .offset:         184
        .size:           8
        .value_kind:     hidden_global_offset_y
      - .offset:         192
        .size:           8
        .value_kind:     hidden_global_offset_z
      - .offset:         200
        .size:           2
        .value_kind:     hidden_grid_dims
    .group_segment_fixed_size: 19200
    .kernarg_segment_align: 8
    .kernarg_segment_size: 392
    .language:       OpenCL C
    .language_version:
      - 2
      - 0
    .max_flat_workgroup_size: 256
    .name:           _ZL26rocblas_hemvn_kernel_upperILb1ELi64ELi4ELi33ELi32ELi16El19rocblas_complex_numIdEPKPKS1_PS1_EviT6_lT7_lT5_lS8_lS9_lS7_lT8_i
    .private_segment_fixed_size: 0
    .sgpr_count:     32
    .sgpr_spill_count: 0
    .symbol:         _ZL26rocblas_hemvn_kernel_upperILb1ELi64ELi4ELi33ELi32ELi16El19rocblas_complex_numIdEPKPKS1_PS1_EviT6_lT7_lT5_lS8_lS9_lS7_lT8_i.kd
    .uniform_work_group_size: 1
    .uses_dynamic_stack: false
    .vgpr_count:     248
    .vgpr_spill_count: 0
    .wavefront_size: 32
    .workgroup_processor_mode: 1
  - .args:
      - .offset:         0
        .size:           4
        .value_kind:     by_value
      - .offset:         8
        .size:           16
        .value_kind:     by_value
      - .offset:         24
        .size:           8
        .value_kind:     by_value
      - .offset:         32
        .size:           16
        .value_kind:     by_value
      - .offset:         48
        .size:           8
        .value_kind:     by_value
      - .actual_access:  read_only
        .address_space:  global
        .offset:         56
        .size:           8
        .value_kind:     global_buffer
      - .offset:         64
        .size:           8
        .value_kind:     by_value
      - .offset:         72
        .size:           8
        .value_kind:     by_value
      - .offset:         80
        .size:           8
        .value_kind:     by_value
      - .address_space:  global
        .offset:         88
        .size:           8
        .value_kind:     global_buffer
      - .offset:         96
        .size:           4
        .value_kind:     by_value
      - .offset:         104
        .size:           4
        .value_kind:     hidden_block_count_x
      - .offset:         108
        .size:           4
        .value_kind:     hidden_block_count_y
      - .offset:         112
        .size:           4
        .value_kind:     hidden_block_count_z
      - .offset:         116
        .size:           2
        .value_kind:     hidden_group_size_x
      - .offset:         118
        .size:           2
        .value_kind:     hidden_group_size_y
      - .offset:         120
        .size:           2
        .value_kind:     hidden_group_size_z
      - .offset:         122
        .size:           2
        .value_kind:     hidden_remainder_x
      - .offset:         124
        .size:           2
        .value_kind:     hidden_remainder_y
      - .offset:         126
        .size:           2
        .value_kind:     hidden_remainder_z
      - .offset:         144
        .size:           8
        .value_kind:     hidden_global_offset_x
      - .offset:         152
        .size:           8
        .value_kind:     hidden_global_offset_y
      - .offset:         160
        .size:           8
        .value_kind:     hidden_global_offset_z
      - .offset:         168
        .size:           2
        .value_kind:     hidden_grid_dims
    .group_segment_fixed_size: 0
    .kernarg_segment_align: 8
    .kernarg_segment_size: 360
    .language:       OpenCL C
    .language_version:
      - 2
      - 0
    .max_flat_workgroup_size: 64
    .name:           _ZL36rocblas_hemvn_kernel_upper_block_sumILi64El19rocblas_complex_numIdEPKPS1_S1_EviT1_lS5_lT2_lT0_lPT3_i
    .private_segment_fixed_size: 0
    .sgpr_count:     26
    .sgpr_spill_count: 0
    .symbol:         _ZL36rocblas_hemvn_kernel_upper_block_sumILi64El19rocblas_complex_numIdEPKPS1_S1_EviT1_lS5_lT2_lT0_lPT3_i.kd
    .uniform_work_group_size: 1
    .uses_dynamic_stack: false
    .vgpr_count:     13
    .vgpr_spill_count: 0
    .wavefront_size: 32
    .workgroup_processor_mode: 1
  - .args:
      - .offset:         0
        .size:           4
        .value_kind:     by_value
      - .offset:         8
        .size:           16
        .value_kind:     by_value
      - .offset:         24
        .size:           8
        .value_kind:     by_value
      - .address_space:  global
        .offset:         32
        .size:           8
        .value_kind:     global_buffer
      - .offset:         40
        .size:           8
        .value_kind:     by_value
      - .offset:         48
        .size:           4
        .value_kind:     by_value
      - .offset:         56
        .size:           8
        .value_kind:     by_value
      - .address_space:  global
        .offset:         64
        .size:           8
        .value_kind:     global_buffer
      - .offset:         72
        .size:           8
        .value_kind:     by_value
      - .offset:         80
        .size:           4
        .value_kind:     by_value
      - .offset:         88
        .size:           8
        .value_kind:     by_value
      - .offset:         96
        .size:           16
        .value_kind:     by_value
      - .offset:         112
        .size:           8
        .value_kind:     by_value
      - .address_space:  global
        .offset:         120
        .size:           8
        .value_kind:     global_buffer
      - .offset:         128
        .size:           4
        .value_kind:     by_value
      - .offset:         136
        .size:           4
        .value_kind:     hidden_block_count_x
      - .offset:         140
        .size:           4
        .value_kind:     hidden_block_count_y
      - .offset:         144
        .size:           4
        .value_kind:     hidden_block_count_z
      - .offset:         148
        .size:           2
        .value_kind:     hidden_group_size_x
      - .offset:         150
        .size:           2
        .value_kind:     hidden_group_size_y
      - .offset:         152
        .size:           2
        .value_kind:     hidden_group_size_z
      - .offset:         154
        .size:           2
        .value_kind:     hidden_remainder_x
      - .offset:         156
        .size:           2
        .value_kind:     hidden_remainder_y
      - .offset:         158
        .size:           2
        .value_kind:     hidden_remainder_z
      - .offset:         176
        .size:           8
        .value_kind:     hidden_global_offset_x
      - .offset:         184
        .size:           8
        .value_kind:     hidden_global_offset_y
      - .offset:         192
        .size:           8
        .value_kind:     hidden_global_offset_z
      - .offset:         200
        .size:           2
        .value_kind:     hidden_grid_dims
    .group_segment_fixed_size: 19200
    .kernarg_segment_align: 8
    .kernarg_segment_size: 392
    .language:       OpenCL C
    .language_version:
      - 2
      - 0
    .max_flat_workgroup_size: 256
    .name:           _ZL26rocblas_hemvn_kernel_upperILb1ELi64ELi4ELi33ELi32ELi16Ei19rocblas_complex_numIdEPKPKS1_PS1_EviT6_lT7_lT5_lS8_lS9_lS7_lT8_i
    .private_segment_fixed_size: 0
    .sgpr_count:     39
    .sgpr_spill_count: 0
    .symbol:         _ZL26rocblas_hemvn_kernel_upperILb1ELi64ELi4ELi33ELi32ELi16Ei19rocblas_complex_numIdEPKPKS1_PS1_EviT6_lT7_lT5_lS8_lS9_lS7_lT8_i.kd
    .uniform_work_group_size: 1
    .uses_dynamic_stack: false
    .vgpr_count:     239
    .vgpr_spill_count: 0
    .wavefront_size: 32
    .workgroup_processor_mode: 1
  - .args:
      - .offset:         0
        .size:           4
        .value_kind:     by_value
      - .offset:         8
        .size:           16
        .value_kind:     by_value
      - .offset:         24
        .size:           8
        .value_kind:     by_value
      - .offset:         32
        .size:           16
        .value_kind:     by_value
      - .offset:         48
        .size:           8
        .value_kind:     by_value
      - .actual_access:  read_only
        .address_space:  global
        .offset:         56
        .size:           8
        .value_kind:     global_buffer
      - .offset:         64
        .size:           8
        .value_kind:     by_value
      - .offset:         72
        .size:           4
        .value_kind:     by_value
      - .offset:         80
        .size:           8
        .value_kind:     by_value
      - .address_space:  global
        .offset:         88
        .size:           8
        .value_kind:     global_buffer
      - .offset:         96
        .size:           4
        .value_kind:     by_value
      - .offset:         104
        .size:           4
        .value_kind:     hidden_block_count_x
      - .offset:         108
        .size:           4
        .value_kind:     hidden_block_count_y
      - .offset:         112
        .size:           4
        .value_kind:     hidden_block_count_z
      - .offset:         116
        .size:           2
        .value_kind:     hidden_group_size_x
      - .offset:         118
        .size:           2
        .value_kind:     hidden_group_size_y
      - .offset:         120
        .size:           2
        .value_kind:     hidden_group_size_z
      - .offset:         122
        .size:           2
        .value_kind:     hidden_remainder_x
      - .offset:         124
        .size:           2
        .value_kind:     hidden_remainder_y
      - .offset:         126
        .size:           2
        .value_kind:     hidden_remainder_z
      - .offset:         144
        .size:           8
        .value_kind:     hidden_global_offset_x
      - .offset:         152
        .size:           8
        .value_kind:     hidden_global_offset_y
      - .offset:         160
        .size:           8
        .value_kind:     hidden_global_offset_z
      - .offset:         168
        .size:           2
        .value_kind:     hidden_grid_dims
    .group_segment_fixed_size: 0
    .kernarg_segment_align: 8
    .kernarg_segment_size: 360
    .language:       OpenCL C
    .language_version:
      - 2
      - 0
    .max_flat_workgroup_size: 64
    .name:           _ZL36rocblas_hemvn_kernel_upper_block_sumILi64Ei19rocblas_complex_numIdEPKPS1_S1_EviT1_lS5_lT2_lT0_lPT3_i
    .private_segment_fixed_size: 0
    .sgpr_count:     26
    .sgpr_spill_count: 0
    .symbol:         _ZL36rocblas_hemvn_kernel_upper_block_sumILi64Ei19rocblas_complex_numIdEPKPS1_S1_EviT1_lS5_lT2_lT0_lPT3_i.kd
    .uniform_work_group_size: 1
    .uses_dynamic_stack: false
    .vgpr_count:     13
    .vgpr_spill_count: 0
    .wavefront_size: 32
    .workgroup_processor_mode: 1
  - .args:
      - .offset:         0
        .size:           4
        .value_kind:     by_value
      - .address_space:  global
        .offset:         8
        .size:           8
        .value_kind:     global_buffer
      - .offset:         16
        .size:           8
        .value_kind:     by_value
      - .address_space:  global
        .offset:         24
        .size:           8
        .value_kind:     global_buffer
      - .offset:         32
        .size:           8
        .value_kind:     by_value
      - .offset:         40
        .size:           8
        .value_kind:     by_value
      - .offset:         48
        .size:           8
        .value_kind:     by_value
      - .address_space:  global
        .offset:         56
        .size:           8
        .value_kind:     global_buffer
      - .offset:         64
        .size:           8
        .value_kind:     by_value
      - .offset:         72
        .size:           8
        .value_kind:     by_value
      - .offset:         80
        .size:           8
        .value_kind:     by_value
      - .address_space:  global
        .offset:         88
        .size:           8
        .value_kind:     global_buffer
      - .offset:         96
        .size:           8
        .value_kind:     by_value
      - .address_space:  global
        .offset:         104
        .size:           8
        .value_kind:     global_buffer
      - .offset:         112
        .size:           4
        .value_kind:     by_value
      - .offset:         120
        .size:           4
        .value_kind:     hidden_block_count_x
      - .offset:         124
        .size:           4
        .value_kind:     hidden_block_count_y
      - .offset:         128
        .size:           4
        .value_kind:     hidden_block_count_z
      - .offset:         132
        .size:           2
        .value_kind:     hidden_group_size_x
      - .offset:         134
        .size:           2
        .value_kind:     hidden_group_size_y
      - .offset:         136
        .size:           2
        .value_kind:     hidden_group_size_z
      - .offset:         138
        .size:           2
        .value_kind:     hidden_remainder_x
      - .offset:         140
        .size:           2
        .value_kind:     hidden_remainder_y
      - .offset:         142
        .size:           2
        .value_kind:     hidden_remainder_z
      - .offset:         160
        .size:           8
        .value_kind:     hidden_global_offset_x
      - .offset:         168
        .size:           8
        .value_kind:     hidden_global_offset_y
      - .offset:         176
        .size:           8
        .value_kind:     hidden_global_offset_z
      - .offset:         184
        .size:           2
        .value_kind:     hidden_grid_dims
    .group_segment_fixed_size: 19200
    .kernarg_segment_align: 8
    .kernarg_segment_size: 376
    .language:       OpenCL C
    .language_version:
      - 2
      - 0
    .max_flat_workgroup_size: 256
    .name:           _ZL26rocblas_hemvn_kernel_lowerILb1ELi64ELi4ELi33ELi32ELi16ElPK19rocblas_complex_numIdEPKS3_PS1_EviT6_lT7_lT5_lS8_lS9_lS7_lT8_i
    .private_segment_fixed_size: 0
    .sgpr_count:     34
    .sgpr_spill_count: 0
    .symbol:         _ZL26rocblas_hemvn_kernel_lowerILb1ELi64ELi4ELi33ELi32ELi16ElPK19rocblas_complex_numIdEPKS3_PS1_EviT6_lT7_lT5_lS8_lS9_lS7_lT8_i.kd
    .uniform_work_group_size: 1
    .uses_dynamic_stack: false
    .vgpr_count:     211
    .vgpr_spill_count: 0
    .wavefront_size: 32
    .workgroup_processor_mode: 1
  - .args:
      - .offset:         0
        .size:           4
        .value_kind:     by_value
      - .address_space:  global
        .offset:         8
        .size:           8
        .value_kind:     global_buffer
      - .offset:         16
        .size:           8
        .value_kind:     by_value
      - .address_space:  global
        .offset:         24
        .size:           8
        .value_kind:     global_buffer
      - .offset:         32
        .size:           8
        .value_kind:     by_value
      - .actual_access:  read_only
        .address_space:  global
        .offset:         40
        .size:           8
        .value_kind:     global_buffer
      - .offset:         48
        .size:           8
        .value_kind:     by_value
      - .offset:         56
        .size:           8
        .value_kind:     by_value
      - .offset:         64
        .size:           8
        .value_kind:     by_value
      - .actual_access:  read_only
        .address_space:  global
        .offset:         72
        .size:           8
        .value_kind:     global_buffer
      - .offset:         80
        .size:           4
        .value_kind:     by_value
      - .offset:         88
        .size:           4
        .value_kind:     hidden_block_count_x
      - .offset:         92
        .size:           4
        .value_kind:     hidden_block_count_y
      - .offset:         96
        .size:           4
        .value_kind:     hidden_block_count_z
      - .offset:         100
        .size:           2
        .value_kind:     hidden_group_size_x
      - .offset:         102
        .size:           2
        .value_kind:     hidden_group_size_y
      - .offset:         104
        .size:           2
        .value_kind:     hidden_group_size_z
      - .offset:         106
        .size:           2
        .value_kind:     hidden_remainder_x
      - .offset:         108
        .size:           2
        .value_kind:     hidden_remainder_y
      - .offset:         110
        .size:           2
        .value_kind:     hidden_remainder_z
      - .offset:         128
        .size:           8
        .value_kind:     hidden_global_offset_x
      - .offset:         136
        .size:           8
        .value_kind:     hidden_global_offset_y
      - .offset:         144
        .size:           8
        .value_kind:     hidden_global_offset_z
      - .offset:         152
        .size:           2
        .value_kind:     hidden_grid_dims
    .group_segment_fixed_size: 0
    .kernarg_segment_align: 8
    .kernarg_segment_size: 344
    .language:       OpenCL C
    .language_version:
      - 2
      - 0
    .max_flat_workgroup_size: 64
    .name:           _ZL36rocblas_hemvn_kernel_lower_block_sumILi64ElPK19rocblas_complex_numIdEPKPS1_S1_EviT1_lS7_lT2_lT0_lPT3_i
    .private_segment_fixed_size: 0
    .sgpr_count:     30
    .sgpr_spill_count: 0
    .symbol:         _ZL36rocblas_hemvn_kernel_lower_block_sumILi64ElPK19rocblas_complex_numIdEPKPS1_S1_EviT1_lS7_lT2_lT0_lPT3_i.kd
    .uniform_work_group_size: 1
    .uses_dynamic_stack: false
    .vgpr_count:     13
    .vgpr_spill_count: 0
    .wavefront_size: 32
    .workgroup_processor_mode: 1
  - .args:
      - .offset:         0
        .size:           4
        .value_kind:     by_value
      - .address_space:  global
        .offset:         8
        .size:           8
        .value_kind:     global_buffer
      - .offset:         16
        .size:           8
        .value_kind:     by_value
      - .address_space:  global
        .offset:         24
        .size:           8
        .value_kind:     global_buffer
      - .offset:         32
        .size:           8
        .value_kind:     by_value
      - .offset:         40
        .size:           4
        .value_kind:     by_value
      - .offset:         48
        .size:           8
        .value_kind:     by_value
      - .address_space:  global
        .offset:         56
        .size:           8
        .value_kind:     global_buffer
      - .offset:         64
        .size:           8
        .value_kind:     by_value
      - .offset:         72
        .size:           4
        .value_kind:     by_value
      - .offset:         80
        .size:           8
        .value_kind:     by_value
      - .address_space:  global
        .offset:         88
        .size:           8
        .value_kind:     global_buffer
      - .offset:         96
        .size:           8
        .value_kind:     by_value
      - .address_space:  global
        .offset:         104
        .size:           8
        .value_kind:     global_buffer
      - .offset:         112
        .size:           4
        .value_kind:     by_value
      - .offset:         120
        .size:           4
        .value_kind:     hidden_block_count_x
      - .offset:         124
        .size:           4
        .value_kind:     hidden_block_count_y
      - .offset:         128
        .size:           4
        .value_kind:     hidden_block_count_z
      - .offset:         132
        .size:           2
        .value_kind:     hidden_group_size_x
      - .offset:         134
        .size:           2
        .value_kind:     hidden_group_size_y
      - .offset:         136
        .size:           2
        .value_kind:     hidden_group_size_z
      - .offset:         138
        .size:           2
        .value_kind:     hidden_remainder_x
      - .offset:         140
        .size:           2
        .value_kind:     hidden_remainder_y
      - .offset:         142
        .size:           2
        .value_kind:     hidden_remainder_z
      - .offset:         160
        .size:           8
        .value_kind:     hidden_global_offset_x
      - .offset:         168
        .size:           8
        .value_kind:     hidden_global_offset_y
      - .offset:         176
        .size:           8
        .value_kind:     hidden_global_offset_z
      - .offset:         184
        .size:           2
        .value_kind:     hidden_grid_dims
    .group_segment_fixed_size: 19200
    .kernarg_segment_align: 8
    .kernarg_segment_size: 376
    .language:       OpenCL C
    .language_version:
      - 2
      - 0
    .max_flat_workgroup_size: 256
    .name:           _ZL26rocblas_hemvn_kernel_lowerILb1ELi64ELi4ELi33ELi32ELi16EiPK19rocblas_complex_numIdEPKS3_PS1_EviT6_lT7_lT5_lS8_lS9_lS7_lT8_i
    .private_segment_fixed_size: 0
    .sgpr_count:     34
    .sgpr_spill_count: 0
    .symbol:         _ZL26rocblas_hemvn_kernel_lowerILb1ELi64ELi4ELi33ELi32ELi16EiPK19rocblas_complex_numIdEPKS3_PS1_EviT6_lT7_lT5_lS8_lS9_lS7_lT8_i.kd
    .uniform_work_group_size: 1
    .uses_dynamic_stack: false
    .vgpr_count:     209
    .vgpr_spill_count: 0
    .wavefront_size: 32
    .workgroup_processor_mode: 1
  - .args:
      - .offset:         0
        .size:           4
        .value_kind:     by_value
      - .address_space:  global
        .offset:         8
        .size:           8
        .value_kind:     global_buffer
      - .offset:         16
        .size:           8
        .value_kind:     by_value
      - .address_space:  global
        .offset:         24
        .size:           8
        .value_kind:     global_buffer
      - .offset:         32
        .size:           8
        .value_kind:     by_value
      - .actual_access:  read_only
        .address_space:  global
        .offset:         40
        .size:           8
        .value_kind:     global_buffer
      - .offset:         48
        .size:           8
        .value_kind:     by_value
      - .offset:         56
        .size:           4
        .value_kind:     by_value
      - .offset:         64
        .size:           8
        .value_kind:     by_value
      - .actual_access:  read_only
        .address_space:  global
        .offset:         72
        .size:           8
        .value_kind:     global_buffer
      - .offset:         80
        .size:           4
        .value_kind:     by_value
      - .offset:         88
        .size:           4
        .value_kind:     hidden_block_count_x
      - .offset:         92
        .size:           4
        .value_kind:     hidden_block_count_y
      - .offset:         96
        .size:           4
        .value_kind:     hidden_block_count_z
      - .offset:         100
        .size:           2
        .value_kind:     hidden_group_size_x
      - .offset:         102
        .size:           2
        .value_kind:     hidden_group_size_y
      - .offset:         104
        .size:           2
        .value_kind:     hidden_group_size_z
      - .offset:         106
        .size:           2
        .value_kind:     hidden_remainder_x
      - .offset:         108
        .size:           2
        .value_kind:     hidden_remainder_y
      - .offset:         110
        .size:           2
        .value_kind:     hidden_remainder_z
      - .offset:         128
        .size:           8
        .value_kind:     hidden_global_offset_x
      - .offset:         136
        .size:           8
        .value_kind:     hidden_global_offset_y
      - .offset:         144
        .size:           8
        .value_kind:     hidden_global_offset_z
      - .offset:         152
        .size:           2
        .value_kind:     hidden_grid_dims
    .group_segment_fixed_size: 0
    .kernarg_segment_align: 8
    .kernarg_segment_size: 344
    .language:       OpenCL C
    .language_version:
      - 2
      - 0
    .max_flat_workgroup_size: 64
    .name:           _ZL36rocblas_hemvn_kernel_lower_block_sumILi64EiPK19rocblas_complex_numIdEPKPS1_S1_EviT1_lS7_lT2_lT0_lPT3_i
    .private_segment_fixed_size: 0
    .sgpr_count:     26
    .sgpr_spill_count: 0
    .symbol:         _ZL36rocblas_hemvn_kernel_lower_block_sumILi64EiPK19rocblas_complex_numIdEPKPS1_S1_EviT1_lS7_lT2_lT0_lPT3_i.kd
    .uniform_work_group_size: 1
    .uses_dynamic_stack: false
    .vgpr_count:     13
    .vgpr_spill_count: 0
    .wavefront_size: 32
    .workgroup_processor_mode: 1
  - .args:
      - .offset:         0
        .size:           4
        .value_kind:     by_value
      - .offset:         8
        .size:           16
        .value_kind:     by_value
      - .offset:         24
        .size:           8
        .value_kind:     by_value
      - .address_space:  global
        .offset:         32
        .size:           8
        .value_kind:     global_buffer
      - .offset:         40
        .size:           8
        .value_kind:     by_value
      - .offset:         48
        .size:           8
        .value_kind:     by_value
      - .offset:         56
        .size:           8
        .value_kind:     by_value
      - .address_space:  global
        .offset:         64
        .size:           8
        .value_kind:     global_buffer
      - .offset:         72
        .size:           8
        .value_kind:     by_value
      - .offset:         80
        .size:           8
        .value_kind:     by_value
      - .offset:         88
        .size:           8
        .value_kind:     by_value
      - .offset:         96
        .size:           16
        .value_kind:     by_value
      - .offset:         112
        .size:           8
        .value_kind:     by_value
      - .address_space:  global
        .offset:         120
        .size:           8
        .value_kind:     global_buffer
      - .offset:         128
        .size:           4
        .value_kind:     by_value
      - .offset:         136
        .size:           4
        .value_kind:     hidden_block_count_x
      - .offset:         140
        .size:           4
        .value_kind:     hidden_block_count_y
      - .offset:         144
        .size:           4
        .value_kind:     hidden_block_count_z
      - .offset:         148
        .size:           2
        .value_kind:     hidden_group_size_x
      - .offset:         150
        .size:           2
        .value_kind:     hidden_group_size_y
      - .offset:         152
        .size:           2
        .value_kind:     hidden_group_size_z
      - .offset:         154
        .size:           2
        .value_kind:     hidden_remainder_x
      - .offset:         156
        .size:           2
        .value_kind:     hidden_remainder_y
      - .offset:         158
        .size:           2
        .value_kind:     hidden_remainder_z
      - .offset:         176
        .size:           8
        .value_kind:     hidden_global_offset_x
      - .offset:         184
        .size:           8
        .value_kind:     hidden_global_offset_y
      - .offset:         192
        .size:           8
        .value_kind:     hidden_global_offset_z
      - .offset:         200
        .size:           2
        .value_kind:     hidden_grid_dims
    .group_segment_fixed_size: 19200
    .kernarg_segment_align: 8
    .kernarg_segment_size: 392
    .language:       OpenCL C
    .language_version:
      - 2
      - 0
    .max_flat_workgroup_size: 256
    .name:           _ZL26rocblas_hemvn_kernel_lowerILb1ELi64ELi4ELi33ELi32ELi16El19rocblas_complex_numIdEPKPKS1_PS1_EviT6_lT7_lT5_lS8_lS9_lS7_lT8_i
    .private_segment_fixed_size: 0
    .sgpr_count:     34
    .sgpr_spill_count: 0
    .symbol:         _ZL26rocblas_hemvn_kernel_lowerILb1ELi64ELi4ELi33ELi32ELi16El19rocblas_complex_numIdEPKPKS1_PS1_EviT6_lT7_lT5_lS8_lS9_lS7_lT8_i.kd
    .uniform_work_group_size: 1
    .uses_dynamic_stack: false
    .vgpr_count:     179
    .vgpr_spill_count: 0
    .wavefront_size: 32
    .workgroup_processor_mode: 1
  - .args:
      - .offset:         0
        .size:           4
        .value_kind:     by_value
      - .offset:         8
        .size:           16
        .value_kind:     by_value
      - .offset:         24
        .size:           8
        .value_kind:     by_value
      - .offset:         32
        .size:           16
        .value_kind:     by_value
      - .offset:         48
        .size:           8
        .value_kind:     by_value
      - .actual_access:  read_only
        .address_space:  global
        .offset:         56
        .size:           8
        .value_kind:     global_buffer
      - .offset:         64
        .size:           8
        .value_kind:     by_value
      - .offset:         72
        .size:           8
        .value_kind:     by_value
      - .offset:         80
        .size:           8
        .value_kind:     by_value
      - .actual_access:  read_only
        .address_space:  global
        .offset:         88
        .size:           8
        .value_kind:     global_buffer
      - .offset:         96
        .size:           4
        .value_kind:     by_value
      - .offset:         104
        .size:           4
        .value_kind:     hidden_block_count_x
      - .offset:         108
        .size:           4
        .value_kind:     hidden_block_count_y
      - .offset:         112
        .size:           4
        .value_kind:     hidden_block_count_z
      - .offset:         116
        .size:           2
        .value_kind:     hidden_group_size_x
      - .offset:         118
        .size:           2
        .value_kind:     hidden_group_size_y
      - .offset:         120
        .size:           2
        .value_kind:     hidden_group_size_z
      - .offset:         122
        .size:           2
        .value_kind:     hidden_remainder_x
      - .offset:         124
        .size:           2
        .value_kind:     hidden_remainder_y
      - .offset:         126
        .size:           2
        .value_kind:     hidden_remainder_z
      - .offset:         144
        .size:           8
        .value_kind:     hidden_global_offset_x
      - .offset:         152
        .size:           8
        .value_kind:     hidden_global_offset_y
      - .offset:         160
        .size:           8
        .value_kind:     hidden_global_offset_z
      - .offset:         168
        .size:           2
        .value_kind:     hidden_grid_dims
    .group_segment_fixed_size: 0
    .kernarg_segment_align: 8
    .kernarg_segment_size: 360
    .language:       OpenCL C
    .language_version:
      - 2
      - 0
    .max_flat_workgroup_size: 64
    .name:           _ZL36rocblas_hemvn_kernel_lower_block_sumILi64El19rocblas_complex_numIdEPKPS1_S1_EviT1_lS5_lT2_lT0_lPT3_i
    .private_segment_fixed_size: 0
    .sgpr_count:     26
    .sgpr_spill_count: 0
    .symbol:         _ZL36rocblas_hemvn_kernel_lower_block_sumILi64El19rocblas_complex_numIdEPKPS1_S1_EviT1_lS5_lT2_lT0_lPT3_i.kd
    .uniform_work_group_size: 1
    .uses_dynamic_stack: false
    .vgpr_count:     13
    .vgpr_spill_count: 0
    .wavefront_size: 32
    .workgroup_processor_mode: 1
  - .args:
      - .offset:         0
        .size:           4
        .value_kind:     by_value
      - .offset:         8
        .size:           16
        .value_kind:     by_value
      - .offset:         24
        .size:           8
        .value_kind:     by_value
      - .address_space:  global
        .offset:         32
        .size:           8
        .value_kind:     global_buffer
      - .offset:         40
        .size:           8
        .value_kind:     by_value
      - .offset:         48
        .size:           4
        .value_kind:     by_value
      - .offset:         56
        .size:           8
        .value_kind:     by_value
      - .address_space:  global
        .offset:         64
        .size:           8
        .value_kind:     global_buffer
      - .offset:         72
        .size:           8
        .value_kind:     by_value
      - .offset:         80
        .size:           4
        .value_kind:     by_value
      - .offset:         88
        .size:           8
        .value_kind:     by_value
      - .offset:         96
        .size:           16
        .value_kind:     by_value
      - .offset:         112
        .size:           8
        .value_kind:     by_value
      - .address_space:  global
        .offset:         120
        .size:           8
        .value_kind:     global_buffer
      - .offset:         128
        .size:           4
        .value_kind:     by_value
      - .offset:         136
        .size:           4
        .value_kind:     hidden_block_count_x
      - .offset:         140
        .size:           4
        .value_kind:     hidden_block_count_y
      - .offset:         144
        .size:           4
        .value_kind:     hidden_block_count_z
      - .offset:         148
        .size:           2
        .value_kind:     hidden_group_size_x
      - .offset:         150
        .size:           2
        .value_kind:     hidden_group_size_y
      - .offset:         152
        .size:           2
        .value_kind:     hidden_group_size_z
      - .offset:         154
        .size:           2
        .value_kind:     hidden_remainder_x
      - .offset:         156
        .size:           2
        .value_kind:     hidden_remainder_y
      - .offset:         158
        .size:           2
        .value_kind:     hidden_remainder_z
      - .offset:         176
        .size:           8
        .value_kind:     hidden_global_offset_x
      - .offset:         184
        .size:           8
        .value_kind:     hidden_global_offset_y
      - .offset:         192
        .size:           8
        .value_kind:     hidden_global_offset_z
      - .offset:         200
        .size:           2
        .value_kind:     hidden_grid_dims
    .group_segment_fixed_size: 19200
    .kernarg_segment_align: 8
    .kernarg_segment_size: 392
    .language:       OpenCL C
    .language_version:
      - 2
      - 0
    .max_flat_workgroup_size: 256
    .name:           _ZL26rocblas_hemvn_kernel_lowerILb1ELi64ELi4ELi33ELi32ELi16Ei19rocblas_complex_numIdEPKPKS1_PS1_EviT6_lT7_lT5_lS8_lS9_lS7_lT8_i
    .private_segment_fixed_size: 0
    .sgpr_count:     32
    .sgpr_spill_count: 0
    .symbol:         _ZL26rocblas_hemvn_kernel_lowerILb1ELi64ELi4ELi33ELi32ELi16Ei19rocblas_complex_numIdEPKPKS1_PS1_EviT6_lT7_lT5_lS8_lS9_lS7_lT8_i.kd
    .uniform_work_group_size: 1
    .uses_dynamic_stack: false
    .vgpr_count:     177
    .vgpr_spill_count: 0
    .wavefront_size: 32
    .workgroup_processor_mode: 1
  - .args:
      - .offset:         0
        .size:           4
        .value_kind:     by_value
      - .offset:         8
        .size:           16
        .value_kind:     by_value
      - .offset:         24
        .size:           8
        .value_kind:     by_value
      - .offset:         32
        .size:           16
        .value_kind:     by_value
      - .offset:         48
        .size:           8
        .value_kind:     by_value
      - .actual_access:  read_only
        .address_space:  global
        .offset:         56
        .size:           8
        .value_kind:     global_buffer
      - .offset:         64
        .size:           8
        .value_kind:     by_value
      - .offset:         72
        .size:           4
        .value_kind:     by_value
      - .offset:         80
        .size:           8
        .value_kind:     by_value
      - .actual_access:  read_only
        .address_space:  global
        .offset:         88
        .size:           8
        .value_kind:     global_buffer
      - .offset:         96
        .size:           4
        .value_kind:     by_value
      - .offset:         104
        .size:           4
        .value_kind:     hidden_block_count_x
      - .offset:         108
        .size:           4
        .value_kind:     hidden_block_count_y
      - .offset:         112
        .size:           4
        .value_kind:     hidden_block_count_z
      - .offset:         116
        .size:           2
        .value_kind:     hidden_group_size_x
      - .offset:         118
        .size:           2
        .value_kind:     hidden_group_size_y
      - .offset:         120
        .size:           2
        .value_kind:     hidden_group_size_z
      - .offset:         122
        .size:           2
        .value_kind:     hidden_remainder_x
      - .offset:         124
        .size:           2
        .value_kind:     hidden_remainder_y
      - .offset:         126
        .size:           2
        .value_kind:     hidden_remainder_z
      - .offset:         144
        .size:           8
        .value_kind:     hidden_global_offset_x
      - .offset:         152
        .size:           8
        .value_kind:     hidden_global_offset_y
      - .offset:         160
        .size:           8
        .value_kind:     hidden_global_offset_z
      - .offset:         168
        .size:           2
        .value_kind:     hidden_grid_dims
    .group_segment_fixed_size: 0
    .kernarg_segment_align: 8
    .kernarg_segment_size: 360
    .language:       OpenCL C
    .language_version:
      - 2
      - 0
    .max_flat_workgroup_size: 64
    .name:           _ZL36rocblas_hemvn_kernel_lower_block_sumILi64Ei19rocblas_complex_numIdEPKPS1_S1_EviT1_lS5_lT2_lT0_lPT3_i
    .private_segment_fixed_size: 0
    .sgpr_count:     26
    .sgpr_spill_count: 0
    .symbol:         _ZL36rocblas_hemvn_kernel_lower_block_sumILi64Ei19rocblas_complex_numIdEPKPS1_S1_EviT1_lS5_lT2_lT0_lPT3_i.kd
    .uniform_work_group_size: 1
    .uses_dynamic_stack: false
    .vgpr_count:     13
    .vgpr_spill_count: 0
    .wavefront_size: 32
    .workgroup_processor_mode: 1
  - .args:
      - .offset:         0
        .size:           1
        .value_kind:     by_value
      - .offset:         4
        .size:           4
        .value_kind:     by_value
      - .offset:         8
        .size:           8
        .value_kind:     by_value
      - .offset:         16
        .size:           8
        .value_kind:     by_value
      - .address_space:  global
        .offset:         24
        .size:           8
        .value_kind:     global_buffer
      - .offset:         32
        .size:           8
        .value_kind:     by_value
      - .offset:         40
        .size:           8
        .value_kind:     by_value
      - .offset:         48
        .size:           8
        .value_kind:     by_value
      - .address_space:  global
        .offset:         56
        .size:           8
        .value_kind:     global_buffer
      - .offset:         64
        .size:           8
        .value_kind:     by_value
      - .offset:         72
        .size:           8
        .value_kind:     by_value
      - .offset:         80
        .size:           8
        .value_kind:     by_value
      - .offset:         88
        .size:           8
        .value_kind:     by_value
      - .offset:         96
        .size:           8
        .value_kind:     by_value
      - .address_space:  global
        .offset:         104
        .size:           8
        .value_kind:     global_buffer
      - .offset:         112
        .size:           8
        .value_kind:     by_value
      - .offset:         120
        .size:           8
        .value_kind:     by_value
      - .offset:         128
        .size:           8
        .value_kind:     by_value
      - .offset:         136
        .size:           4
        .value_kind:     by_value
    .group_segment_fixed_size: 5248
    .kernarg_segment_align: 8
    .kernarg_segment_size: 140
    .language:       OpenCL C
    .language_version:
      - 2
      - 0
    .max_flat_workgroup_size: 128
    .name:           _ZL50rocblas_symv_kernel_upper_double_buffered_diagonalILi32ELi4E24rocblas_internal_val_ptrIfEPKfPfEvbiT1_lT2_lllS6_lllS5_lT3_llli
    .private_segment_fixed_size: 0
    .sgpr_count:     36
    .sgpr_spill_count: 0
    .symbol:         _ZL50rocblas_symv_kernel_upper_double_buffered_diagonalILi32ELi4E24rocblas_internal_val_ptrIfEPKfPfEvbiT1_lT2_lllS6_lllS5_lT3_llli.kd
    .uniform_work_group_size: 1
    .uses_dynamic_stack: false
    .vgpr_count:     19
    .vgpr_spill_count: 0
    .wavefront_size: 32
    .workgroup_processor_mode: 1
  - .args:
      - .offset:         0
        .size:           1
        .value_kind:     by_value
      - .offset:         4
        .size:           4
        .value_kind:     by_value
      - .offset:         8
        .size:           8
        .value_kind:     by_value
      - .offset:         16
        .size:           8
        .value_kind:     by_value
      - .address_space:  global
        .offset:         24
        .size:           8
        .value_kind:     global_buffer
      - .offset:         32
        .size:           8
        .value_kind:     by_value
      - .offset:         40
        .size:           8
        .value_kind:     by_value
      - .offset:         48
        .size:           8
        .value_kind:     by_value
      - .address_space:  global
        .offset:         56
        .size:           8
        .value_kind:     global_buffer
      - .offset:         64
        .size:           8
        .value_kind:     by_value
      - .offset:         72
        .size:           8
        .value_kind:     by_value
      - .offset:         80
        .size:           8
        .value_kind:     by_value
      - .address_space:  global
        .offset:         88
        .size:           8
        .value_kind:     global_buffer
      - .offset:         96
        .size:           8
        .value_kind:     by_value
      - .offset:         104
        .size:           8
        .value_kind:     by_value
      - .offset:         112
        .size:           8
        .value_kind:     by_value
      - .offset:         120
        .size:           4
        .value_kind:     by_value
      - .offset:         128
        .size:           4
        .value_kind:     hidden_block_count_x
      - .offset:         132
        .size:           4
        .value_kind:     hidden_block_count_y
      - .offset:         136
        .size:           4
        .value_kind:     hidden_block_count_z
      - .offset:         140
        .size:           2
        .value_kind:     hidden_group_size_x
      - .offset:         142
        .size:           2
        .value_kind:     hidden_group_size_y
      - .offset:         144
        .size:           2
        .value_kind:     hidden_group_size_z
      - .offset:         146
        .size:           2
        .value_kind:     hidden_remainder_x
      - .offset:         148
        .size:           2
        .value_kind:     hidden_remainder_y
      - .offset:         150
        .size:           2
        .value_kind:     hidden_remainder_z
      - .offset:         168
        .size:           8
        .value_kind:     hidden_global_offset_x
      - .offset:         176
        .size:           8
        .value_kind:     hidden_global_offset_y
      - .offset:         184
        .size:           8
        .value_kind:     hidden_global_offset_z
      - .offset:         192
        .size:           2
        .value_kind:     hidden_grid_dims
    .group_segment_fixed_size: 3200
    .kernarg_segment_align: 8
    .kernarg_segment_size: 384
    .language:       OpenCL C
    .language_version:
      - 2
      - 0
    .max_flat_workgroup_size: 128
    .name:           _ZL54rocblas_symv_kernel_upper_double_buffered_non_diagonalILi32ELi4ELi4E24rocblas_internal_val_ptrIfEPKfPfEvbiT2_lT3_lllS6_lllT4_llli
    .private_segment_fixed_size: 0
    .sgpr_count:     38
    .sgpr_spill_count: 0
    .symbol:         _ZL54rocblas_symv_kernel_upper_double_buffered_non_diagonalILi32ELi4ELi4E24rocblas_internal_val_ptrIfEPKfPfEvbiT2_lT3_lllS6_lllT4_llli.kd
    .uniform_work_group_size: 1
    .uses_dynamic_stack: false
    .vgpr_count:     45
    .vgpr_spill_count: 0
    .wavefront_size: 32
    .workgroup_processor_mode: 1
  - .args:
      - .offset:         0
        .size:           1
        .value_kind:     by_value
      - .offset:         4
        .size:           4
        .value_kind:     by_value
      - .offset:         8
        .size:           8
        .value_kind:     by_value
      - .offset:         16
        .size:           8
        .value_kind:     by_value
      - .address_space:  global
        .offset:         24
        .size:           8
        .value_kind:     global_buffer
      - .offset:         32
        .size:           8
        .value_kind:     by_value
      - .offset:         40
        .size:           8
        .value_kind:     by_value
      - .offset:         48
        .size:           8
        .value_kind:     by_value
      - .address_space:  global
        .offset:         56
        .size:           8
        .value_kind:     global_buffer
      - .offset:         64
        .size:           8
        .value_kind:     by_value
      - .offset:         72
        .size:           8
        .value_kind:     by_value
      - .offset:         80
        .size:           8
        .value_kind:     by_value
      - .offset:         88
        .size:           8
        .value_kind:     by_value
      - .offset:         96
        .size:           8
        .value_kind:     by_value
      - .address_space:  global
        .offset:         104
        .size:           8
        .value_kind:     global_buffer
      - .offset:         112
        .size:           8
        .value_kind:     by_value
      - .offset:         120
        .size:           8
        .value_kind:     by_value
      - .offset:         128
        .size:           8
        .value_kind:     by_value
      - .offset:         136
        .size:           4
        .value_kind:     by_value
      - .offset:         140
        .size:           4
        .value_kind:     by_value
      - .offset:         144
        .size:           4
        .value_kind:     hidden_block_count_x
      - .offset:         148
        .size:           4
        .value_kind:     hidden_block_count_y
      - .offset:         152
        .size:           4
        .value_kind:     hidden_block_count_z
      - .offset:         156
        .size:           2
        .value_kind:     hidden_group_size_x
      - .offset:         158
        .size:           2
        .value_kind:     hidden_group_size_y
      - .offset:         160
        .size:           2
        .value_kind:     hidden_group_size_z
      - .offset:         162
        .size:           2
        .value_kind:     hidden_remainder_x
      - .offset:         164
        .size:           2
        .value_kind:     hidden_remainder_y
      - .offset:         166
        .size:           2
        .value_kind:     hidden_remainder_z
      - .offset:         184
        .size:           8
        .value_kind:     hidden_global_offset_x
      - .offset:         192
        .size:           8
        .value_kind:     hidden_global_offset_y
      - .offset:         200
        .size:           8
        .value_kind:     hidden_global_offset_z
      - .offset:         208
        .size:           2
        .value_kind:     hidden_grid_dims
    .group_segment_fixed_size: 6272
    .kernarg_segment_align: 8
    .kernarg_segment_size: 400
    .language:       OpenCL C
    .language_version:
      - 2
      - 0
    .max_flat_workgroup_size: 256
    .name:           _ZL58rocblas_symv_kernel_upper_double_buffered_diagonal_genericILi32ELi8E24rocblas_internal_val_ptrIfEPKfPfEvbiT1_lT2_lllS6_lllS5_lT3_lllii
    .private_segment_fixed_size: 0
    .sgpr_count:     38
    .sgpr_spill_count: 0
    .symbol:         _ZL58rocblas_symv_kernel_upper_double_buffered_diagonal_genericILi32ELi8E24rocblas_internal_val_ptrIfEPKfPfEvbiT1_lT2_lllS6_lllS5_lT3_lllii.kd
    .uniform_work_group_size: 1
    .uses_dynamic_stack: false
    .vgpr_count:     17
    .vgpr_spill_count: 0
    .wavefront_size: 32
    .workgroup_processor_mode: 1
  - .args:
      - .offset:         0
        .size:           1
        .value_kind:     by_value
      - .offset:         4
        .size:           4
        .value_kind:     by_value
      - .offset:         8
        .size:           8
        .value_kind:     by_value
      - .offset:         16
        .size:           8
        .value_kind:     by_value
      - .address_space:  global
        .offset:         24
        .size:           8
        .value_kind:     global_buffer
      - .offset:         32
        .size:           8
        .value_kind:     by_value
      - .offset:         40
        .size:           8
        .value_kind:     by_value
      - .offset:         48
        .size:           8
        .value_kind:     by_value
      - .address_space:  global
        .offset:         56
        .size:           8
        .value_kind:     global_buffer
      - .offset:         64
        .size:           8
        .value_kind:     by_value
      - .offset:         72
        .size:           8
        .value_kind:     by_value
      - .offset:         80
        .size:           8
        .value_kind:     by_value
      - .address_space:  global
        .offset:         88
        .size:           8
        .value_kind:     global_buffer
      - .offset:         96
        .size:           8
        .value_kind:     by_value
      - .offset:         104
        .size:           8
        .value_kind:     by_value
      - .offset:         112
        .size:           8
        .value_kind:     by_value
      - .offset:         120
        .size:           4
        .value_kind:     by_value
      - .offset:         124
        .size:           4
        .value_kind:     by_value
      - .offset:         128
        .size:           4
        .value_kind:     hidden_block_count_x
      - .offset:         132
        .size:           4
        .value_kind:     hidden_block_count_y
      - .offset:         136
        .size:           4
        .value_kind:     hidden_block_count_z
      - .offset:         140
        .size:           2
        .value_kind:     hidden_group_size_x
      - .offset:         142
        .size:           2
        .value_kind:     hidden_group_size_y
      - .offset:         144
        .size:           2
        .value_kind:     hidden_group_size_z
      - .offset:         146
        .size:           2
        .value_kind:     hidden_remainder_x
      - .offset:         148
        .size:           2
        .value_kind:     hidden_remainder_y
      - .offset:         150
        .size:           2
        .value_kind:     hidden_remainder_z
      - .offset:         168
        .size:           8
        .value_kind:     hidden_global_offset_x
      - .offset:         176
        .size:           8
        .value_kind:     hidden_global_offset_y
      - .offset:         184
        .size:           8
        .value_kind:     hidden_global_offset_z
      - .offset:         192
        .size:           2
        .value_kind:     hidden_grid_dims
    .group_segment_fixed_size: 4224
    .kernarg_segment_align: 8
    .kernarg_segment_size: 384
    .language:       OpenCL C
    .language_version:
      - 2
      - 0
    .max_flat_workgroup_size: 256
    .name:           _ZL62rocblas_symv_kernel_upper_double_buffered_non_diagonal_genericILi32ELi8ELi2ELi0E24rocblas_internal_val_ptrIfEPKfPfEvbiT3_lT4_lllS6_lllT5_lllii
    .private_segment_fixed_size: 0
    .sgpr_count:     38
    .sgpr_spill_count: 0
    .symbol:         _ZL62rocblas_symv_kernel_upper_double_buffered_non_diagonal_genericILi32ELi8ELi2ELi0E24rocblas_internal_val_ptrIfEPKfPfEvbiT3_lT4_lllS6_lllT5_lllii.kd
    .uniform_work_group_size: 1
    .uses_dynamic_stack: false
    .vgpr_count:     38
    .vgpr_spill_count: 0
    .wavefront_size: 32
    .workgroup_processor_mode: 1
  - .args:
      - .offset:         0
        .size:           1
        .value_kind:     by_value
      - .offset:         4
        .size:           4
        .value_kind:     by_value
      - .offset:         8
        .size:           8
        .value_kind:     by_value
      - .offset:         16
        .size:           8
        .value_kind:     by_value
      - .address_space:  global
        .offset:         24
        .size:           8
        .value_kind:     global_buffer
      - .offset:         32
        .size:           8
        .value_kind:     by_value
      - .offset:         40
        .size:           8
        .value_kind:     by_value
      - .offset:         48
        .size:           8
        .value_kind:     by_value
      - .address_space:  global
        .offset:         56
        .size:           8
        .value_kind:     global_buffer
      - .offset:         64
        .size:           8
        .value_kind:     by_value
      - .offset:         72
        .size:           8
        .value_kind:     by_value
      - .offset:         80
        .size:           8
        .value_kind:     by_value
      - .address_space:  global
        .offset:         88
        .size:           8
        .value_kind:     global_buffer
      - .offset:         96
        .size:           8
        .value_kind:     by_value
      - .offset:         104
        .size:           8
        .value_kind:     by_value
      - .offset:         112
        .size:           8
        .value_kind:     by_value
      - .offset:         120
        .size:           4
        .value_kind:     by_value
      - .offset:         124
        .size:           4
        .value_kind:     by_value
      - .offset:         128
        .size:           4
        .value_kind:     hidden_block_count_x
      - .offset:         132
        .size:           4
        .value_kind:     hidden_block_count_y
      - .offset:         136
        .size:           4
        .value_kind:     hidden_block_count_z
      - .offset:         140
        .size:           2
        .value_kind:     hidden_group_size_x
      - .offset:         142
        .size:           2
        .value_kind:     hidden_group_size_y
      - .offset:         144
        .size:           2
        .value_kind:     hidden_group_size_z
      - .offset:         146
        .size:           2
        .value_kind:     hidden_remainder_x
      - .offset:         148
        .size:           2
        .value_kind:     hidden_remainder_y
      - .offset:         150
        .size:           2
        .value_kind:     hidden_remainder_z
      - .offset:         168
        .size:           8
        .value_kind:     hidden_global_offset_x
      - .offset:         176
        .size:           8
        .value_kind:     hidden_global_offset_y
      - .offset:         184
        .size:           8
        .value_kind:     hidden_global_offset_z
      - .offset:         192
        .size:           2
        .value_kind:     hidden_grid_dims
    .group_segment_fixed_size: 4224
    .kernarg_segment_align: 8
    .kernarg_segment_size: 384
    .language:       OpenCL C
    .language_version:
      - 2
      - 0
    .max_flat_workgroup_size: 256
    .name:           _ZL62rocblas_symv_kernel_upper_double_buffered_non_diagonal_genericILi32ELi8ELi2ELi1E24rocblas_internal_val_ptrIfEPKfPfEvbiT3_lT4_lllS6_lllT5_lllii
    .private_segment_fixed_size: 0
    .sgpr_count:     37
    .sgpr_spill_count: 0
    .symbol:         _ZL62rocblas_symv_kernel_upper_double_buffered_non_diagonal_genericILi32ELi8ELi2ELi1E24rocblas_internal_val_ptrIfEPKfPfEvbiT3_lT4_lllS6_lllT5_lllii.kd
    .uniform_work_group_size: 1
    .uses_dynamic_stack: false
    .vgpr_count:     41
    .vgpr_spill_count: 0
    .wavefront_size: 32
    .workgroup_processor_mode: 1
  - .args:
      - .offset:         0
        .size:           4
        .value_kind:     by_value
      - .address_space:  global
        .offset:         8
        .size:           8
        .value_kind:     global_buffer
      - .offset:         16
        .size:           8
        .value_kind:     by_value
      - .address_space:  global
        .offset:         24
        .size:           8
        .value_kind:     global_buffer
      - .offset:         32
        .size:           8
        .value_kind:     by_value
      - .offset:         40
        .size:           8
        .value_kind:     by_value
      - .offset:         48
        .size:           8
        .value_kind:     by_value
      - .address_space:  global
        .offset:         56
        .size:           8
        .value_kind:     global_buffer
      - .offset:         64
        .size:           8
        .value_kind:     by_value
      - .offset:         72
        .size:           8
        .value_kind:     by_value
      - .offset:         80
        .size:           8
        .value_kind:     by_value
      - .address_space:  global
        .offset:         88
        .size:           8
        .value_kind:     global_buffer
      - .offset:         96
        .size:           8
        .value_kind:     by_value
      - .address_space:  global
        .offset:         104
        .size:           8
        .value_kind:     global_buffer
      - .offset:         112
        .size:           4
        .value_kind:     by_value
      - .offset:         120
        .size:           4
        .value_kind:     hidden_block_count_x
      - .offset:         124
        .size:           4
        .value_kind:     hidden_block_count_y
      - .offset:         128
        .size:           4
        .value_kind:     hidden_block_count_z
      - .offset:         132
        .size:           2
        .value_kind:     hidden_group_size_x
      - .offset:         134
        .size:           2
        .value_kind:     hidden_group_size_y
      - .offset:         136
        .size:           2
        .value_kind:     hidden_group_size_z
      - .offset:         138
        .size:           2
        .value_kind:     hidden_remainder_x
      - .offset:         140
        .size:           2
        .value_kind:     hidden_remainder_y
      - .offset:         142
        .size:           2
        .value_kind:     hidden_remainder_z
      - .offset:         160
        .size:           8
        .value_kind:     hidden_global_offset_x
      - .offset:         168
        .size:           8
        .value_kind:     hidden_global_offset_y
      - .offset:         176
        .size:           8
        .value_kind:     hidden_global_offset_z
      - .offset:         184
        .size:           2
        .value_kind:     hidden_grid_dims
    .group_segment_fixed_size: 4800
    .kernarg_segment_align: 8
    .kernarg_segment_size: 376
    .language:       OpenCL C
    .language_version:
      - 2
      - 0
    .max_flat_workgroup_size: 256
    .name:           _ZL26rocblas_hemvn_kernel_upperILb0ELi64ELi4ELi33ELi32ELi16ElPKfS1_PfEviT6_lT7_lT5_lS4_lS5_lS3_lT8_i
    .private_segment_fixed_size: 0
    .sgpr_count:     34
    .sgpr_spill_count: 0
    .symbol:         _ZL26rocblas_hemvn_kernel_upperILb0ELi64ELi4ELi33ELi32ELi16ElPKfS1_PfEviT6_lT7_lT5_lS4_lS5_lS3_lT8_i.kd
    .uniform_work_group_size: 1
    .uses_dynamic_stack: false
    .vgpr_count:     97
    .vgpr_spill_count: 0
    .wavefront_size: 32
    .workgroup_processor_mode: 1
  - .args:
      - .offset:         0
        .size:           4
        .value_kind:     by_value
      - .address_space:  global
        .offset:         8
        .size:           8
        .value_kind:     global_buffer
      - .offset:         16
        .size:           8
        .value_kind:     by_value
      - .address_space:  global
        .offset:         24
        .size:           8
        .value_kind:     global_buffer
      - .offset:         32
        .size:           8
        .value_kind:     by_value
      - .address_space:  global
        .offset:         40
        .size:           8
        .value_kind:     global_buffer
      - .offset:         48
        .size:           8
        .value_kind:     by_value
      - .offset:         56
        .size:           8
        .value_kind:     by_value
      - .offset:         64
        .size:           8
        .value_kind:     by_value
      - .address_space:  global
        .offset:         72
        .size:           8
        .value_kind:     global_buffer
      - .offset:         80
        .size:           4
        .value_kind:     by_value
      - .offset:         88
        .size:           4
        .value_kind:     hidden_block_count_x
      - .offset:         92
        .size:           4
        .value_kind:     hidden_block_count_y
      - .offset:         96
        .size:           4
        .value_kind:     hidden_block_count_z
      - .offset:         100
        .size:           2
        .value_kind:     hidden_group_size_x
      - .offset:         102
        .size:           2
        .value_kind:     hidden_group_size_y
      - .offset:         104
        .size:           2
        .value_kind:     hidden_group_size_z
      - .offset:         106
        .size:           2
        .value_kind:     hidden_remainder_x
      - .offset:         108
        .size:           2
        .value_kind:     hidden_remainder_y
      - .offset:         110
        .size:           2
        .value_kind:     hidden_remainder_z
      - .offset:         128
        .size:           8
        .value_kind:     hidden_global_offset_x
      - .offset:         136
        .size:           8
        .value_kind:     hidden_global_offset_y
      - .offset:         144
        .size:           8
        .value_kind:     hidden_global_offset_z
      - .offset:         152
        .size:           2
        .value_kind:     hidden_grid_dims
    .group_segment_fixed_size: 0
    .kernarg_segment_align: 8
    .kernarg_segment_size: 344
    .language:       OpenCL C
    .language_version:
      - 2
      - 0
    .max_flat_workgroup_size: 64
    .name:           _ZL36rocblas_hemvn_kernel_upper_block_sumILi64ElPKfPffEviT1_lS3_lT2_lT0_lPT3_i
    .private_segment_fixed_size: 0
    .sgpr_count:     21
    .sgpr_spill_count: 0
    .symbol:         _ZL36rocblas_hemvn_kernel_upper_block_sumILi64ElPKfPffEviT1_lS3_lT2_lT0_lPT3_i.kd
    .uniform_work_group_size: 1
    .uses_dynamic_stack: false
    .vgpr_count:     7
    .vgpr_spill_count: 0
    .wavefront_size: 32
    .workgroup_processor_mode: 1
  - .args:
      - .offset:         0
        .size:           4
        .value_kind:     by_value
      - .address_space:  global
        .offset:         8
        .size:           8
        .value_kind:     global_buffer
      - .offset:         16
        .size:           8
        .value_kind:     by_value
      - .address_space:  global
        .offset:         24
        .size:           8
        .value_kind:     global_buffer
      - .offset:         32
        .size:           8
        .value_kind:     by_value
      - .offset:         40
        .size:           4
        .value_kind:     by_value
      - .offset:         48
        .size:           8
        .value_kind:     by_value
      - .address_space:  global
        .offset:         56
        .size:           8
        .value_kind:     global_buffer
      - .offset:         64
        .size:           8
        .value_kind:     by_value
      - .offset:         72
        .size:           4
        .value_kind:     by_value
      - .offset:         80
        .size:           8
        .value_kind:     by_value
      - .address_space:  global
        .offset:         88
        .size:           8
        .value_kind:     global_buffer
      - .offset:         96
        .size:           8
        .value_kind:     by_value
      - .address_space:  global
        .offset:         104
        .size:           8
        .value_kind:     global_buffer
      - .offset:         112
        .size:           4
        .value_kind:     by_value
      - .offset:         120
        .size:           4
        .value_kind:     hidden_block_count_x
      - .offset:         124
        .size:           4
        .value_kind:     hidden_block_count_y
      - .offset:         128
        .size:           4
        .value_kind:     hidden_block_count_z
      - .offset:         132
        .size:           2
        .value_kind:     hidden_group_size_x
      - .offset:         134
        .size:           2
        .value_kind:     hidden_group_size_y
      - .offset:         136
        .size:           2
        .value_kind:     hidden_group_size_z
      - .offset:         138
        .size:           2
        .value_kind:     hidden_remainder_x
      - .offset:         140
        .size:           2
        .value_kind:     hidden_remainder_y
      - .offset:         142
        .size:           2
        .value_kind:     hidden_remainder_z
      - .offset:         160
        .size:           8
        .value_kind:     hidden_global_offset_x
      - .offset:         168
        .size:           8
        .value_kind:     hidden_global_offset_y
      - .offset:         176
        .size:           8
        .value_kind:     hidden_global_offset_z
      - .offset:         184
        .size:           2
        .value_kind:     hidden_grid_dims
    .group_segment_fixed_size: 4800
    .kernarg_segment_align: 8
    .kernarg_segment_size: 376
    .language:       OpenCL C
    .language_version:
      - 2
      - 0
    .max_flat_workgroup_size: 256
    .name:           _ZL26rocblas_hemvn_kernel_upperILb0ELi64ELi4ELi33ELi32ELi16EiPKfS1_PfEviT6_lT7_lT5_lS4_lS5_lS3_lT8_i
    .private_segment_fixed_size: 0
    .sgpr_count:     42
    .sgpr_spill_count: 0
    .symbol:         _ZL26rocblas_hemvn_kernel_upperILb0ELi64ELi4ELi33ELi32ELi16EiPKfS1_PfEviT6_lT7_lT5_lS4_lS5_lS3_lT8_i.kd
    .uniform_work_group_size: 1
    .uses_dynamic_stack: false
    .vgpr_count:     127
    .vgpr_spill_count: 0
    .wavefront_size: 32
    .workgroup_processor_mode: 1
  - .args:
      - .offset:         0
        .size:           4
        .value_kind:     by_value
      - .address_space:  global
        .offset:         8
        .size:           8
        .value_kind:     global_buffer
      - .offset:         16
        .size:           8
        .value_kind:     by_value
      - .address_space:  global
        .offset:         24
        .size:           8
        .value_kind:     global_buffer
      - .offset:         32
        .size:           8
        .value_kind:     by_value
      - .address_space:  global
        .offset:         40
        .size:           8
        .value_kind:     global_buffer
      - .offset:         48
        .size:           8
        .value_kind:     by_value
      - .offset:         56
        .size:           4
        .value_kind:     by_value
      - .offset:         64
        .size:           8
        .value_kind:     by_value
      - .address_space:  global
        .offset:         72
        .size:           8
        .value_kind:     global_buffer
      - .offset:         80
        .size:           4
        .value_kind:     by_value
      - .offset:         88
        .size:           4
        .value_kind:     hidden_block_count_x
      - .offset:         92
        .size:           4
        .value_kind:     hidden_block_count_y
      - .offset:         96
        .size:           4
        .value_kind:     hidden_block_count_z
      - .offset:         100
        .size:           2
        .value_kind:     hidden_group_size_x
      - .offset:         102
        .size:           2
        .value_kind:     hidden_group_size_y
      - .offset:         104
        .size:           2
        .value_kind:     hidden_group_size_z
      - .offset:         106
        .size:           2
        .value_kind:     hidden_remainder_x
      - .offset:         108
        .size:           2
        .value_kind:     hidden_remainder_y
      - .offset:         110
        .size:           2
        .value_kind:     hidden_remainder_z
      - .offset:         128
        .size:           8
        .value_kind:     hidden_global_offset_x
      - .offset:         136
        .size:           8
        .value_kind:     hidden_global_offset_y
      - .offset:         144
        .size:           8
        .value_kind:     hidden_global_offset_z
      - .offset:         152
        .size:           2
        .value_kind:     hidden_grid_dims
    .group_segment_fixed_size: 0
    .kernarg_segment_align: 8
    .kernarg_segment_size: 344
    .language:       OpenCL C
    .language_version:
      - 2
      - 0
    .max_flat_workgroup_size: 64
    .name:           _ZL36rocblas_hemvn_kernel_upper_block_sumILi64EiPKfPffEviT1_lS3_lT2_lT0_lPT3_i
    .private_segment_fixed_size: 0
    .sgpr_count:     22
    .sgpr_spill_count: 0
    .symbol:         _ZL36rocblas_hemvn_kernel_upper_block_sumILi64EiPKfPffEviT1_lS3_lT2_lT0_lPT3_i.kd
    .uniform_work_group_size: 1
    .uses_dynamic_stack: false
    .vgpr_count:     6
    .vgpr_spill_count: 0
    .wavefront_size: 32
    .workgroup_processor_mode: 1
  - .args:
      - .offset:         0
        .size:           4
        .value_kind:     by_value
      - .offset:         4
        .size:           4
        .value_kind:     by_value
      - .offset:         8
        .size:           8
        .value_kind:     by_value
      - .address_space:  global
        .offset:         16
        .size:           8
        .value_kind:     global_buffer
      - .offset:         24
        .size:           8
        .value_kind:     by_value
      - .offset:         32
        .size:           8
        .value_kind:     by_value
      - .offset:         40
        .size:           8
        .value_kind:     by_value
      - .address_space:  global
        .offset:         48
        .size:           8
        .value_kind:     global_buffer
      - .offset:         56
        .size:           8
        .value_kind:     by_value
      - .offset:         64
        .size:           8
        .value_kind:     by_value
      - .offset:         72
        .size:           8
        .value_kind:     by_value
      - .offset:         80
        .size:           4
        .value_kind:     by_value
      - .offset:         88
        .size:           8
        .value_kind:     by_value
      - .address_space:  global
        .offset:         96
        .size:           8
        .value_kind:     global_buffer
      - .offset:         104
        .size:           4
        .value_kind:     by_value
      - .offset:         112
        .size:           4
        .value_kind:     hidden_block_count_x
      - .offset:         116
        .size:           4
        .value_kind:     hidden_block_count_y
      - .offset:         120
        .size:           4
        .value_kind:     hidden_block_count_z
      - .offset:         124
        .size:           2
        .value_kind:     hidden_group_size_x
      - .offset:         126
        .size:           2
        .value_kind:     hidden_group_size_y
      - .offset:         128
        .size:           2
        .value_kind:     hidden_group_size_z
      - .offset:         130
        .size:           2
        .value_kind:     hidden_remainder_x
      - .offset:         132
        .size:           2
        .value_kind:     hidden_remainder_y
      - .offset:         134
        .size:           2
        .value_kind:     hidden_remainder_z
      - .offset:         152
        .size:           8
        .value_kind:     hidden_global_offset_x
      - .offset:         160
        .size:           8
        .value_kind:     hidden_global_offset_y
      - .offset:         168
        .size:           8
        .value_kind:     hidden_global_offset_z
      - .offset:         176
        .size:           2
        .value_kind:     hidden_grid_dims
    .group_segment_fixed_size: 4800
    .kernarg_segment_align: 8
    .kernarg_segment_size: 368
    .language:       OpenCL C
    .language_version:
      - 2
      - 0
    .max_flat_workgroup_size: 256
    .name:           _ZL26rocblas_hemvn_kernel_upperILb0ELi64ELi4ELi33ELi32ELi16ElfPKfPfEviT6_lT7_lT5_lS4_lS5_lS3_lT8_i
    .private_segment_fixed_size: 0
    .sgpr_count:     34
    .sgpr_spill_count: 0
    .symbol:         _ZL26rocblas_hemvn_kernel_upperILb0ELi64ELi4ELi33ELi32ELi16ElfPKfPfEviT6_lT7_lT5_lS4_lS5_lS3_lT8_i.kd
    .uniform_work_group_size: 1
    .uses_dynamic_stack: false
    .vgpr_count:     111
    .vgpr_spill_count: 0
    .wavefront_size: 32
    .workgroup_processor_mode: 1
  - .args:
      - .offset:         0
        .size:           4
        .value_kind:     by_value
      - .offset:         4
        .size:           4
        .value_kind:     by_value
      - .offset:         8
        .size:           8
        .value_kind:     by_value
      - .offset:         16
        .size:           4
        .value_kind:     by_value
      - .offset:         24
        .size:           8
        .value_kind:     by_value
      - .address_space:  global
        .offset:         32
        .size:           8
        .value_kind:     global_buffer
      - .offset:         40
        .size:           8
        .value_kind:     by_value
      - .offset:         48
        .size:           8
        .value_kind:     by_value
      - .offset:         56
        .size:           8
        .value_kind:     by_value
      - .address_space:  global
        .offset:         64
        .size:           8
        .value_kind:     global_buffer
      - .offset:         72
        .size:           4
        .value_kind:     by_value
      - .offset:         80
        .size:           4
        .value_kind:     hidden_block_count_x
      - .offset:         84
        .size:           4
        .value_kind:     hidden_block_count_y
      - .offset:         88
        .size:           4
        .value_kind:     hidden_block_count_z
      - .offset:         92
        .size:           2
        .value_kind:     hidden_group_size_x
      - .offset:         94
        .size:           2
        .value_kind:     hidden_group_size_y
      - .offset:         96
        .size:           2
        .value_kind:     hidden_group_size_z
      - .offset:         98
        .size:           2
        .value_kind:     hidden_remainder_x
      - .offset:         100
        .size:           2
        .value_kind:     hidden_remainder_y
      - .offset:         102
        .size:           2
        .value_kind:     hidden_remainder_z
      - .offset:         120
        .size:           8
        .value_kind:     hidden_global_offset_x
      - .offset:         128
        .size:           8
        .value_kind:     hidden_global_offset_y
      - .offset:         136
        .size:           8
        .value_kind:     hidden_global_offset_z
      - .offset:         144
        .size:           2
        .value_kind:     hidden_grid_dims
    .group_segment_fixed_size: 0
    .kernarg_segment_align: 8
    .kernarg_segment_size: 336
    .language:       OpenCL C
    .language_version:
      - 2
      - 0
    .max_flat_workgroup_size: 64
    .name:           _ZL36rocblas_hemvn_kernel_upper_block_sumILi64ElfPffEviT1_lS1_lT2_lT0_lPT3_i
    .private_segment_fixed_size: 0
    .sgpr_count:     21
    .sgpr_spill_count: 0
    .symbol:         _ZL36rocblas_hemvn_kernel_upper_block_sumILi64ElfPffEviT1_lS1_lT2_lT0_lPT3_i.kd
    .uniform_work_group_size: 1
    .uses_dynamic_stack: false
    .vgpr_count:     7
    .vgpr_spill_count: 0
    .wavefront_size: 32
    .workgroup_processor_mode: 1
  - .args:
      - .offset:         0
        .size:           4
        .value_kind:     by_value
      - .offset:         4
        .size:           4
        .value_kind:     by_value
      - .offset:         8
        .size:           8
        .value_kind:     by_value
      - .address_space:  global
        .offset:         16
        .size:           8
        .value_kind:     global_buffer
      - .offset:         24
        .size:           8
        .value_kind:     by_value
      - .offset:         32
        .size:           4
        .value_kind:     by_value
      - .offset:         40
        .size:           8
        .value_kind:     by_value
      - .address_space:  global
        .offset:         48
        .size:           8
        .value_kind:     global_buffer
      - .offset:         56
        .size:           8
        .value_kind:     by_value
      - .offset:         64
        .size:           4
        .value_kind:     by_value
      - .offset:         72
        .size:           8
        .value_kind:     by_value
      - .offset:         80
        .size:           4
        .value_kind:     by_value
      - .offset:         88
        .size:           8
        .value_kind:     by_value
      - .address_space:  global
        .offset:         96
        .size:           8
        .value_kind:     global_buffer
      - .offset:         104
        .size:           4
        .value_kind:     by_value
      - .offset:         112
        .size:           4
        .value_kind:     hidden_block_count_x
      - .offset:         116
        .size:           4
        .value_kind:     hidden_block_count_y
      - .offset:         120
        .size:           4
        .value_kind:     hidden_block_count_z
      - .offset:         124
        .size:           2
        .value_kind:     hidden_group_size_x
      - .offset:         126
        .size:           2
        .value_kind:     hidden_group_size_y
      - .offset:         128
        .size:           2
        .value_kind:     hidden_group_size_z
      - .offset:         130
        .size:           2
        .value_kind:     hidden_remainder_x
      - .offset:         132
        .size:           2
        .value_kind:     hidden_remainder_y
      - .offset:         134
        .size:           2
        .value_kind:     hidden_remainder_z
      - .offset:         152
        .size:           8
        .value_kind:     hidden_global_offset_x
      - .offset:         160
        .size:           8
        .value_kind:     hidden_global_offset_y
      - .offset:         168
        .size:           8
        .value_kind:     hidden_global_offset_z
      - .offset:         176
        .size:           2
        .value_kind:     hidden_grid_dims
    .group_segment_fixed_size: 4800
    .kernarg_segment_align: 8
    .kernarg_segment_size: 368
    .language:       OpenCL C
    .language_version:
      - 2
      - 0
    .max_flat_workgroup_size: 256
    .name:           _ZL26rocblas_hemvn_kernel_upperILb0ELi64ELi4ELi33ELi32ELi16EifPKfPfEviT6_lT7_lT5_lS4_lS5_lS3_lT8_i
    .private_segment_fixed_size: 0
    .sgpr_count:     42
    .sgpr_spill_count: 0
    .symbol:         _ZL26rocblas_hemvn_kernel_upperILb0ELi64ELi4ELi33ELi32ELi16EifPKfPfEviT6_lT7_lT5_lS4_lS5_lS3_lT8_i.kd
    .uniform_work_group_size: 1
    .uses_dynamic_stack: false
    .vgpr_count:     127
    .vgpr_spill_count: 0
    .wavefront_size: 32
    .workgroup_processor_mode: 1
  - .args:
      - .offset:         0
        .size:           4
        .value_kind:     by_value
      - .offset:         4
        .size:           4
        .value_kind:     by_value
      - .offset:         8
        .size:           8
        .value_kind:     by_value
      - .offset:         16
        .size:           4
        .value_kind:     by_value
      - .offset:         24
        .size:           8
        .value_kind:     by_value
      - .address_space:  global
        .offset:         32
        .size:           8
        .value_kind:     global_buffer
      - .offset:         40
        .size:           8
        .value_kind:     by_value
      - .offset:         48
        .size:           4
        .value_kind:     by_value
      - .offset:         56
        .size:           8
        .value_kind:     by_value
      - .address_space:  global
        .offset:         64
        .size:           8
        .value_kind:     global_buffer
      - .offset:         72
        .size:           4
        .value_kind:     by_value
      - .offset:         80
        .size:           4
        .value_kind:     hidden_block_count_x
      - .offset:         84
        .size:           4
        .value_kind:     hidden_block_count_y
      - .offset:         88
        .size:           4
        .value_kind:     hidden_block_count_z
      - .offset:         92
        .size:           2
        .value_kind:     hidden_group_size_x
      - .offset:         94
        .size:           2
        .value_kind:     hidden_group_size_y
      - .offset:         96
        .size:           2
        .value_kind:     hidden_group_size_z
      - .offset:         98
        .size:           2
        .value_kind:     hidden_remainder_x
      - .offset:         100
        .size:           2
        .value_kind:     hidden_remainder_y
      - .offset:         102
        .size:           2
        .value_kind:     hidden_remainder_z
      - .offset:         120
        .size:           8
        .value_kind:     hidden_global_offset_x
      - .offset:         128
        .size:           8
        .value_kind:     hidden_global_offset_y
      - .offset:         136
        .size:           8
        .value_kind:     hidden_global_offset_z
      - .offset:         144
        .size:           2
        .value_kind:     hidden_grid_dims
    .group_segment_fixed_size: 0
    .kernarg_segment_align: 8
    .kernarg_segment_size: 336
    .language:       OpenCL C
    .language_version:
      - 2
      - 0
    .max_flat_workgroup_size: 64
    .name:           _ZL36rocblas_hemvn_kernel_upper_block_sumILi64EifPffEviT1_lS1_lT2_lT0_lPT3_i
    .private_segment_fixed_size: 0
    .sgpr_count:     22
    .sgpr_spill_count: 0
    .symbol:         _ZL36rocblas_hemvn_kernel_upper_block_sumILi64EifPffEviT1_lS1_lT2_lT0_lPT3_i.kd
    .uniform_work_group_size: 1
    .uses_dynamic_stack: false
    .vgpr_count:     6
    .vgpr_spill_count: 0
    .wavefront_size: 32
    .workgroup_processor_mode: 1
  - .args:
      - .offset:         0
        .size:           1
        .value_kind:     by_value
      - .offset:         4
        .size:           4
        .value_kind:     by_value
      - .offset:         8
        .size:           8
        .value_kind:     by_value
      - .offset:         16
        .size:           8
        .value_kind:     by_value
      - .address_space:  global
        .offset:         24
        .size:           8
        .value_kind:     global_buffer
      - .offset:         32
        .size:           8
        .value_kind:     by_value
      - .offset:         40
        .size:           8
        .value_kind:     by_value
      - .offset:         48
        .size:           8
        .value_kind:     by_value
      - .address_space:  global
        .offset:         56
        .size:           8
        .value_kind:     global_buffer
      - .offset:         64
        .size:           8
        .value_kind:     by_value
      - .offset:         72
        .size:           8
        .value_kind:     by_value
      - .offset:         80
        .size:           8
        .value_kind:     by_value
      - .offset:         88
        .size:           8
        .value_kind:     by_value
      - .offset:         96
        .size:           8
        .value_kind:     by_value
      - .address_space:  global
        .offset:         104
        .size:           8
        .value_kind:     global_buffer
      - .offset:         112
        .size:           8
        .value_kind:     by_value
      - .offset:         120
        .size:           8
        .value_kind:     by_value
      - .offset:         128
        .size:           8
        .value_kind:     by_value
      - .offset:         136
        .size:           4
        .value_kind:     by_value
    .group_segment_fixed_size: 5248
    .kernarg_segment_align: 8
    .kernarg_segment_size: 140
    .language:       OpenCL C
    .language_version:
      - 2
      - 0
    .max_flat_workgroup_size: 128
    .name:           _ZL50rocblas_symv_kernel_lower_double_buffered_diagonalILi32ELi4E24rocblas_internal_val_ptrIfEPKfPfEvbiT1_lT2_lllS6_lllS5_lT3_llli
    .private_segment_fixed_size: 0
    .sgpr_count:     36
    .sgpr_spill_count: 0
    .symbol:         _ZL50rocblas_symv_kernel_lower_double_buffered_diagonalILi32ELi4E24rocblas_internal_val_ptrIfEPKfPfEvbiT1_lT2_lllS6_lllS5_lT3_llli.kd
    .uniform_work_group_size: 1
    .uses_dynamic_stack: false
    .vgpr_count:     20
    .vgpr_spill_count: 0
    .wavefront_size: 32
    .workgroup_processor_mode: 1
  - .args:
      - .offset:         0
        .size:           1
        .value_kind:     by_value
      - .offset:         4
        .size:           4
        .value_kind:     by_value
      - .offset:         8
        .size:           8
        .value_kind:     by_value
      - .offset:         16
        .size:           8
        .value_kind:     by_value
      - .address_space:  global
        .offset:         24
        .size:           8
        .value_kind:     global_buffer
      - .offset:         32
        .size:           8
        .value_kind:     by_value
      - .offset:         40
        .size:           8
        .value_kind:     by_value
      - .offset:         48
        .size:           8
        .value_kind:     by_value
      - .address_space:  global
        .offset:         56
        .size:           8
        .value_kind:     global_buffer
      - .offset:         64
        .size:           8
        .value_kind:     by_value
      - .offset:         72
        .size:           8
        .value_kind:     by_value
      - .offset:         80
        .size:           8
        .value_kind:     by_value
      - .address_space:  global
        .offset:         88
        .size:           8
        .value_kind:     global_buffer
      - .offset:         96
        .size:           8
        .value_kind:     by_value
      - .offset:         104
        .size:           8
        .value_kind:     by_value
      - .offset:         112
        .size:           8
        .value_kind:     by_value
      - .offset:         120
        .size:           4
        .value_kind:     by_value
      - .offset:         128
        .size:           4
        .value_kind:     hidden_block_count_x
      - .offset:         132
        .size:           4
        .value_kind:     hidden_block_count_y
      - .offset:         136
        .size:           4
        .value_kind:     hidden_block_count_z
      - .offset:         140
        .size:           2
        .value_kind:     hidden_group_size_x
      - .offset:         142
        .size:           2
        .value_kind:     hidden_group_size_y
      - .offset:         144
        .size:           2
        .value_kind:     hidden_group_size_z
      - .offset:         146
        .size:           2
        .value_kind:     hidden_remainder_x
      - .offset:         148
        .size:           2
        .value_kind:     hidden_remainder_y
      - .offset:         150
        .size:           2
        .value_kind:     hidden_remainder_z
      - .offset:         168
        .size:           8
        .value_kind:     hidden_global_offset_x
      - .offset:         176
        .size:           8
        .value_kind:     hidden_global_offset_y
      - .offset:         184
        .size:           8
        .value_kind:     hidden_global_offset_z
      - .offset:         192
        .size:           2
        .value_kind:     hidden_grid_dims
    .group_segment_fixed_size: 3200
    .kernarg_segment_align: 8
    .kernarg_segment_size: 384
    .language:       OpenCL C
    .language_version:
      - 2
      - 0
    .max_flat_workgroup_size: 128
    .name:           _ZL54rocblas_symv_kernel_lower_double_buffered_non_diagonalILi32ELi4ELi4E24rocblas_internal_val_ptrIfEPKfPfEvbiT2_lT3_lllS6_lllT4_llli
    .private_segment_fixed_size: 0
    .sgpr_count:     31
    .sgpr_spill_count: 0
    .symbol:         _ZL54rocblas_symv_kernel_lower_double_buffered_non_diagonalILi32ELi4ELi4E24rocblas_internal_val_ptrIfEPKfPfEvbiT2_lT3_lllS6_lllT4_llli.kd
    .uniform_work_group_size: 1
    .uses_dynamic_stack: false
    .vgpr_count:     44
    .vgpr_spill_count: 0
    .wavefront_size: 32
    .workgroup_processor_mode: 1
  - .args:
      - .offset:         0
        .size:           1
        .value_kind:     by_value
      - .offset:         4
        .size:           4
        .value_kind:     by_value
      - .offset:         8
        .size:           8
        .value_kind:     by_value
      - .offset:         16
        .size:           8
        .value_kind:     by_value
      - .address_space:  global
        .offset:         24
        .size:           8
        .value_kind:     global_buffer
      - .offset:         32
        .size:           8
        .value_kind:     by_value
      - .offset:         40
        .size:           8
        .value_kind:     by_value
      - .offset:         48
        .size:           8
        .value_kind:     by_value
      - .address_space:  global
        .offset:         56
        .size:           8
        .value_kind:     global_buffer
      - .offset:         64
        .size:           8
        .value_kind:     by_value
      - .offset:         72
        .size:           8
        .value_kind:     by_value
      - .offset:         80
        .size:           8
        .value_kind:     by_value
      - .offset:         88
        .size:           8
        .value_kind:     by_value
      - .offset:         96
        .size:           8
        .value_kind:     by_value
      - .address_space:  global
        .offset:         104
        .size:           8
        .value_kind:     global_buffer
      - .offset:         112
        .size:           8
        .value_kind:     by_value
      - .offset:         120
        .size:           8
        .value_kind:     by_value
      - .offset:         128
        .size:           8
        .value_kind:     by_value
      - .offset:         136
        .size:           4
        .value_kind:     by_value
      - .offset:         140
        .size:           4
        .value_kind:     by_value
      - .offset:         144
        .size:           4
        .value_kind:     hidden_block_count_x
      - .offset:         148
        .size:           4
        .value_kind:     hidden_block_count_y
      - .offset:         152
        .size:           4
        .value_kind:     hidden_block_count_z
      - .offset:         156
        .size:           2
        .value_kind:     hidden_group_size_x
      - .offset:         158
        .size:           2
        .value_kind:     hidden_group_size_y
      - .offset:         160
        .size:           2
        .value_kind:     hidden_group_size_z
      - .offset:         162
        .size:           2
        .value_kind:     hidden_remainder_x
      - .offset:         164
        .size:           2
        .value_kind:     hidden_remainder_y
      - .offset:         166
        .size:           2
        .value_kind:     hidden_remainder_z
      - .offset:         184
        .size:           8
        .value_kind:     hidden_global_offset_x
      - .offset:         192
        .size:           8
        .value_kind:     hidden_global_offset_y
      - .offset:         200
        .size:           8
        .value_kind:     hidden_global_offset_z
      - .offset:         208
        .size:           2
        .value_kind:     hidden_grid_dims
    .group_segment_fixed_size: 5248
    .kernarg_segment_align: 8
    .kernarg_segment_size: 400
    .language:       OpenCL C
    .language_version:
      - 2
      - 0
    .max_flat_workgroup_size: 128
    .name:           _ZL58rocblas_symv_kernel_lower_double_buffered_diagonal_genericILi32ELi4E24rocblas_internal_val_ptrIfEPKfPfEvbiT1_lT2_lllS6_lllS5_lT3_lllii
    .private_segment_fixed_size: 0
    .sgpr_count:     37
    .sgpr_spill_count: 0
    .symbol:         _ZL58rocblas_symv_kernel_lower_double_buffered_diagonal_genericILi32ELi4E24rocblas_internal_val_ptrIfEPKfPfEvbiT1_lT2_lllS6_lllS5_lT3_lllii.kd
    .uniform_work_group_size: 1
    .uses_dynamic_stack: false
    .vgpr_count:     25
    .vgpr_spill_count: 0
    .wavefront_size: 32
    .workgroup_processor_mode: 1
  - .args:
      - .offset:         0
        .size:           1
        .value_kind:     by_value
      - .offset:         4
        .size:           4
        .value_kind:     by_value
      - .offset:         8
        .size:           8
        .value_kind:     by_value
      - .offset:         16
        .size:           8
        .value_kind:     by_value
      - .address_space:  global
        .offset:         24
        .size:           8
        .value_kind:     global_buffer
      - .offset:         32
        .size:           8
        .value_kind:     by_value
      - .offset:         40
        .size:           8
        .value_kind:     by_value
      - .offset:         48
        .size:           8
        .value_kind:     by_value
      - .address_space:  global
        .offset:         56
        .size:           8
        .value_kind:     global_buffer
      - .offset:         64
        .size:           8
        .value_kind:     by_value
      - .offset:         72
        .size:           8
        .value_kind:     by_value
      - .offset:         80
        .size:           8
        .value_kind:     by_value
      - .address_space:  global
        .offset:         88
        .size:           8
        .value_kind:     global_buffer
      - .offset:         96
        .size:           8
        .value_kind:     by_value
      - .offset:         104
        .size:           8
        .value_kind:     by_value
      - .offset:         112
        .size:           8
        .value_kind:     by_value
      - .offset:         120
        .size:           4
        .value_kind:     by_value
      - .offset:         124
        .size:           4
        .value_kind:     by_value
      - .offset:         128
        .size:           4
        .value_kind:     hidden_block_count_x
      - .offset:         132
        .size:           4
        .value_kind:     hidden_block_count_y
      - .offset:         136
        .size:           4
        .value_kind:     hidden_block_count_z
      - .offset:         140
        .size:           2
        .value_kind:     hidden_group_size_x
      - .offset:         142
        .size:           2
        .value_kind:     hidden_group_size_y
      - .offset:         144
        .size:           2
        .value_kind:     hidden_group_size_z
      - .offset:         146
        .size:           2
        .value_kind:     hidden_remainder_x
      - .offset:         148
        .size:           2
        .value_kind:     hidden_remainder_y
      - .offset:         150
        .size:           2
        .value_kind:     hidden_remainder_z
      - .offset:         168
        .size:           8
        .value_kind:     hidden_global_offset_x
      - .offset:         176
        .size:           8
        .value_kind:     hidden_global_offset_y
      - .offset:         184
        .size:           8
        .value_kind:     hidden_global_offset_z
      - .offset:         192
        .size:           2
        .value_kind:     hidden_grid_dims
    .group_segment_fixed_size: 3200
    .kernarg_segment_align: 8
    .kernarg_segment_size: 384
    .language:       OpenCL C
    .language_version:
      - 2
      - 0
    .max_flat_workgroup_size: 128
    .name:           _ZL62rocblas_symv_kernel_lower_double_buffered_non_diagonal_genericILi32ELi4ELi4E24rocblas_internal_val_ptrIfEPKfPfEvbiT2_lT3_lllS6_lllT4_lllii
    .private_segment_fixed_size: 0
    .sgpr_count:     40
    .sgpr_spill_count: 0
    .symbol:         _ZL62rocblas_symv_kernel_lower_double_buffered_non_diagonal_genericILi32ELi4ELi4E24rocblas_internal_val_ptrIfEPKfPfEvbiT2_lT3_lllS6_lllT4_lllii.kd
    .uniform_work_group_size: 1
    .uses_dynamic_stack: false
    .vgpr_count:     54
    .vgpr_spill_count: 0
    .wavefront_size: 32
    .workgroup_processor_mode: 1
  - .args:
      - .offset:         0
        .size:           4
        .value_kind:     by_value
      - .address_space:  global
        .offset:         8
        .size:           8
        .value_kind:     global_buffer
      - .offset:         16
        .size:           8
        .value_kind:     by_value
      - .address_space:  global
        .offset:         24
        .size:           8
        .value_kind:     global_buffer
      - .offset:         32
        .size:           8
        .value_kind:     by_value
      - .offset:         40
        .size:           8
        .value_kind:     by_value
      - .offset:         48
        .size:           8
        .value_kind:     by_value
      - .address_space:  global
        .offset:         56
        .size:           8
        .value_kind:     global_buffer
      - .offset:         64
        .size:           8
        .value_kind:     by_value
      - .offset:         72
        .size:           8
        .value_kind:     by_value
      - .offset:         80
        .size:           8
        .value_kind:     by_value
      - .address_space:  global
        .offset:         88
        .size:           8
        .value_kind:     global_buffer
      - .offset:         96
        .size:           8
        .value_kind:     by_value
      - .address_space:  global
        .offset:         104
        .size:           8
        .value_kind:     global_buffer
      - .offset:         112
        .size:           4
        .value_kind:     by_value
      - .offset:         120
        .size:           4
        .value_kind:     hidden_block_count_x
      - .offset:         124
        .size:           4
        .value_kind:     hidden_block_count_y
      - .offset:         128
        .size:           4
        .value_kind:     hidden_block_count_z
      - .offset:         132
        .size:           2
        .value_kind:     hidden_group_size_x
      - .offset:         134
        .size:           2
        .value_kind:     hidden_group_size_y
      - .offset:         136
        .size:           2
        .value_kind:     hidden_group_size_z
      - .offset:         138
        .size:           2
        .value_kind:     hidden_remainder_x
      - .offset:         140
        .size:           2
        .value_kind:     hidden_remainder_y
      - .offset:         142
        .size:           2
        .value_kind:     hidden_remainder_z
      - .offset:         160
        .size:           8
        .value_kind:     hidden_global_offset_x
      - .offset:         168
        .size:           8
        .value_kind:     hidden_global_offset_y
      - .offset:         176
        .size:           8
        .value_kind:     hidden_global_offset_z
      - .offset:         184
        .size:           2
        .value_kind:     hidden_grid_dims
    .group_segment_fixed_size: 4800
    .kernarg_segment_align: 8
    .kernarg_segment_size: 376
    .language:       OpenCL C
    .language_version:
      - 2
      - 0
    .max_flat_workgroup_size: 256
    .name:           _ZL26rocblas_hemvn_kernel_lowerILb0ELi64ELi4ELi33ELi32ELi16ElPKfS1_PfEviT6_lT7_lT5_lS4_lS5_lS3_lT8_i
    .private_segment_fixed_size: 0
    .sgpr_count:     48
    .sgpr_spill_count: 0
    .symbol:         _ZL26rocblas_hemvn_kernel_lowerILb0ELi64ELi4ELi33ELi32ELi16ElPKfS1_PfEviT6_lT7_lT5_lS4_lS5_lS3_lT8_i.kd
    .uniform_work_group_size: 1
    .uses_dynamic_stack: false
    .vgpr_count:     60
    .vgpr_spill_count: 0
    .wavefront_size: 32
    .workgroup_processor_mode: 1
  - .args:
      - .offset:         0
        .size:           4
        .value_kind:     by_value
      - .address_space:  global
        .offset:         8
        .size:           8
        .value_kind:     global_buffer
      - .offset:         16
        .size:           8
        .value_kind:     by_value
      - .address_space:  global
        .offset:         24
        .size:           8
        .value_kind:     global_buffer
      - .offset:         32
        .size:           8
        .value_kind:     by_value
      - .address_space:  global
        .offset:         40
        .size:           8
        .value_kind:     global_buffer
      - .offset:         48
        .size:           8
        .value_kind:     by_value
      - .offset:         56
        .size:           8
        .value_kind:     by_value
      - .offset:         64
        .size:           8
        .value_kind:     by_value
      - .actual_access:  read_only
        .address_space:  global
        .offset:         72
        .size:           8
        .value_kind:     global_buffer
      - .offset:         80
        .size:           4
        .value_kind:     by_value
      - .offset:         88
        .size:           4
        .value_kind:     hidden_block_count_x
      - .offset:         92
        .size:           4
        .value_kind:     hidden_block_count_y
      - .offset:         96
        .size:           4
        .value_kind:     hidden_block_count_z
      - .offset:         100
        .size:           2
        .value_kind:     hidden_group_size_x
      - .offset:         102
        .size:           2
        .value_kind:     hidden_group_size_y
      - .offset:         104
        .size:           2
        .value_kind:     hidden_group_size_z
      - .offset:         106
        .size:           2
        .value_kind:     hidden_remainder_x
      - .offset:         108
        .size:           2
        .value_kind:     hidden_remainder_y
      - .offset:         110
        .size:           2
        .value_kind:     hidden_remainder_z
      - .offset:         128
        .size:           8
        .value_kind:     hidden_global_offset_x
      - .offset:         136
        .size:           8
        .value_kind:     hidden_global_offset_y
      - .offset:         144
        .size:           8
        .value_kind:     hidden_global_offset_z
      - .offset:         152
        .size:           2
        .value_kind:     hidden_grid_dims
    .group_segment_fixed_size: 0
    .kernarg_segment_align: 8
    .kernarg_segment_size: 344
    .language:       OpenCL C
    .language_version:
      - 2
      - 0
    .max_flat_workgroup_size: 64
    .name:           _ZL36rocblas_hemvn_kernel_lower_block_sumILi64ElPKfPffEviT1_lS3_lT2_lT0_lPT3_i
    .private_segment_fixed_size: 0
    .sgpr_count:     20
    .sgpr_spill_count: 0
    .symbol:         _ZL36rocblas_hemvn_kernel_lower_block_sumILi64ElPKfPffEviT1_lS3_lT2_lT0_lPT3_i.kd
    .uniform_work_group_size: 1
    .uses_dynamic_stack: false
    .vgpr_count:     7
    .vgpr_spill_count: 0
    .wavefront_size: 32
    .workgroup_processor_mode: 1
  - .args:
      - .offset:         0
        .size:           4
        .value_kind:     by_value
      - .address_space:  global
        .offset:         8
        .size:           8
        .value_kind:     global_buffer
      - .offset:         16
        .size:           8
        .value_kind:     by_value
      - .address_space:  global
        .offset:         24
        .size:           8
        .value_kind:     global_buffer
      - .offset:         32
        .size:           8
        .value_kind:     by_value
      - .offset:         40
        .size:           4
        .value_kind:     by_value
      - .offset:         48
        .size:           8
        .value_kind:     by_value
      - .address_space:  global
        .offset:         56
        .size:           8
        .value_kind:     global_buffer
      - .offset:         64
        .size:           8
        .value_kind:     by_value
      - .offset:         72
        .size:           4
        .value_kind:     by_value
      - .offset:         80
        .size:           8
        .value_kind:     by_value
      - .address_space:  global
        .offset:         88
        .size:           8
        .value_kind:     global_buffer
      - .offset:         96
        .size:           8
        .value_kind:     by_value
      - .address_space:  global
        .offset:         104
        .size:           8
        .value_kind:     global_buffer
      - .offset:         112
        .size:           4
        .value_kind:     by_value
      - .offset:         120
        .size:           4
        .value_kind:     hidden_block_count_x
      - .offset:         124
        .size:           4
        .value_kind:     hidden_block_count_y
      - .offset:         128
        .size:           4
        .value_kind:     hidden_block_count_z
      - .offset:         132
        .size:           2
        .value_kind:     hidden_group_size_x
      - .offset:         134
        .size:           2
        .value_kind:     hidden_group_size_y
      - .offset:         136
        .size:           2
        .value_kind:     hidden_group_size_z
      - .offset:         138
        .size:           2
        .value_kind:     hidden_remainder_x
      - .offset:         140
        .size:           2
        .value_kind:     hidden_remainder_y
      - .offset:         142
        .size:           2
        .value_kind:     hidden_remainder_z
      - .offset:         160
        .size:           8
        .value_kind:     hidden_global_offset_x
      - .offset:         168
        .size:           8
        .value_kind:     hidden_global_offset_y
      - .offset:         176
        .size:           8
        .value_kind:     hidden_global_offset_z
      - .offset:         184
        .size:           2
        .value_kind:     hidden_grid_dims
    .group_segment_fixed_size: 4800
    .kernarg_segment_align: 8
    .kernarg_segment_size: 376
    .language:       OpenCL C
    .language_version:
      - 2
      - 0
    .max_flat_workgroup_size: 256
    .name:           _ZL26rocblas_hemvn_kernel_lowerILb0ELi64ELi4ELi33ELi32ELi16EiPKfS1_PfEviT6_lT7_lT5_lS4_lS5_lS3_lT8_i
    .private_segment_fixed_size: 0
    .sgpr_count:     48
    .sgpr_spill_count: 0
    .symbol:         _ZL26rocblas_hemvn_kernel_lowerILb0ELi64ELi4ELi33ELi32ELi16EiPKfS1_PfEviT6_lT7_lT5_lS4_lS5_lS3_lT8_i.kd
    .uniform_work_group_size: 1
    .uses_dynamic_stack: false
    .vgpr_count:     66
    .vgpr_spill_count: 0
    .wavefront_size: 32
    .workgroup_processor_mode: 1
  - .args:
      - .offset:         0
        .size:           4
        .value_kind:     by_value
      - .address_space:  global
        .offset:         8
        .size:           8
        .value_kind:     global_buffer
      - .offset:         16
        .size:           8
        .value_kind:     by_value
      - .address_space:  global
        .offset:         24
        .size:           8
        .value_kind:     global_buffer
      - .offset:         32
        .size:           8
        .value_kind:     by_value
      - .address_space:  global
        .offset:         40
        .size:           8
        .value_kind:     global_buffer
      - .offset:         48
        .size:           8
        .value_kind:     by_value
      - .offset:         56
        .size:           4
        .value_kind:     by_value
      - .offset:         64
        .size:           8
        .value_kind:     by_value
      - .actual_access:  read_only
        .address_space:  global
        .offset:         72
        .size:           8
        .value_kind:     global_buffer
      - .offset:         80
        .size:           4
        .value_kind:     by_value
      - .offset:         88
        .size:           4
        .value_kind:     hidden_block_count_x
      - .offset:         92
        .size:           4
        .value_kind:     hidden_block_count_y
      - .offset:         96
        .size:           4
        .value_kind:     hidden_block_count_z
      - .offset:         100
        .size:           2
        .value_kind:     hidden_group_size_x
      - .offset:         102
        .size:           2
        .value_kind:     hidden_group_size_y
      - .offset:         104
        .size:           2
        .value_kind:     hidden_group_size_z
      - .offset:         106
        .size:           2
        .value_kind:     hidden_remainder_x
      - .offset:         108
        .size:           2
        .value_kind:     hidden_remainder_y
      - .offset:         110
        .size:           2
        .value_kind:     hidden_remainder_z
      - .offset:         128
        .size:           8
        .value_kind:     hidden_global_offset_x
      - .offset:         136
        .size:           8
        .value_kind:     hidden_global_offset_y
      - .offset:         144
        .size:           8
        .value_kind:     hidden_global_offset_z
      - .offset:         152
        .size:           2
        .value_kind:     hidden_grid_dims
    .group_segment_fixed_size: 0
    .kernarg_segment_align: 8
    .kernarg_segment_size: 344
    .language:       OpenCL C
    .language_version:
      - 2
      - 0
    .max_flat_workgroup_size: 64
    .name:           _ZL36rocblas_hemvn_kernel_lower_block_sumILi64EiPKfPffEviT1_lS3_lT2_lT0_lPT3_i
    .private_segment_fixed_size: 0
    .sgpr_count:     22
    .sgpr_spill_count: 0
    .symbol:         _ZL36rocblas_hemvn_kernel_lower_block_sumILi64EiPKfPffEviT1_lS3_lT2_lT0_lPT3_i.kd
    .uniform_work_group_size: 1
    .uses_dynamic_stack: false
    .vgpr_count:     7
    .vgpr_spill_count: 0
    .wavefront_size: 32
    .workgroup_processor_mode: 1
  - .args:
      - .offset:         0
        .size:           4
        .value_kind:     by_value
      - .offset:         4
        .size:           4
        .value_kind:     by_value
      - .offset:         8
        .size:           8
        .value_kind:     by_value
      - .address_space:  global
        .offset:         16
        .size:           8
        .value_kind:     global_buffer
      - .offset:         24
        .size:           8
        .value_kind:     by_value
      - .offset:         32
        .size:           8
        .value_kind:     by_value
      - .offset:         40
        .size:           8
        .value_kind:     by_value
      - .address_space:  global
        .offset:         48
        .size:           8
        .value_kind:     global_buffer
      - .offset:         56
        .size:           8
        .value_kind:     by_value
      - .offset:         64
        .size:           8
        .value_kind:     by_value
      - .offset:         72
        .size:           8
        .value_kind:     by_value
      - .offset:         80
        .size:           4
        .value_kind:     by_value
      - .offset:         88
        .size:           8
        .value_kind:     by_value
      - .address_space:  global
        .offset:         96
        .size:           8
        .value_kind:     global_buffer
      - .offset:         104
        .size:           4
        .value_kind:     by_value
      - .offset:         112
        .size:           4
        .value_kind:     hidden_block_count_x
      - .offset:         116
        .size:           4
        .value_kind:     hidden_block_count_y
      - .offset:         120
        .size:           4
        .value_kind:     hidden_block_count_z
      - .offset:         124
        .size:           2
        .value_kind:     hidden_group_size_x
      - .offset:         126
        .size:           2
        .value_kind:     hidden_group_size_y
      - .offset:         128
        .size:           2
        .value_kind:     hidden_group_size_z
      - .offset:         130
        .size:           2
        .value_kind:     hidden_remainder_x
      - .offset:         132
        .size:           2
        .value_kind:     hidden_remainder_y
      - .offset:         134
        .size:           2
        .value_kind:     hidden_remainder_z
      - .offset:         152
        .size:           8
        .value_kind:     hidden_global_offset_x
      - .offset:         160
        .size:           8
        .value_kind:     hidden_global_offset_y
      - .offset:         168
        .size:           8
        .value_kind:     hidden_global_offset_z
      - .offset:         176
        .size:           2
        .value_kind:     hidden_grid_dims
    .group_segment_fixed_size: 4800
    .kernarg_segment_align: 8
    .kernarg_segment_size: 368
    .language:       OpenCL C
    .language_version:
      - 2
      - 0
    .max_flat_workgroup_size: 256
    .name:           _ZL26rocblas_hemvn_kernel_lowerILb0ELi64ELi4ELi33ELi32ELi16ElfPKfPfEviT6_lT7_lT5_lS4_lS5_lS3_lT8_i
    .private_segment_fixed_size: 0
    .sgpr_count:     48
    .sgpr_spill_count: 0
    .symbol:         _ZL26rocblas_hemvn_kernel_lowerILb0ELi64ELi4ELi33ELi32ELi16ElfPKfPfEviT6_lT7_lT5_lS4_lS5_lS3_lT8_i.kd
    .uniform_work_group_size: 1
    .uses_dynamic_stack: false
    .vgpr_count:     68
    .vgpr_spill_count: 0
    .wavefront_size: 32
    .workgroup_processor_mode: 1
  - .args:
      - .offset:         0
        .size:           4
        .value_kind:     by_value
      - .offset:         4
        .size:           4
        .value_kind:     by_value
      - .offset:         8
        .size:           8
        .value_kind:     by_value
      - .offset:         16
        .size:           4
        .value_kind:     by_value
      - .offset:         24
        .size:           8
        .value_kind:     by_value
      - .address_space:  global
        .offset:         32
        .size:           8
        .value_kind:     global_buffer
      - .offset:         40
        .size:           8
        .value_kind:     by_value
      - .offset:         48
        .size:           8
        .value_kind:     by_value
      - .offset:         56
        .size:           8
        .value_kind:     by_value
      - .actual_access:  read_only
        .address_space:  global
        .offset:         64
        .size:           8
        .value_kind:     global_buffer
      - .offset:         72
        .size:           4
        .value_kind:     by_value
      - .offset:         80
        .size:           4
        .value_kind:     hidden_block_count_x
      - .offset:         84
        .size:           4
        .value_kind:     hidden_block_count_y
      - .offset:         88
        .size:           4
        .value_kind:     hidden_block_count_z
      - .offset:         92
        .size:           2
        .value_kind:     hidden_group_size_x
      - .offset:         94
        .size:           2
        .value_kind:     hidden_group_size_y
      - .offset:         96
        .size:           2
        .value_kind:     hidden_group_size_z
      - .offset:         98
        .size:           2
        .value_kind:     hidden_remainder_x
      - .offset:         100
        .size:           2
        .value_kind:     hidden_remainder_y
      - .offset:         102
        .size:           2
        .value_kind:     hidden_remainder_z
      - .offset:         120
        .size:           8
        .value_kind:     hidden_global_offset_x
      - .offset:         128
        .size:           8
        .value_kind:     hidden_global_offset_y
      - .offset:         136
        .size:           8
        .value_kind:     hidden_global_offset_z
      - .offset:         144
        .size:           2
        .value_kind:     hidden_grid_dims
    .group_segment_fixed_size: 0
    .kernarg_segment_align: 8
    .kernarg_segment_size: 336
    .language:       OpenCL C
    .language_version:
      - 2
      - 0
    .max_flat_workgroup_size: 64
    .name:           _ZL36rocblas_hemvn_kernel_lower_block_sumILi64ElfPffEviT1_lS1_lT2_lT0_lPT3_i
    .private_segment_fixed_size: 0
    .sgpr_count:     20
    .sgpr_spill_count: 0
    .symbol:         _ZL36rocblas_hemvn_kernel_lower_block_sumILi64ElfPffEviT1_lS1_lT2_lT0_lPT3_i.kd
    .uniform_work_group_size: 1
    .uses_dynamic_stack: false
    .vgpr_count:     7
    .vgpr_spill_count: 0
    .wavefront_size: 32
    .workgroup_processor_mode: 1
  - .args:
      - .offset:         0
        .size:           4
        .value_kind:     by_value
      - .offset:         4
        .size:           4
        .value_kind:     by_value
      - .offset:         8
        .size:           8
        .value_kind:     by_value
      - .address_space:  global
        .offset:         16
        .size:           8
        .value_kind:     global_buffer
      - .offset:         24
        .size:           8
        .value_kind:     by_value
      - .offset:         32
        .size:           4
        .value_kind:     by_value
      - .offset:         40
        .size:           8
        .value_kind:     by_value
      - .address_space:  global
        .offset:         48
        .size:           8
        .value_kind:     global_buffer
      - .offset:         56
        .size:           8
        .value_kind:     by_value
      - .offset:         64
        .size:           4
        .value_kind:     by_value
      - .offset:         72
        .size:           8
        .value_kind:     by_value
      - .offset:         80
        .size:           4
        .value_kind:     by_value
      - .offset:         88
        .size:           8
        .value_kind:     by_value
      - .address_space:  global
        .offset:         96
        .size:           8
        .value_kind:     global_buffer
      - .offset:         104
        .size:           4
        .value_kind:     by_value
      - .offset:         112
        .size:           4
        .value_kind:     hidden_block_count_x
      - .offset:         116
        .size:           4
        .value_kind:     hidden_block_count_y
      - .offset:         120
        .size:           4
        .value_kind:     hidden_block_count_z
      - .offset:         124
        .size:           2
        .value_kind:     hidden_group_size_x
      - .offset:         126
        .size:           2
        .value_kind:     hidden_group_size_y
      - .offset:         128
        .size:           2
        .value_kind:     hidden_group_size_z
      - .offset:         130
        .size:           2
        .value_kind:     hidden_remainder_x
      - .offset:         132
        .size:           2
        .value_kind:     hidden_remainder_y
      - .offset:         134
        .size:           2
        .value_kind:     hidden_remainder_z
      - .offset:         152
        .size:           8
        .value_kind:     hidden_global_offset_x
      - .offset:         160
        .size:           8
        .value_kind:     hidden_global_offset_y
      - .offset:         168
        .size:           8
        .value_kind:     hidden_global_offset_z
      - .offset:         176
        .size:           2
        .value_kind:     hidden_grid_dims
    .group_segment_fixed_size: 4800
    .kernarg_segment_align: 8
    .kernarg_segment_size: 368
    .language:       OpenCL C
    .language_version:
      - 2
      - 0
    .max_flat_workgroup_size: 256
    .name:           _ZL26rocblas_hemvn_kernel_lowerILb0ELi64ELi4ELi33ELi32ELi16EifPKfPfEviT6_lT7_lT5_lS4_lS5_lS3_lT8_i
    .private_segment_fixed_size: 0
    .sgpr_count:     48
    .sgpr_spill_count: 0
    .symbol:         _ZL26rocblas_hemvn_kernel_lowerILb0ELi64ELi4ELi33ELi32ELi16EifPKfPfEviT6_lT7_lT5_lS4_lS5_lS3_lT8_i.kd
    .uniform_work_group_size: 1
    .uses_dynamic_stack: false
    .vgpr_count:     66
    .vgpr_spill_count: 0
    .wavefront_size: 32
    .workgroup_processor_mode: 1
  - .args:
      - .offset:         0
        .size:           4
        .value_kind:     by_value
      - .offset:         4
        .size:           4
        .value_kind:     by_value
      - .offset:         8
        .size:           8
        .value_kind:     by_value
      - .offset:         16
        .size:           4
        .value_kind:     by_value
      - .offset:         24
        .size:           8
        .value_kind:     by_value
      - .address_space:  global
        .offset:         32
        .size:           8
        .value_kind:     global_buffer
      - .offset:         40
        .size:           8
        .value_kind:     by_value
      - .offset:         48
        .size:           4
        .value_kind:     by_value
      - .offset:         56
        .size:           8
        .value_kind:     by_value
      - .actual_access:  read_only
        .address_space:  global
        .offset:         64
        .size:           8
        .value_kind:     global_buffer
      - .offset:         72
        .size:           4
        .value_kind:     by_value
      - .offset:         80
        .size:           4
        .value_kind:     hidden_block_count_x
      - .offset:         84
        .size:           4
        .value_kind:     hidden_block_count_y
      - .offset:         88
        .size:           4
        .value_kind:     hidden_block_count_z
      - .offset:         92
        .size:           2
        .value_kind:     hidden_group_size_x
      - .offset:         94
        .size:           2
        .value_kind:     hidden_group_size_y
      - .offset:         96
        .size:           2
        .value_kind:     hidden_group_size_z
      - .offset:         98
        .size:           2
        .value_kind:     hidden_remainder_x
      - .offset:         100
        .size:           2
        .value_kind:     hidden_remainder_y
      - .offset:         102
        .size:           2
        .value_kind:     hidden_remainder_z
      - .offset:         120
        .size:           8
        .value_kind:     hidden_global_offset_x
      - .offset:         128
        .size:           8
        .value_kind:     hidden_global_offset_y
      - .offset:         136
        .size:           8
        .value_kind:     hidden_global_offset_z
      - .offset:         144
        .size:           2
        .value_kind:     hidden_grid_dims
    .group_segment_fixed_size: 0
    .kernarg_segment_align: 8
    .kernarg_segment_size: 336
    .language:       OpenCL C
    .language_version:
      - 2
      - 0
    .max_flat_workgroup_size: 64
    .name:           _ZL36rocblas_hemvn_kernel_lower_block_sumILi64EifPffEviT1_lS1_lT2_lT0_lPT3_i
    .private_segment_fixed_size: 0
    .sgpr_count:     22
    .sgpr_spill_count: 0
    .symbol:         _ZL36rocblas_hemvn_kernel_lower_block_sumILi64EifPffEviT1_lS1_lT2_lT0_lPT3_i.kd
    .uniform_work_group_size: 1
    .uses_dynamic_stack: false
    .vgpr_count:     7
    .vgpr_spill_count: 0
    .wavefront_size: 32
    .workgroup_processor_mode: 1
  - .args:
      - .offset:         0
        .size:           1
        .value_kind:     by_value
      - .offset:         4
        .size:           4
        .value_kind:     by_value
      - .offset:         8
        .size:           8
        .value_kind:     by_value
      - .offset:         16
        .size:           8
        .value_kind:     by_value
      - .address_space:  global
        .offset:         24
        .size:           8
        .value_kind:     global_buffer
      - .offset:         32
        .size:           8
        .value_kind:     by_value
      - .offset:         40
        .size:           8
        .value_kind:     by_value
      - .offset:         48
        .size:           8
        .value_kind:     by_value
      - .address_space:  global
        .offset:         56
        .size:           8
        .value_kind:     global_buffer
      - .offset:         64
        .size:           8
        .value_kind:     by_value
      - .offset:         72
        .size:           8
        .value_kind:     by_value
      - .offset:         80
        .size:           8
        .value_kind:     by_value
      - .offset:         88
        .size:           8
        .value_kind:     by_value
      - .offset:         96
        .size:           8
        .value_kind:     by_value
      - .address_space:  global
        .offset:         104
        .size:           8
        .value_kind:     global_buffer
      - .offset:         112
        .size:           8
        .value_kind:     by_value
      - .offset:         120
        .size:           8
        .value_kind:     by_value
      - .offset:         128
        .size:           8
        .value_kind:     by_value
      - .offset:         136
        .size:           4
        .value_kind:     by_value
    .group_segment_fixed_size: 10496
    .kernarg_segment_align: 8
    .kernarg_segment_size: 140
    .language:       OpenCL C
    .language_version:
      - 2
      - 0
    .max_flat_workgroup_size: 128
    .name:           _ZL50rocblas_symv_kernel_upper_double_buffered_diagonalILi32ELi4E24rocblas_internal_val_ptrIdEPKdPdEvbiT1_lT2_lllS6_lllS5_lT3_llli
    .private_segment_fixed_size: 0
    .sgpr_count:     34
    .sgpr_spill_count: 0
    .symbol:         _ZL50rocblas_symv_kernel_upper_double_buffered_diagonalILi32ELi4E24rocblas_internal_val_ptrIdEPKdPdEvbiT1_lT2_lllS6_lllS5_lT3_llli.kd
    .uniform_work_group_size: 1
    .uses_dynamic_stack: false
    .vgpr_count:     27
    .vgpr_spill_count: 0
    .wavefront_size: 32
    .workgroup_processor_mode: 1
  - .args:
      - .offset:         0
        .size:           1
        .value_kind:     by_value
      - .offset:         4
        .size:           4
        .value_kind:     by_value
      - .offset:         8
        .size:           8
        .value_kind:     by_value
      - .offset:         16
        .size:           8
        .value_kind:     by_value
      - .address_space:  global
        .offset:         24
        .size:           8
        .value_kind:     global_buffer
      - .offset:         32
        .size:           8
        .value_kind:     by_value
      - .offset:         40
        .size:           8
        .value_kind:     by_value
      - .offset:         48
        .size:           8
        .value_kind:     by_value
      - .address_space:  global
        .offset:         56
        .size:           8
        .value_kind:     global_buffer
      - .offset:         64
        .size:           8
        .value_kind:     by_value
      - .offset:         72
        .size:           8
        .value_kind:     by_value
      - .offset:         80
        .size:           8
        .value_kind:     by_value
      - .address_space:  global
        .offset:         88
        .size:           8
        .value_kind:     global_buffer
      - .offset:         96
        .size:           8
        .value_kind:     by_value
      - .offset:         104
        .size:           8
        .value_kind:     by_value
      - .offset:         112
        .size:           8
        .value_kind:     by_value
      - .offset:         120
        .size:           4
        .value_kind:     by_value
      - .offset:         128
        .size:           4
        .value_kind:     hidden_block_count_x
      - .offset:         132
        .size:           4
        .value_kind:     hidden_block_count_y
      - .offset:         136
        .size:           4
        .value_kind:     hidden_block_count_z
      - .offset:         140
        .size:           2
        .value_kind:     hidden_group_size_x
      - .offset:         142
        .size:           2
        .value_kind:     hidden_group_size_y
      - .offset:         144
        .size:           2
        .value_kind:     hidden_group_size_z
      - .offset:         146
        .size:           2
        .value_kind:     hidden_remainder_x
      - .offset:         148
        .size:           2
        .value_kind:     hidden_remainder_y
      - .offset:         150
        .size:           2
        .value_kind:     hidden_remainder_z
      - .offset:         168
        .size:           8
        .value_kind:     hidden_global_offset_x
      - .offset:         176
        .size:           8
        .value_kind:     hidden_global_offset_y
      - .offset:         184
        .size:           8
        .value_kind:     hidden_global_offset_z
      - .offset:         192
        .size:           2
        .value_kind:     hidden_grid_dims
    .group_segment_fixed_size: 6400
    .kernarg_segment_align: 8
    .kernarg_segment_size: 384
    .language:       OpenCL C
    .language_version:
      - 2
      - 0
    .max_flat_workgroup_size: 128
    .name:           _ZL54rocblas_symv_kernel_upper_double_buffered_non_diagonalILi32ELi4ELi4E24rocblas_internal_val_ptrIdEPKdPdEvbiT2_lT3_lllS6_lllT4_llli
    .private_segment_fixed_size: 0
    .sgpr_count:     34
    .sgpr_spill_count: 0
    .symbol:         _ZL54rocblas_symv_kernel_upper_double_buffered_non_diagonalILi32ELi4ELi4E24rocblas_internal_val_ptrIdEPKdPdEvbiT2_lT3_lllS6_lllT4_llli.kd
    .uniform_work_group_size: 1
    .uses_dynamic_stack: false
    .vgpr_count:     68
    .vgpr_spill_count: 0
    .wavefront_size: 32
    .workgroup_processor_mode: 1
  - .args:
      - .offset:         0
        .size:           1
        .value_kind:     by_value
      - .offset:         4
        .size:           4
        .value_kind:     by_value
      - .offset:         8
        .size:           8
        .value_kind:     by_value
      - .offset:         16
        .size:           8
        .value_kind:     by_value
      - .address_space:  global
        .offset:         24
        .size:           8
        .value_kind:     global_buffer
      - .offset:         32
        .size:           8
        .value_kind:     by_value
      - .offset:         40
        .size:           8
        .value_kind:     by_value
      - .offset:         48
        .size:           8
        .value_kind:     by_value
      - .address_space:  global
        .offset:         56
        .size:           8
        .value_kind:     global_buffer
      - .offset:         64
        .size:           8
        .value_kind:     by_value
      - .offset:         72
        .size:           8
        .value_kind:     by_value
      - .offset:         80
        .size:           8
        .value_kind:     by_value
      - .offset:         88
        .size:           8
        .value_kind:     by_value
      - .offset:         96
        .size:           8
        .value_kind:     by_value
      - .address_space:  global
        .offset:         104
        .size:           8
        .value_kind:     global_buffer
      - .offset:         112
        .size:           8
        .value_kind:     by_value
      - .offset:         120
        .size:           8
        .value_kind:     by_value
      - .offset:         128
        .size:           8
        .value_kind:     by_value
      - .offset:         136
        .size:           4
        .value_kind:     by_value
      - .offset:         140
        .size:           4
        .value_kind:     by_value
      - .offset:         144
        .size:           4
        .value_kind:     hidden_block_count_x
      - .offset:         148
        .size:           4
        .value_kind:     hidden_block_count_y
      - .offset:         152
        .size:           4
        .value_kind:     hidden_block_count_z
      - .offset:         156
        .size:           2
        .value_kind:     hidden_group_size_x
      - .offset:         158
        .size:           2
        .value_kind:     hidden_group_size_y
      - .offset:         160
        .size:           2
        .value_kind:     hidden_group_size_z
      - .offset:         162
        .size:           2
        .value_kind:     hidden_remainder_x
      - .offset:         164
        .size:           2
        .value_kind:     hidden_remainder_y
      - .offset:         166
        .size:           2
        .value_kind:     hidden_remainder_z
      - .offset:         184
        .size:           8
        .value_kind:     hidden_global_offset_x
      - .offset:         192
        .size:           8
        .value_kind:     hidden_global_offset_y
      - .offset:         200
        .size:           8
        .value_kind:     hidden_global_offset_z
      - .offset:         208
        .size:           2
        .value_kind:     hidden_grid_dims
    .group_segment_fixed_size: 12544
    .kernarg_segment_align: 8
    .kernarg_segment_size: 400
    .language:       OpenCL C
    .language_version:
      - 2
      - 0
    .max_flat_workgroup_size: 256
    .name:           _ZL58rocblas_symv_kernel_upper_double_buffered_diagonal_genericILi32ELi8E24rocblas_internal_val_ptrIdEPKdPdEvbiT1_lT2_lllS6_lllS5_lT3_lllii
    .private_segment_fixed_size: 0
    .sgpr_count:     36
    .sgpr_spill_count: 0
    .symbol:         _ZL58rocblas_symv_kernel_upper_double_buffered_diagonal_genericILi32ELi8E24rocblas_internal_val_ptrIdEPKdPdEvbiT1_lT2_lllS6_lllS5_lT3_lllii.kd
    .uniform_work_group_size: 1
    .uses_dynamic_stack: false
    .vgpr_count:     23
    .vgpr_spill_count: 0
    .wavefront_size: 32
    .workgroup_processor_mode: 1
  - .args:
      - .offset:         0
        .size:           1
        .value_kind:     by_value
      - .offset:         4
        .size:           4
        .value_kind:     by_value
      - .offset:         8
        .size:           8
        .value_kind:     by_value
      - .offset:         16
        .size:           8
        .value_kind:     by_value
      - .address_space:  global
        .offset:         24
        .size:           8
        .value_kind:     global_buffer
      - .offset:         32
        .size:           8
        .value_kind:     by_value
      - .offset:         40
        .size:           8
        .value_kind:     by_value
      - .offset:         48
        .size:           8
        .value_kind:     by_value
      - .address_space:  global
        .offset:         56
        .size:           8
        .value_kind:     global_buffer
      - .offset:         64
        .size:           8
        .value_kind:     by_value
      - .offset:         72
        .size:           8
        .value_kind:     by_value
      - .offset:         80
        .size:           8
        .value_kind:     by_value
      - .address_space:  global
        .offset:         88
        .size:           8
        .value_kind:     global_buffer
      - .offset:         96
        .size:           8
        .value_kind:     by_value
      - .offset:         104
        .size:           8
        .value_kind:     by_value
      - .offset:         112
        .size:           8
        .value_kind:     by_value
      - .offset:         120
        .size:           4
        .value_kind:     by_value
      - .offset:         124
        .size:           4
        .value_kind:     by_value
      - .offset:         128
        .size:           4
        .value_kind:     hidden_block_count_x
      - .offset:         132
        .size:           4
        .value_kind:     hidden_block_count_y
      - .offset:         136
        .size:           4
        .value_kind:     hidden_block_count_z
      - .offset:         140
        .size:           2
        .value_kind:     hidden_group_size_x
      - .offset:         142
        .size:           2
        .value_kind:     hidden_group_size_y
      - .offset:         144
        .size:           2
        .value_kind:     hidden_group_size_z
      - .offset:         146
        .size:           2
        .value_kind:     hidden_remainder_x
      - .offset:         148
        .size:           2
        .value_kind:     hidden_remainder_y
      - .offset:         150
        .size:           2
        .value_kind:     hidden_remainder_z
      - .offset:         168
        .size:           8
        .value_kind:     hidden_global_offset_x
      - .offset:         176
        .size:           8
        .value_kind:     hidden_global_offset_y
      - .offset:         184
        .size:           8
        .value_kind:     hidden_global_offset_z
      - .offset:         192
        .size:           2
        .value_kind:     hidden_grid_dims
    .group_segment_fixed_size: 8448
    .kernarg_segment_align: 8
    .kernarg_segment_size: 384
    .language:       OpenCL C
    .language_version:
      - 2
      - 0
    .max_flat_workgroup_size: 256
    .name:           _ZL62rocblas_symv_kernel_upper_double_buffered_non_diagonal_genericILi32ELi8ELi2ELi0E24rocblas_internal_val_ptrIdEPKdPdEvbiT3_lT4_lllS6_lllT5_lllii
    .private_segment_fixed_size: 0
    .sgpr_count:     37
    .sgpr_spill_count: 0
    .symbol:         _ZL62rocblas_symv_kernel_upper_double_buffered_non_diagonal_genericILi32ELi8ELi2ELi0E24rocblas_internal_val_ptrIdEPKdPdEvbiT3_lT4_lllS6_lllT5_lllii.kd
    .uniform_work_group_size: 1
    .uses_dynamic_stack: false
    .vgpr_count:     53
    .vgpr_spill_count: 0
    .wavefront_size: 32
    .workgroup_processor_mode: 1
  - .args:
      - .offset:         0
        .size:           1
        .value_kind:     by_value
      - .offset:         4
        .size:           4
        .value_kind:     by_value
      - .offset:         8
        .size:           8
        .value_kind:     by_value
      - .offset:         16
        .size:           8
        .value_kind:     by_value
      - .address_space:  global
        .offset:         24
        .size:           8
        .value_kind:     global_buffer
      - .offset:         32
        .size:           8
        .value_kind:     by_value
      - .offset:         40
        .size:           8
        .value_kind:     by_value
      - .offset:         48
        .size:           8
        .value_kind:     by_value
      - .address_space:  global
        .offset:         56
        .size:           8
        .value_kind:     global_buffer
      - .offset:         64
        .size:           8
        .value_kind:     by_value
      - .offset:         72
        .size:           8
        .value_kind:     by_value
      - .offset:         80
        .size:           8
        .value_kind:     by_value
      - .address_space:  global
        .offset:         88
        .size:           8
        .value_kind:     global_buffer
      - .offset:         96
        .size:           8
        .value_kind:     by_value
      - .offset:         104
        .size:           8
        .value_kind:     by_value
      - .offset:         112
        .size:           8
        .value_kind:     by_value
      - .offset:         120
        .size:           4
        .value_kind:     by_value
      - .offset:         124
        .size:           4
        .value_kind:     by_value
      - .offset:         128
        .size:           4
        .value_kind:     hidden_block_count_x
      - .offset:         132
        .size:           4
        .value_kind:     hidden_block_count_y
      - .offset:         136
        .size:           4
        .value_kind:     hidden_block_count_z
      - .offset:         140
        .size:           2
        .value_kind:     hidden_group_size_x
      - .offset:         142
        .size:           2
        .value_kind:     hidden_group_size_y
      - .offset:         144
        .size:           2
        .value_kind:     hidden_group_size_z
      - .offset:         146
        .size:           2
        .value_kind:     hidden_remainder_x
      - .offset:         148
        .size:           2
        .value_kind:     hidden_remainder_y
      - .offset:         150
        .size:           2
        .value_kind:     hidden_remainder_z
      - .offset:         168
        .size:           8
        .value_kind:     hidden_global_offset_x
      - .offset:         176
        .size:           8
        .value_kind:     hidden_global_offset_y
      - .offset:         184
        .size:           8
        .value_kind:     hidden_global_offset_z
      - .offset:         192
        .size:           2
        .value_kind:     hidden_grid_dims
    .group_segment_fixed_size: 8448
    .kernarg_segment_align: 8
    .kernarg_segment_size: 384
    .language:       OpenCL C
    .language_version:
      - 2
      - 0
    .max_flat_workgroup_size: 256
    .name:           _ZL62rocblas_symv_kernel_upper_double_buffered_non_diagonal_genericILi32ELi8ELi2ELi1E24rocblas_internal_val_ptrIdEPKdPdEvbiT3_lT4_lllS6_lllT5_lllii
    .private_segment_fixed_size: 0
    .sgpr_count:     36
    .sgpr_spill_count: 0
    .symbol:         _ZL62rocblas_symv_kernel_upper_double_buffered_non_diagonal_genericILi32ELi8ELi2ELi1E24rocblas_internal_val_ptrIdEPKdPdEvbiT3_lT4_lllS6_lllT5_lllii.kd
    .uniform_work_group_size: 1
    .uses_dynamic_stack: false
    .vgpr_count:     56
    .vgpr_spill_count: 0
    .wavefront_size: 32
    .workgroup_processor_mode: 1
  - .args:
      - .offset:         0
        .size:           4
        .value_kind:     by_value
      - .address_space:  global
        .offset:         8
        .size:           8
        .value_kind:     global_buffer
      - .offset:         16
        .size:           8
        .value_kind:     by_value
      - .address_space:  global
        .offset:         24
        .size:           8
        .value_kind:     global_buffer
      - .offset:         32
        .size:           8
        .value_kind:     by_value
      - .offset:         40
        .size:           8
        .value_kind:     by_value
      - .offset:         48
        .size:           8
        .value_kind:     by_value
      - .address_space:  global
        .offset:         56
        .size:           8
        .value_kind:     global_buffer
      - .offset:         64
        .size:           8
        .value_kind:     by_value
      - .offset:         72
        .size:           8
        .value_kind:     by_value
      - .offset:         80
        .size:           8
        .value_kind:     by_value
      - .address_space:  global
        .offset:         88
        .size:           8
        .value_kind:     global_buffer
      - .offset:         96
        .size:           8
        .value_kind:     by_value
      - .address_space:  global
        .offset:         104
        .size:           8
        .value_kind:     global_buffer
      - .offset:         112
        .size:           4
        .value_kind:     by_value
      - .offset:         120
        .size:           4
        .value_kind:     hidden_block_count_x
      - .offset:         124
        .size:           4
        .value_kind:     hidden_block_count_y
      - .offset:         128
        .size:           4
        .value_kind:     hidden_block_count_z
      - .offset:         132
        .size:           2
        .value_kind:     hidden_group_size_x
      - .offset:         134
        .size:           2
        .value_kind:     hidden_group_size_y
      - .offset:         136
        .size:           2
        .value_kind:     hidden_group_size_z
      - .offset:         138
        .size:           2
        .value_kind:     hidden_remainder_x
      - .offset:         140
        .size:           2
        .value_kind:     hidden_remainder_y
      - .offset:         142
        .size:           2
        .value_kind:     hidden_remainder_z
      - .offset:         160
        .size:           8
        .value_kind:     hidden_global_offset_x
      - .offset:         168
        .size:           8
        .value_kind:     hidden_global_offset_y
      - .offset:         176
        .size:           8
        .value_kind:     hidden_global_offset_z
      - .offset:         184
        .size:           2
        .value_kind:     hidden_grid_dims
    .group_segment_fixed_size: 9600
    .kernarg_segment_align: 8
    .kernarg_segment_size: 376
    .language:       OpenCL C
    .language_version:
      - 2
      - 0
    .max_flat_workgroup_size: 256
    .name:           _ZL26rocblas_hemvn_kernel_upperILb0ELi64ELi4ELi33ELi32ELi16ElPKdS1_PdEviT6_lT7_lT5_lS4_lS5_lS3_lT8_i
    .private_segment_fixed_size: 0
    .sgpr_count:     34
    .sgpr_spill_count: 0
    .symbol:         _ZL26rocblas_hemvn_kernel_upperILb0ELi64ELi4ELi33ELi32ELi16ElPKdS1_PdEviT6_lT7_lT5_lS4_lS5_lS3_lT8_i.kd
    .uniform_work_group_size: 1
    .uses_dynamic_stack: false
    .vgpr_count:     144
    .vgpr_spill_count: 0
    .wavefront_size: 32
    .workgroup_processor_mode: 1
  - .args:
      - .offset:         0
        .size:           4
        .value_kind:     by_value
      - .address_space:  global
        .offset:         8
        .size:           8
        .value_kind:     global_buffer
      - .offset:         16
        .size:           8
        .value_kind:     by_value
      - .address_space:  global
        .offset:         24
        .size:           8
        .value_kind:     global_buffer
      - .offset:         32
        .size:           8
        .value_kind:     by_value
      - .address_space:  global
        .offset:         40
        .size:           8
        .value_kind:     global_buffer
      - .offset:         48
        .size:           8
        .value_kind:     by_value
      - .offset:         56
        .size:           8
        .value_kind:     by_value
      - .offset:         64
        .size:           8
        .value_kind:     by_value
      - .address_space:  global
        .offset:         72
        .size:           8
        .value_kind:     global_buffer
      - .offset:         80
        .size:           4
        .value_kind:     by_value
      - .offset:         88
        .size:           4
        .value_kind:     hidden_block_count_x
      - .offset:         92
        .size:           4
        .value_kind:     hidden_block_count_y
      - .offset:         96
        .size:           4
        .value_kind:     hidden_block_count_z
      - .offset:         100
        .size:           2
        .value_kind:     hidden_group_size_x
      - .offset:         102
        .size:           2
        .value_kind:     hidden_group_size_y
      - .offset:         104
        .size:           2
        .value_kind:     hidden_group_size_z
      - .offset:         106
        .size:           2
        .value_kind:     hidden_remainder_x
      - .offset:         108
        .size:           2
        .value_kind:     hidden_remainder_y
      - .offset:         110
        .size:           2
        .value_kind:     hidden_remainder_z
      - .offset:         128
        .size:           8
        .value_kind:     hidden_global_offset_x
      - .offset:         136
        .size:           8
        .value_kind:     hidden_global_offset_y
      - .offset:         144
        .size:           8
        .value_kind:     hidden_global_offset_z
      - .offset:         152
        .size:           2
        .value_kind:     hidden_grid_dims
    .group_segment_fixed_size: 0
    .kernarg_segment_align: 8
    .kernarg_segment_size: 344
    .language:       OpenCL C
    .language_version:
      - 2
      - 0
    .max_flat_workgroup_size: 64
    .name:           _ZL36rocblas_hemvn_kernel_upper_block_sumILi64ElPKdPddEviT1_lS3_lT2_lT0_lPT3_i
    .private_segment_fixed_size: 0
    .sgpr_count:     23
    .sgpr_spill_count: 0
    .symbol:         _ZL36rocblas_hemvn_kernel_upper_block_sumILi64ElPKdPddEviT1_lS3_lT2_lT0_lPT3_i.kd
    .uniform_work_group_size: 1
    .uses_dynamic_stack: false
    .vgpr_count:     9
    .vgpr_spill_count: 0
    .wavefront_size: 32
    .workgroup_processor_mode: 1
  - .args:
      - .offset:         0
        .size:           4
        .value_kind:     by_value
      - .address_space:  global
        .offset:         8
        .size:           8
        .value_kind:     global_buffer
      - .offset:         16
        .size:           8
        .value_kind:     by_value
      - .address_space:  global
        .offset:         24
        .size:           8
        .value_kind:     global_buffer
      - .offset:         32
        .size:           8
        .value_kind:     by_value
      - .offset:         40
        .size:           4
        .value_kind:     by_value
      - .offset:         48
        .size:           8
        .value_kind:     by_value
      - .address_space:  global
        .offset:         56
        .size:           8
        .value_kind:     global_buffer
      - .offset:         64
        .size:           8
        .value_kind:     by_value
      - .offset:         72
        .size:           4
        .value_kind:     by_value
      - .offset:         80
        .size:           8
        .value_kind:     by_value
      - .address_space:  global
        .offset:         88
        .size:           8
        .value_kind:     global_buffer
      - .offset:         96
        .size:           8
        .value_kind:     by_value
      - .address_space:  global
        .offset:         104
        .size:           8
        .value_kind:     global_buffer
      - .offset:         112
        .size:           4
        .value_kind:     by_value
      - .offset:         120
        .size:           4
        .value_kind:     hidden_block_count_x
      - .offset:         124
        .size:           4
        .value_kind:     hidden_block_count_y
      - .offset:         128
        .size:           4
        .value_kind:     hidden_block_count_z
      - .offset:         132
        .size:           2
        .value_kind:     hidden_group_size_x
      - .offset:         134
        .size:           2
        .value_kind:     hidden_group_size_y
      - .offset:         136
        .size:           2
        .value_kind:     hidden_group_size_z
      - .offset:         138
        .size:           2
        .value_kind:     hidden_remainder_x
      - .offset:         140
        .size:           2
        .value_kind:     hidden_remainder_y
      - .offset:         142
        .size:           2
        .value_kind:     hidden_remainder_z
      - .offset:         160
        .size:           8
        .value_kind:     hidden_global_offset_x
      - .offset:         168
        .size:           8
        .value_kind:     hidden_global_offset_y
      - .offset:         176
        .size:           8
        .value_kind:     hidden_global_offset_z
      - .offset:         184
        .size:           2
        .value_kind:     hidden_grid_dims
    .group_segment_fixed_size: 9600
    .kernarg_segment_align: 8
    .kernarg_segment_size: 376
    .language:       OpenCL C
    .language_version:
      - 2
      - 0
    .max_flat_workgroup_size: 256
    .name:           _ZL26rocblas_hemvn_kernel_upperILb0ELi64ELi4ELi33ELi32ELi16EiPKdS1_PdEviT6_lT7_lT5_lS4_lS5_lS3_lT8_i
    .private_segment_fixed_size: 0
    .sgpr_count:     43
    .sgpr_spill_count: 0
    .symbol:         _ZL26rocblas_hemvn_kernel_upperILb0ELi64ELi4ELi33ELi32ELi16EiPKdS1_PdEviT6_lT7_lT5_lS4_lS5_lS3_lT8_i.kd
    .uniform_work_group_size: 1
    .uses_dynamic_stack: false
    .vgpr_count:     182
    .vgpr_spill_count: 0
    .wavefront_size: 32
    .workgroup_processor_mode: 1
  - .args:
      - .offset:         0
        .size:           4
        .value_kind:     by_value
      - .address_space:  global
        .offset:         8
        .size:           8
        .value_kind:     global_buffer
      - .offset:         16
        .size:           8
        .value_kind:     by_value
      - .address_space:  global
        .offset:         24
        .size:           8
        .value_kind:     global_buffer
      - .offset:         32
        .size:           8
        .value_kind:     by_value
      - .address_space:  global
        .offset:         40
        .size:           8
        .value_kind:     global_buffer
      - .offset:         48
        .size:           8
        .value_kind:     by_value
      - .offset:         56
        .size:           4
        .value_kind:     by_value
      - .offset:         64
        .size:           8
        .value_kind:     by_value
      - .address_space:  global
        .offset:         72
        .size:           8
        .value_kind:     global_buffer
      - .offset:         80
        .size:           4
        .value_kind:     by_value
      - .offset:         88
        .size:           4
        .value_kind:     hidden_block_count_x
      - .offset:         92
        .size:           4
        .value_kind:     hidden_block_count_y
      - .offset:         96
        .size:           4
        .value_kind:     hidden_block_count_z
      - .offset:         100
        .size:           2
        .value_kind:     hidden_group_size_x
      - .offset:         102
        .size:           2
        .value_kind:     hidden_group_size_y
      - .offset:         104
        .size:           2
        .value_kind:     hidden_group_size_z
      - .offset:         106
        .size:           2
        .value_kind:     hidden_remainder_x
      - .offset:         108
        .size:           2
        .value_kind:     hidden_remainder_y
      - .offset:         110
        .size:           2
        .value_kind:     hidden_remainder_z
      - .offset:         128
        .size:           8
        .value_kind:     hidden_global_offset_x
      - .offset:         136
        .size:           8
        .value_kind:     hidden_global_offset_y
      - .offset:         144
        .size:           8
        .value_kind:     hidden_global_offset_z
      - .offset:         152
        .size:           2
        .value_kind:     hidden_grid_dims
    .group_segment_fixed_size: 0
    .kernarg_segment_align: 8
    .kernarg_segment_size: 344
    .language:       OpenCL C
    .language_version:
      - 2
      - 0
    .max_flat_workgroup_size: 64
    .name:           _ZL36rocblas_hemvn_kernel_upper_block_sumILi64EiPKdPddEviT1_lS3_lT2_lT0_lPT3_i
    .private_segment_fixed_size: 0
    .sgpr_count:     26
    .sgpr_spill_count: 0
    .symbol:         _ZL36rocblas_hemvn_kernel_upper_block_sumILi64EiPKdPddEviT1_lS3_lT2_lT0_lPT3_i.kd
    .uniform_work_group_size: 1
    .uses_dynamic_stack: false
    .vgpr_count:     7
    .vgpr_spill_count: 0
    .wavefront_size: 32
    .workgroup_processor_mode: 1
  - .args:
      - .offset:         0
        .size:           4
        .value_kind:     by_value
      - .offset:         8
        .size:           8
        .value_kind:     by_value
      - .offset:         16
        .size:           8
        .value_kind:     by_value
      - .address_space:  global
        .offset:         24
        .size:           8
        .value_kind:     global_buffer
      - .offset:         32
        .size:           8
        .value_kind:     by_value
      - .offset:         40
        .size:           8
        .value_kind:     by_value
      - .offset:         48
        .size:           8
        .value_kind:     by_value
      - .address_space:  global
        .offset:         56
        .size:           8
        .value_kind:     global_buffer
      - .offset:         64
        .size:           8
        .value_kind:     by_value
      - .offset:         72
        .size:           8
        .value_kind:     by_value
      - .offset:         80
        .size:           8
        .value_kind:     by_value
      - .offset:         88
        .size:           8
        .value_kind:     by_value
      - .offset:         96
        .size:           8
        .value_kind:     by_value
      - .address_space:  global
        .offset:         104
        .size:           8
        .value_kind:     global_buffer
      - .offset:         112
        .size:           4
        .value_kind:     by_value
      - .offset:         120
        .size:           4
        .value_kind:     hidden_block_count_x
      - .offset:         124
        .size:           4
        .value_kind:     hidden_block_count_y
      - .offset:         128
        .size:           4
        .value_kind:     hidden_block_count_z
      - .offset:         132
        .size:           2
        .value_kind:     hidden_group_size_x
      - .offset:         134
        .size:           2
        .value_kind:     hidden_group_size_y
      - .offset:         136
        .size:           2
        .value_kind:     hidden_group_size_z
      - .offset:         138
        .size:           2
        .value_kind:     hidden_remainder_x
      - .offset:         140
        .size:           2
        .value_kind:     hidden_remainder_y
      - .offset:         142
        .size:           2
        .value_kind:     hidden_remainder_z
      - .offset:         160
        .size:           8
        .value_kind:     hidden_global_offset_x
      - .offset:         168
        .size:           8
        .value_kind:     hidden_global_offset_y
      - .offset:         176
        .size:           8
        .value_kind:     hidden_global_offset_z
      - .offset:         184
        .size:           2
        .value_kind:     hidden_grid_dims
    .group_segment_fixed_size: 9600
    .kernarg_segment_align: 8
    .kernarg_segment_size: 376
    .language:       OpenCL C
    .language_version:
      - 2
      - 0
    .max_flat_workgroup_size: 256
    .name:           _ZL26rocblas_hemvn_kernel_upperILb0ELi64ELi4ELi33ELi32ELi16EldPKdPdEviT6_lT7_lT5_lS4_lS5_lS3_lT8_i
    .private_segment_fixed_size: 0
    .sgpr_count:     32
    .sgpr_spill_count: 0
    .symbol:         _ZL26rocblas_hemvn_kernel_upperILb0ELi64ELi4ELi33ELi32ELi16EldPKdPdEviT6_lT7_lT5_lS4_lS5_lS3_lT8_i.kd
    .uniform_work_group_size: 1
    .uses_dynamic_stack: false
    .vgpr_count:     160
    .vgpr_spill_count: 0
    .wavefront_size: 32
    .workgroup_processor_mode: 1
  - .args:
      - .offset:         0
        .size:           4
        .value_kind:     by_value
      - .offset:         8
        .size:           8
        .value_kind:     by_value
      - .offset:         16
        .size:           8
        .value_kind:     by_value
      - .offset:         24
        .size:           8
        .value_kind:     by_value
      - .offset:         32
        .size:           8
        .value_kind:     by_value
      - .address_space:  global
        .offset:         40
        .size:           8
        .value_kind:     global_buffer
      - .offset:         48
        .size:           8
        .value_kind:     by_value
      - .offset:         56
        .size:           8
        .value_kind:     by_value
      - .offset:         64
        .size:           8
        .value_kind:     by_value
      - .address_space:  global
        .offset:         72
        .size:           8
        .value_kind:     global_buffer
      - .offset:         80
        .size:           4
        .value_kind:     by_value
      - .offset:         88
        .size:           4
        .value_kind:     hidden_block_count_x
      - .offset:         92
        .size:           4
        .value_kind:     hidden_block_count_y
      - .offset:         96
        .size:           4
        .value_kind:     hidden_block_count_z
      - .offset:         100
        .size:           2
        .value_kind:     hidden_group_size_x
      - .offset:         102
        .size:           2
        .value_kind:     hidden_group_size_y
      - .offset:         104
        .size:           2
        .value_kind:     hidden_group_size_z
      - .offset:         106
        .size:           2
        .value_kind:     hidden_remainder_x
      - .offset:         108
        .size:           2
        .value_kind:     hidden_remainder_y
      - .offset:         110
        .size:           2
        .value_kind:     hidden_remainder_z
      - .offset:         128
        .size:           8
        .value_kind:     hidden_global_offset_x
      - .offset:         136
        .size:           8
        .value_kind:     hidden_global_offset_y
      - .offset:         144
        .size:           8
        .value_kind:     hidden_global_offset_z
      - .offset:         152
        .size:           2
        .value_kind:     hidden_grid_dims
    .group_segment_fixed_size: 0
    .kernarg_segment_align: 8
    .kernarg_segment_size: 344
    .language:       OpenCL C
    .language_version:
      - 2
      - 0
    .max_flat_workgroup_size: 64
    .name:           _ZL36rocblas_hemvn_kernel_upper_block_sumILi64EldPddEviT1_lS1_lT2_lT0_lPT3_i
    .private_segment_fixed_size: 0
    .sgpr_count:     23
    .sgpr_spill_count: 0
    .symbol:         _ZL36rocblas_hemvn_kernel_upper_block_sumILi64EldPddEviT1_lS1_lT2_lT0_lPT3_i.kd
    .uniform_work_group_size: 1
    .uses_dynamic_stack: false
    .vgpr_count:     9
    .vgpr_spill_count: 0
    .wavefront_size: 32
    .workgroup_processor_mode: 1
  - .args:
      - .offset:         0
        .size:           4
        .value_kind:     by_value
      - .offset:         8
        .size:           8
        .value_kind:     by_value
      - .offset:         16
        .size:           8
        .value_kind:     by_value
      - .address_space:  global
        .offset:         24
        .size:           8
        .value_kind:     global_buffer
      - .offset:         32
        .size:           8
        .value_kind:     by_value
      - .offset:         40
        .size:           4
        .value_kind:     by_value
      - .offset:         48
        .size:           8
        .value_kind:     by_value
      - .address_space:  global
        .offset:         56
        .size:           8
        .value_kind:     global_buffer
      - .offset:         64
        .size:           8
        .value_kind:     by_value
      - .offset:         72
        .size:           4
        .value_kind:     by_value
      - .offset:         80
        .size:           8
        .value_kind:     by_value
      - .offset:         88
        .size:           8
        .value_kind:     by_value
      - .offset:         96
        .size:           8
        .value_kind:     by_value
      - .address_space:  global
        .offset:         104
        .size:           8
        .value_kind:     global_buffer
      - .offset:         112
        .size:           4
        .value_kind:     by_value
      - .offset:         120
        .size:           4
        .value_kind:     hidden_block_count_x
      - .offset:         124
        .size:           4
        .value_kind:     hidden_block_count_y
      - .offset:         128
        .size:           4
        .value_kind:     hidden_block_count_z
      - .offset:         132
        .size:           2
        .value_kind:     hidden_group_size_x
      - .offset:         134
        .size:           2
        .value_kind:     hidden_group_size_y
      - .offset:         136
        .size:           2
        .value_kind:     hidden_group_size_z
      - .offset:         138
        .size:           2
        .value_kind:     hidden_remainder_x
      - .offset:         140
        .size:           2
        .value_kind:     hidden_remainder_y
      - .offset:         142
        .size:           2
        .value_kind:     hidden_remainder_z
      - .offset:         160
        .size:           8
        .value_kind:     hidden_global_offset_x
      - .offset:         168
        .size:           8
        .value_kind:     hidden_global_offset_y
      - .offset:         176
        .size:           8
        .value_kind:     hidden_global_offset_z
      - .offset:         184
        .size:           2
        .value_kind:     hidden_grid_dims
    .group_segment_fixed_size: 9600
    .kernarg_segment_align: 8
    .kernarg_segment_size: 376
    .language:       OpenCL C
    .language_version:
      - 2
      - 0
    .max_flat_workgroup_size: 256
    .name:           _ZL26rocblas_hemvn_kernel_upperILb0ELi64ELi4ELi33ELi32ELi16EidPKdPdEviT6_lT7_lT5_lS4_lS5_lS3_lT8_i
    .private_segment_fixed_size: 0
    .sgpr_count:     43
    .sgpr_spill_count: 0
    .symbol:         _ZL26rocblas_hemvn_kernel_upperILb0ELi64ELi4ELi33ELi32ELi16EidPKdPdEviT6_lT7_lT5_lS4_lS5_lS3_lT8_i.kd
    .uniform_work_group_size: 1
    .uses_dynamic_stack: false
    .vgpr_count:     182
    .vgpr_spill_count: 0
    .wavefront_size: 32
    .workgroup_processor_mode: 1
  - .args:
      - .offset:         0
        .size:           4
        .value_kind:     by_value
      - .offset:         8
        .size:           8
        .value_kind:     by_value
      - .offset:         16
        .size:           8
        .value_kind:     by_value
      - .offset:         24
        .size:           8
        .value_kind:     by_value
      - .offset:         32
        .size:           8
        .value_kind:     by_value
      - .address_space:  global
        .offset:         40
        .size:           8
        .value_kind:     global_buffer
      - .offset:         48
        .size:           8
        .value_kind:     by_value
      - .offset:         56
        .size:           4
        .value_kind:     by_value
      - .offset:         64
        .size:           8
        .value_kind:     by_value
      - .address_space:  global
        .offset:         72
        .size:           8
        .value_kind:     global_buffer
      - .offset:         80
        .size:           4
        .value_kind:     by_value
      - .offset:         88
        .size:           4
        .value_kind:     hidden_block_count_x
      - .offset:         92
        .size:           4
        .value_kind:     hidden_block_count_y
      - .offset:         96
        .size:           4
        .value_kind:     hidden_block_count_z
      - .offset:         100
        .size:           2
        .value_kind:     hidden_group_size_x
      - .offset:         102
        .size:           2
        .value_kind:     hidden_group_size_y
      - .offset:         104
        .size:           2
        .value_kind:     hidden_group_size_z
      - .offset:         106
        .size:           2
        .value_kind:     hidden_remainder_x
      - .offset:         108
        .size:           2
        .value_kind:     hidden_remainder_y
      - .offset:         110
        .size:           2
        .value_kind:     hidden_remainder_z
      - .offset:         128
        .size:           8
        .value_kind:     hidden_global_offset_x
      - .offset:         136
        .size:           8
        .value_kind:     hidden_global_offset_y
      - .offset:         144
        .size:           8
        .value_kind:     hidden_global_offset_z
      - .offset:         152
        .size:           2
        .value_kind:     hidden_grid_dims
    .group_segment_fixed_size: 0
    .kernarg_segment_align: 8
    .kernarg_segment_size: 344
    .language:       OpenCL C
    .language_version:
      - 2
      - 0
    .max_flat_workgroup_size: 64
    .name:           _ZL36rocblas_hemvn_kernel_upper_block_sumILi64EidPddEviT1_lS1_lT2_lT0_lPT3_i
    .private_segment_fixed_size: 0
    .sgpr_count:     26
    .sgpr_spill_count: 0
    .symbol:         _ZL36rocblas_hemvn_kernel_upper_block_sumILi64EidPddEviT1_lS1_lT2_lT0_lPT3_i.kd
    .uniform_work_group_size: 1
    .uses_dynamic_stack: false
    .vgpr_count:     7
    .vgpr_spill_count: 0
    .wavefront_size: 32
    .workgroup_processor_mode: 1
  - .args:
      - .offset:         0
        .size:           1
        .value_kind:     by_value
      - .offset:         4
        .size:           4
        .value_kind:     by_value
      - .offset:         8
        .size:           8
        .value_kind:     by_value
      - .offset:         16
        .size:           8
        .value_kind:     by_value
      - .address_space:  global
        .offset:         24
        .size:           8
        .value_kind:     global_buffer
      - .offset:         32
        .size:           8
        .value_kind:     by_value
      - .offset:         40
        .size:           8
        .value_kind:     by_value
      - .offset:         48
        .size:           8
        .value_kind:     by_value
      - .address_space:  global
        .offset:         56
        .size:           8
        .value_kind:     global_buffer
      - .offset:         64
        .size:           8
        .value_kind:     by_value
      - .offset:         72
        .size:           8
        .value_kind:     by_value
      - .offset:         80
        .size:           8
        .value_kind:     by_value
      - .offset:         88
        .size:           8
        .value_kind:     by_value
      - .offset:         96
        .size:           8
        .value_kind:     by_value
      - .address_space:  global
        .offset:         104
        .size:           8
        .value_kind:     global_buffer
      - .offset:         112
        .size:           8
        .value_kind:     by_value
      - .offset:         120
        .size:           8
        .value_kind:     by_value
      - .offset:         128
        .size:           8
        .value_kind:     by_value
      - .offset:         136
        .size:           4
        .value_kind:     by_value
    .group_segment_fixed_size: 10496
    .kernarg_segment_align: 8
    .kernarg_segment_size: 140
    .language:       OpenCL C
    .language_version:
      - 2
      - 0
    .max_flat_workgroup_size: 128
    .name:           _ZL50rocblas_symv_kernel_lower_double_buffered_diagonalILi32ELi4E24rocblas_internal_val_ptrIdEPKdPdEvbiT1_lT2_lllS6_lllS5_lT3_llli
    .private_segment_fixed_size: 0
    .sgpr_count:     34
    .sgpr_spill_count: 0
    .symbol:         _ZL50rocblas_symv_kernel_lower_double_buffered_diagonalILi32ELi4E24rocblas_internal_val_ptrIdEPKdPdEvbiT1_lT2_lllS6_lllS5_lT3_llli.kd
    .uniform_work_group_size: 1
    .uses_dynamic_stack: false
    .vgpr_count:     29
    .vgpr_spill_count: 0
    .wavefront_size: 32
    .workgroup_processor_mode: 1
  - .args:
      - .offset:         0
        .size:           1
        .value_kind:     by_value
      - .offset:         4
        .size:           4
        .value_kind:     by_value
      - .offset:         8
        .size:           8
        .value_kind:     by_value
      - .offset:         16
        .size:           8
        .value_kind:     by_value
      - .address_space:  global
        .offset:         24
        .size:           8
        .value_kind:     global_buffer
      - .offset:         32
        .size:           8
        .value_kind:     by_value
      - .offset:         40
        .size:           8
        .value_kind:     by_value
      - .offset:         48
        .size:           8
        .value_kind:     by_value
      - .address_space:  global
        .offset:         56
        .size:           8
        .value_kind:     global_buffer
      - .offset:         64
        .size:           8
        .value_kind:     by_value
      - .offset:         72
        .size:           8
        .value_kind:     by_value
      - .offset:         80
        .size:           8
        .value_kind:     by_value
      - .address_space:  global
        .offset:         88
        .size:           8
        .value_kind:     global_buffer
      - .offset:         96
        .size:           8
        .value_kind:     by_value
      - .offset:         104
        .size:           8
        .value_kind:     by_value
      - .offset:         112
        .size:           8
        .value_kind:     by_value
      - .offset:         120
        .size:           4
        .value_kind:     by_value
      - .offset:         128
        .size:           4
        .value_kind:     hidden_block_count_x
      - .offset:         132
        .size:           4
        .value_kind:     hidden_block_count_y
      - .offset:         136
        .size:           4
        .value_kind:     hidden_block_count_z
      - .offset:         140
        .size:           2
        .value_kind:     hidden_group_size_x
      - .offset:         142
        .size:           2
        .value_kind:     hidden_group_size_y
      - .offset:         144
        .size:           2
        .value_kind:     hidden_group_size_z
      - .offset:         146
        .size:           2
        .value_kind:     hidden_remainder_x
      - .offset:         148
        .size:           2
        .value_kind:     hidden_remainder_y
      - .offset:         150
        .size:           2
        .value_kind:     hidden_remainder_z
      - .offset:         168
        .size:           8
        .value_kind:     hidden_global_offset_x
      - .offset:         176
        .size:           8
        .value_kind:     hidden_global_offset_y
      - .offset:         184
        .size:           8
        .value_kind:     hidden_global_offset_z
      - .offset:         192
        .size:           2
        .value_kind:     hidden_grid_dims
    .group_segment_fixed_size: 6400
    .kernarg_segment_align: 8
    .kernarg_segment_size: 384
    .language:       OpenCL C
    .language_version:
      - 2
      - 0
    .max_flat_workgroup_size: 128
    .name:           _ZL54rocblas_symv_kernel_lower_double_buffered_non_diagonalILi32ELi4ELi4E24rocblas_internal_val_ptrIdEPKdPdEvbiT2_lT3_lllS6_lllT4_llli
    .private_segment_fixed_size: 0
    .sgpr_count:     30
    .sgpr_spill_count: 0
    .symbol:         _ZL54rocblas_symv_kernel_lower_double_buffered_non_diagonalILi32ELi4ELi4E24rocblas_internal_val_ptrIdEPKdPdEvbiT2_lT3_lllS6_lllT4_llli.kd
    .uniform_work_group_size: 1
    .uses_dynamic_stack: false
    .vgpr_count:     66
    .vgpr_spill_count: 0
    .wavefront_size: 32
    .workgroup_processor_mode: 1
  - .args:
      - .offset:         0
        .size:           1
        .value_kind:     by_value
      - .offset:         4
        .size:           4
        .value_kind:     by_value
      - .offset:         8
        .size:           8
        .value_kind:     by_value
      - .offset:         16
        .size:           8
        .value_kind:     by_value
      - .address_space:  global
        .offset:         24
        .size:           8
        .value_kind:     global_buffer
      - .offset:         32
        .size:           8
        .value_kind:     by_value
      - .offset:         40
        .size:           8
        .value_kind:     by_value
      - .offset:         48
        .size:           8
        .value_kind:     by_value
      - .address_space:  global
        .offset:         56
        .size:           8
        .value_kind:     global_buffer
      - .offset:         64
        .size:           8
        .value_kind:     by_value
      - .offset:         72
        .size:           8
        .value_kind:     by_value
      - .offset:         80
        .size:           8
        .value_kind:     by_value
      - .offset:         88
        .size:           8
        .value_kind:     by_value
      - .offset:         96
        .size:           8
        .value_kind:     by_value
      - .address_space:  global
        .offset:         104
        .size:           8
        .value_kind:     global_buffer
      - .offset:         112
        .size:           8
        .value_kind:     by_value
      - .offset:         120
        .size:           8
        .value_kind:     by_value
      - .offset:         128
        .size:           8
        .value_kind:     by_value
      - .offset:         136
        .size:           4
        .value_kind:     by_value
      - .offset:         140
        .size:           4
        .value_kind:     by_value
      - .offset:         144
        .size:           4
        .value_kind:     hidden_block_count_x
      - .offset:         148
        .size:           4
        .value_kind:     hidden_block_count_y
      - .offset:         152
        .size:           4
        .value_kind:     hidden_block_count_z
      - .offset:         156
        .size:           2
        .value_kind:     hidden_group_size_x
      - .offset:         158
        .size:           2
        .value_kind:     hidden_group_size_y
      - .offset:         160
        .size:           2
        .value_kind:     hidden_group_size_z
      - .offset:         162
        .size:           2
        .value_kind:     hidden_remainder_x
      - .offset:         164
        .size:           2
        .value_kind:     hidden_remainder_y
      - .offset:         166
        .size:           2
        .value_kind:     hidden_remainder_z
      - .offset:         184
        .size:           8
        .value_kind:     hidden_global_offset_x
      - .offset:         192
        .size:           8
        .value_kind:     hidden_global_offset_y
      - .offset:         200
        .size:           8
        .value_kind:     hidden_global_offset_z
      - .offset:         208
        .size:           2
        .value_kind:     hidden_grid_dims
    .group_segment_fixed_size: 10496
    .kernarg_segment_align: 8
    .kernarg_segment_size: 400
    .language:       OpenCL C
    .language_version:
      - 2
      - 0
    .max_flat_workgroup_size: 128
    .name:           _ZL58rocblas_symv_kernel_lower_double_buffered_diagonal_genericILi32ELi4E24rocblas_internal_val_ptrIdEPKdPdEvbiT1_lT2_lllS6_lllS5_lT3_lllii
    .private_segment_fixed_size: 0
    .sgpr_count:     34
    .sgpr_spill_count: 0
    .symbol:         _ZL58rocblas_symv_kernel_lower_double_buffered_diagonal_genericILi32ELi4E24rocblas_internal_val_ptrIdEPKdPdEvbiT1_lT2_lllS6_lllS5_lT3_lllii.kd
    .uniform_work_group_size: 1
    .uses_dynamic_stack: false
    .vgpr_count:     32
    .vgpr_spill_count: 0
    .wavefront_size: 32
    .workgroup_processor_mode: 1
  - .args:
      - .offset:         0
        .size:           1
        .value_kind:     by_value
      - .offset:         4
        .size:           4
        .value_kind:     by_value
      - .offset:         8
        .size:           8
        .value_kind:     by_value
      - .offset:         16
        .size:           8
        .value_kind:     by_value
      - .address_space:  global
        .offset:         24
        .size:           8
        .value_kind:     global_buffer
      - .offset:         32
        .size:           8
        .value_kind:     by_value
      - .offset:         40
        .size:           8
        .value_kind:     by_value
      - .offset:         48
        .size:           8
        .value_kind:     by_value
      - .address_space:  global
        .offset:         56
        .size:           8
        .value_kind:     global_buffer
      - .offset:         64
        .size:           8
        .value_kind:     by_value
      - .offset:         72
        .size:           8
        .value_kind:     by_value
      - .offset:         80
        .size:           8
        .value_kind:     by_value
      - .address_space:  global
        .offset:         88
        .size:           8
        .value_kind:     global_buffer
      - .offset:         96
        .size:           8
        .value_kind:     by_value
      - .offset:         104
        .size:           8
        .value_kind:     by_value
      - .offset:         112
        .size:           8
        .value_kind:     by_value
      - .offset:         120
        .size:           4
        .value_kind:     by_value
      - .offset:         124
        .size:           4
        .value_kind:     by_value
      - .offset:         128
        .size:           4
        .value_kind:     hidden_block_count_x
      - .offset:         132
        .size:           4
        .value_kind:     hidden_block_count_y
      - .offset:         136
        .size:           4
        .value_kind:     hidden_block_count_z
      - .offset:         140
        .size:           2
        .value_kind:     hidden_group_size_x
      - .offset:         142
        .size:           2
        .value_kind:     hidden_group_size_y
      - .offset:         144
        .size:           2
        .value_kind:     hidden_group_size_z
      - .offset:         146
        .size:           2
        .value_kind:     hidden_remainder_x
      - .offset:         148
        .size:           2
        .value_kind:     hidden_remainder_y
      - .offset:         150
        .size:           2
        .value_kind:     hidden_remainder_z
      - .offset:         168
        .size:           8
        .value_kind:     hidden_global_offset_x
      - .offset:         176
        .size:           8
        .value_kind:     hidden_global_offset_y
      - .offset:         184
        .size:           8
        .value_kind:     hidden_global_offset_z
      - .offset:         192
        .size:           2
        .value_kind:     hidden_grid_dims
    .group_segment_fixed_size: 6400
    .kernarg_segment_align: 8
    .kernarg_segment_size: 384
    .language:       OpenCL C
    .language_version:
      - 2
      - 0
    .max_flat_workgroup_size: 128
    .name:           _ZL62rocblas_symv_kernel_lower_double_buffered_non_diagonal_genericILi32ELi4ELi4E24rocblas_internal_val_ptrIdEPKdPdEvbiT2_lT3_lllS6_lllT4_lllii
    .private_segment_fixed_size: 0
    .sgpr_count:     39
    .sgpr_spill_count: 0
    .symbol:         _ZL62rocblas_symv_kernel_lower_double_buffered_non_diagonal_genericILi32ELi4ELi4E24rocblas_internal_val_ptrIdEPKdPdEvbiT2_lT3_lllS6_lllT4_lllii.kd
    .uniform_work_group_size: 1
    .uses_dynamic_stack: false
    .vgpr_count:     82
    .vgpr_spill_count: 0
    .wavefront_size: 32
    .workgroup_processor_mode: 1
  - .args:
      - .offset:         0
        .size:           4
        .value_kind:     by_value
      - .address_space:  global
        .offset:         8
        .size:           8
        .value_kind:     global_buffer
      - .offset:         16
        .size:           8
        .value_kind:     by_value
      - .address_space:  global
        .offset:         24
        .size:           8
        .value_kind:     global_buffer
      - .offset:         32
        .size:           8
        .value_kind:     by_value
      - .offset:         40
        .size:           8
        .value_kind:     by_value
      - .offset:         48
        .size:           8
        .value_kind:     by_value
      - .address_space:  global
        .offset:         56
        .size:           8
        .value_kind:     global_buffer
      - .offset:         64
        .size:           8
        .value_kind:     by_value
      - .offset:         72
        .size:           8
        .value_kind:     by_value
      - .offset:         80
        .size:           8
        .value_kind:     by_value
      - .address_space:  global
        .offset:         88
        .size:           8
        .value_kind:     global_buffer
      - .offset:         96
        .size:           8
        .value_kind:     by_value
      - .address_space:  global
        .offset:         104
        .size:           8
        .value_kind:     global_buffer
      - .offset:         112
        .size:           4
        .value_kind:     by_value
      - .offset:         120
        .size:           4
        .value_kind:     hidden_block_count_x
      - .offset:         124
        .size:           4
        .value_kind:     hidden_block_count_y
      - .offset:         128
        .size:           4
        .value_kind:     hidden_block_count_z
      - .offset:         132
        .size:           2
        .value_kind:     hidden_group_size_x
      - .offset:         134
        .size:           2
        .value_kind:     hidden_group_size_y
      - .offset:         136
        .size:           2
        .value_kind:     hidden_group_size_z
      - .offset:         138
        .size:           2
        .value_kind:     hidden_remainder_x
      - .offset:         140
        .size:           2
        .value_kind:     hidden_remainder_y
      - .offset:         142
        .size:           2
        .value_kind:     hidden_remainder_z
      - .offset:         160
        .size:           8
        .value_kind:     hidden_global_offset_x
      - .offset:         168
        .size:           8
        .value_kind:     hidden_global_offset_y
      - .offset:         176
        .size:           8
        .value_kind:     hidden_global_offset_z
      - .offset:         184
        .size:           2
        .value_kind:     hidden_grid_dims
    .group_segment_fixed_size: 9600
    .kernarg_segment_align: 8
    .kernarg_segment_size: 376
    .language:       OpenCL C
    .language_version:
      - 2
      - 0
    .max_flat_workgroup_size: 256
    .name:           _ZL26rocblas_hemvn_kernel_lowerILb0ELi64ELi4ELi33ELi32ELi16ElPKdS1_PdEviT6_lT7_lT5_lS4_lS5_lS3_lT8_i
    .private_segment_fixed_size: 0
    .sgpr_count:     50
    .sgpr_spill_count: 0
    .symbol:         _ZL26rocblas_hemvn_kernel_lowerILb0ELi64ELi4ELi33ELi32ELi16ElPKdS1_PdEviT6_lT7_lT5_lS4_lS5_lS3_lT8_i.kd
    .uniform_work_group_size: 1
    .uses_dynamic_stack: false
    .vgpr_count:     105
    .vgpr_spill_count: 0
    .wavefront_size: 32
    .workgroup_processor_mode: 1
  - .args:
      - .offset:         0
        .size:           4
        .value_kind:     by_value
      - .address_space:  global
        .offset:         8
        .size:           8
        .value_kind:     global_buffer
      - .offset:         16
        .size:           8
        .value_kind:     by_value
      - .address_space:  global
        .offset:         24
        .size:           8
        .value_kind:     global_buffer
      - .offset:         32
        .size:           8
        .value_kind:     by_value
      - .address_space:  global
        .offset:         40
        .size:           8
        .value_kind:     global_buffer
      - .offset:         48
        .size:           8
        .value_kind:     by_value
      - .offset:         56
        .size:           8
        .value_kind:     by_value
      - .offset:         64
        .size:           8
        .value_kind:     by_value
      - .actual_access:  read_only
        .address_space:  global
        .offset:         72
        .size:           8
        .value_kind:     global_buffer
      - .offset:         80
        .size:           4
        .value_kind:     by_value
      - .offset:         88
        .size:           4
        .value_kind:     hidden_block_count_x
      - .offset:         92
        .size:           4
        .value_kind:     hidden_block_count_y
      - .offset:         96
        .size:           4
        .value_kind:     hidden_block_count_z
      - .offset:         100
        .size:           2
        .value_kind:     hidden_group_size_x
      - .offset:         102
        .size:           2
        .value_kind:     hidden_group_size_y
      - .offset:         104
        .size:           2
        .value_kind:     hidden_group_size_z
      - .offset:         106
        .size:           2
        .value_kind:     hidden_remainder_x
      - .offset:         108
        .size:           2
        .value_kind:     hidden_remainder_y
      - .offset:         110
        .size:           2
        .value_kind:     hidden_remainder_z
      - .offset:         128
        .size:           8
        .value_kind:     hidden_global_offset_x
      - .offset:         136
        .size:           8
        .value_kind:     hidden_global_offset_y
      - .offset:         144
        .size:           8
        .value_kind:     hidden_global_offset_z
      - .offset:         152
        .size:           2
        .value_kind:     hidden_grid_dims
    .group_segment_fixed_size: 0
    .kernarg_segment_align: 8
    .kernarg_segment_size: 344
    .language:       OpenCL C
    .language_version:
      - 2
      - 0
    .max_flat_workgroup_size: 64
    .name:           _ZL36rocblas_hemvn_kernel_lower_block_sumILi64ElPKdPddEviT1_lS3_lT2_lT0_lPT3_i
    .private_segment_fixed_size: 0
    .sgpr_count:     22
    .sgpr_spill_count: 0
    .symbol:         _ZL36rocblas_hemvn_kernel_lower_block_sumILi64ElPKdPddEviT1_lS3_lT2_lT0_lPT3_i.kd
    .uniform_work_group_size: 1
    .uses_dynamic_stack: false
    .vgpr_count:     9
    .vgpr_spill_count: 0
    .wavefront_size: 32
    .workgroup_processor_mode: 1
  - .args:
      - .offset:         0
        .size:           4
        .value_kind:     by_value
      - .address_space:  global
        .offset:         8
        .size:           8
        .value_kind:     global_buffer
      - .offset:         16
        .size:           8
        .value_kind:     by_value
      - .address_space:  global
        .offset:         24
        .size:           8
        .value_kind:     global_buffer
      - .offset:         32
        .size:           8
        .value_kind:     by_value
      - .offset:         40
        .size:           4
        .value_kind:     by_value
      - .offset:         48
        .size:           8
        .value_kind:     by_value
      - .address_space:  global
        .offset:         56
        .size:           8
        .value_kind:     global_buffer
      - .offset:         64
        .size:           8
        .value_kind:     by_value
      - .offset:         72
        .size:           4
        .value_kind:     by_value
      - .offset:         80
        .size:           8
        .value_kind:     by_value
      - .address_space:  global
        .offset:         88
        .size:           8
        .value_kind:     global_buffer
      - .offset:         96
        .size:           8
        .value_kind:     by_value
      - .address_space:  global
        .offset:         104
        .size:           8
        .value_kind:     global_buffer
      - .offset:         112
        .size:           4
        .value_kind:     by_value
      - .offset:         120
        .size:           4
        .value_kind:     hidden_block_count_x
      - .offset:         124
        .size:           4
        .value_kind:     hidden_block_count_y
      - .offset:         128
        .size:           4
        .value_kind:     hidden_block_count_z
      - .offset:         132
        .size:           2
        .value_kind:     hidden_group_size_x
      - .offset:         134
        .size:           2
        .value_kind:     hidden_group_size_y
      - .offset:         136
        .size:           2
        .value_kind:     hidden_group_size_z
      - .offset:         138
        .size:           2
        .value_kind:     hidden_remainder_x
      - .offset:         140
        .size:           2
        .value_kind:     hidden_remainder_y
      - .offset:         142
        .size:           2
        .value_kind:     hidden_remainder_z
      - .offset:         160
        .size:           8
        .value_kind:     hidden_global_offset_x
      - .offset:         168
        .size:           8
        .value_kind:     hidden_global_offset_y
      - .offset:         176
        .size:           8
        .value_kind:     hidden_global_offset_z
      - .offset:         184
        .size:           2
        .value_kind:     hidden_grid_dims
    .group_segment_fixed_size: 9600
    .kernarg_segment_align: 8
    .kernarg_segment_size: 376
    .language:       OpenCL C
    .language_version:
      - 2
      - 0
    .max_flat_workgroup_size: 256
    .name:           _ZL26rocblas_hemvn_kernel_lowerILb0ELi64ELi4ELi33ELi32ELi16EiPKdS1_PdEviT6_lT7_lT5_lS4_lS5_lS3_lT8_i
    .private_segment_fixed_size: 0
    .sgpr_count:     48
    .sgpr_spill_count: 0
    .symbol:         _ZL26rocblas_hemvn_kernel_lowerILb0ELi64ELi4ELi33ELi32ELi16EiPKdS1_PdEviT6_lT7_lT5_lS4_lS5_lS3_lT8_i.kd
    .uniform_work_group_size: 1
    .uses_dynamic_stack: false
    .vgpr_count:     115
    .vgpr_spill_count: 0
    .wavefront_size: 32
    .workgroup_processor_mode: 1
  - .args:
      - .offset:         0
        .size:           4
        .value_kind:     by_value
      - .address_space:  global
        .offset:         8
        .size:           8
        .value_kind:     global_buffer
      - .offset:         16
        .size:           8
        .value_kind:     by_value
      - .address_space:  global
        .offset:         24
        .size:           8
        .value_kind:     global_buffer
      - .offset:         32
        .size:           8
        .value_kind:     by_value
      - .address_space:  global
        .offset:         40
        .size:           8
        .value_kind:     global_buffer
      - .offset:         48
        .size:           8
        .value_kind:     by_value
      - .offset:         56
        .size:           4
        .value_kind:     by_value
      - .offset:         64
        .size:           8
        .value_kind:     by_value
      - .actual_access:  read_only
        .address_space:  global
        .offset:         72
        .size:           8
        .value_kind:     global_buffer
      - .offset:         80
        .size:           4
        .value_kind:     by_value
      - .offset:         88
        .size:           4
        .value_kind:     hidden_block_count_x
      - .offset:         92
        .size:           4
        .value_kind:     hidden_block_count_y
      - .offset:         96
        .size:           4
        .value_kind:     hidden_block_count_z
      - .offset:         100
        .size:           2
        .value_kind:     hidden_group_size_x
      - .offset:         102
        .size:           2
        .value_kind:     hidden_group_size_y
      - .offset:         104
        .size:           2
        .value_kind:     hidden_group_size_z
      - .offset:         106
        .size:           2
        .value_kind:     hidden_remainder_x
      - .offset:         108
        .size:           2
        .value_kind:     hidden_remainder_y
      - .offset:         110
        .size:           2
        .value_kind:     hidden_remainder_z
      - .offset:         128
        .size:           8
        .value_kind:     hidden_global_offset_x
      - .offset:         136
        .size:           8
        .value_kind:     hidden_global_offset_y
      - .offset:         144
        .size:           8
        .value_kind:     hidden_global_offset_z
      - .offset:         152
        .size:           2
        .value_kind:     hidden_grid_dims
    .group_segment_fixed_size: 0
    .kernarg_segment_align: 8
    .kernarg_segment_size: 344
    .language:       OpenCL C
    .language_version:
      - 2
      - 0
    .max_flat_workgroup_size: 64
    .name:           _ZL36rocblas_hemvn_kernel_lower_block_sumILi64EiPKdPddEviT1_lS3_lT2_lT0_lPT3_i
    .private_segment_fixed_size: 0
    .sgpr_count:     22
    .sgpr_spill_count: 0
    .symbol:         _ZL36rocblas_hemvn_kernel_lower_block_sumILi64EiPKdPddEviT1_lS3_lT2_lT0_lPT3_i.kd
    .uniform_work_group_size: 1
    .uses_dynamic_stack: false
    .vgpr_count:     7
    .vgpr_spill_count: 0
    .wavefront_size: 32
    .workgroup_processor_mode: 1
  - .args:
      - .offset:         0
        .size:           4
        .value_kind:     by_value
      - .offset:         8
        .size:           8
        .value_kind:     by_value
      - .offset:         16
        .size:           8
        .value_kind:     by_value
      - .address_space:  global
        .offset:         24
        .size:           8
        .value_kind:     global_buffer
      - .offset:         32
        .size:           8
        .value_kind:     by_value
      - .offset:         40
        .size:           8
        .value_kind:     by_value
      - .offset:         48
        .size:           8
        .value_kind:     by_value
      - .address_space:  global
        .offset:         56
        .size:           8
        .value_kind:     global_buffer
      - .offset:         64
        .size:           8
        .value_kind:     by_value
      - .offset:         72
        .size:           8
        .value_kind:     by_value
      - .offset:         80
        .size:           8
        .value_kind:     by_value
      - .offset:         88
        .size:           8
        .value_kind:     by_value
      - .offset:         96
        .size:           8
        .value_kind:     by_value
      - .address_space:  global
        .offset:         104
        .size:           8
        .value_kind:     global_buffer
      - .offset:         112
        .size:           4
        .value_kind:     by_value
      - .offset:         120
        .size:           4
        .value_kind:     hidden_block_count_x
      - .offset:         124
        .size:           4
        .value_kind:     hidden_block_count_y
      - .offset:         128
        .size:           4
        .value_kind:     hidden_block_count_z
      - .offset:         132
        .size:           2
        .value_kind:     hidden_group_size_x
      - .offset:         134
        .size:           2
        .value_kind:     hidden_group_size_y
      - .offset:         136
        .size:           2
        .value_kind:     hidden_group_size_z
      - .offset:         138
        .size:           2
        .value_kind:     hidden_remainder_x
      - .offset:         140
        .size:           2
        .value_kind:     hidden_remainder_y
      - .offset:         142
        .size:           2
        .value_kind:     hidden_remainder_z
      - .offset:         160
        .size:           8
        .value_kind:     hidden_global_offset_x
      - .offset:         168
        .size:           8
        .value_kind:     hidden_global_offset_y
      - .offset:         176
        .size:           8
        .value_kind:     hidden_global_offset_z
      - .offset:         184
        .size:           2
        .value_kind:     hidden_grid_dims
    .group_segment_fixed_size: 9600
    .kernarg_segment_align: 8
    .kernarg_segment_size: 376
    .language:       OpenCL C
    .language_version:
      - 2
      - 0
    .max_flat_workgroup_size: 256
    .name:           _ZL26rocblas_hemvn_kernel_lowerILb0ELi64ELi4ELi33ELi32ELi16EldPKdPdEviT6_lT7_lT5_lS4_lS5_lS3_lT8_i
    .private_segment_fixed_size: 0
    .sgpr_count:     48
    .sgpr_spill_count: 0
    .symbol:         _ZL26rocblas_hemvn_kernel_lowerILb0ELi64ELi4ELi33ELi32ELi16EldPKdPdEviT6_lT7_lT5_lS4_lS5_lS3_lT8_i.kd
    .uniform_work_group_size: 1
    .uses_dynamic_stack: false
    .vgpr_count:     117
    .vgpr_spill_count: 0
    .wavefront_size: 32
    .workgroup_processor_mode: 1
  - .args:
      - .offset:         0
        .size:           4
        .value_kind:     by_value
      - .offset:         8
        .size:           8
        .value_kind:     by_value
      - .offset:         16
        .size:           8
        .value_kind:     by_value
      - .offset:         24
        .size:           8
        .value_kind:     by_value
      - .offset:         32
        .size:           8
        .value_kind:     by_value
      - .address_space:  global
        .offset:         40
        .size:           8
        .value_kind:     global_buffer
      - .offset:         48
        .size:           8
        .value_kind:     by_value
      - .offset:         56
        .size:           8
        .value_kind:     by_value
      - .offset:         64
        .size:           8
        .value_kind:     by_value
      - .actual_access:  read_only
        .address_space:  global
        .offset:         72
        .size:           8
        .value_kind:     global_buffer
      - .offset:         80
        .size:           4
        .value_kind:     by_value
      - .offset:         88
        .size:           4
        .value_kind:     hidden_block_count_x
      - .offset:         92
        .size:           4
        .value_kind:     hidden_block_count_y
      - .offset:         96
        .size:           4
        .value_kind:     hidden_block_count_z
      - .offset:         100
        .size:           2
        .value_kind:     hidden_group_size_x
      - .offset:         102
        .size:           2
        .value_kind:     hidden_group_size_y
      - .offset:         104
        .size:           2
        .value_kind:     hidden_group_size_z
      - .offset:         106
        .size:           2
        .value_kind:     hidden_remainder_x
      - .offset:         108
        .size:           2
        .value_kind:     hidden_remainder_y
      - .offset:         110
        .size:           2
        .value_kind:     hidden_remainder_z
      - .offset:         128
        .size:           8
        .value_kind:     hidden_global_offset_x
      - .offset:         136
        .size:           8
        .value_kind:     hidden_global_offset_y
      - .offset:         144
        .size:           8
        .value_kind:     hidden_global_offset_z
      - .offset:         152
        .size:           2
        .value_kind:     hidden_grid_dims
    .group_segment_fixed_size: 0
    .kernarg_segment_align: 8
    .kernarg_segment_size: 344
    .language:       OpenCL C
    .language_version:
      - 2
      - 0
    .max_flat_workgroup_size: 64
    .name:           _ZL36rocblas_hemvn_kernel_lower_block_sumILi64EldPddEviT1_lS1_lT2_lT0_lPT3_i
    .private_segment_fixed_size: 0
    .sgpr_count:     22
    .sgpr_spill_count: 0
    .symbol:         _ZL36rocblas_hemvn_kernel_lower_block_sumILi64EldPddEviT1_lS1_lT2_lT0_lPT3_i.kd
    .uniform_work_group_size: 1
    .uses_dynamic_stack: false
    .vgpr_count:     9
    .vgpr_spill_count: 0
    .wavefront_size: 32
    .workgroup_processor_mode: 1
  - .args:
      - .offset:         0
        .size:           4
        .value_kind:     by_value
      - .offset:         8
        .size:           8
        .value_kind:     by_value
      - .offset:         16
        .size:           8
        .value_kind:     by_value
      - .address_space:  global
        .offset:         24
        .size:           8
        .value_kind:     global_buffer
      - .offset:         32
        .size:           8
        .value_kind:     by_value
      - .offset:         40
        .size:           4
        .value_kind:     by_value
      - .offset:         48
        .size:           8
        .value_kind:     by_value
      - .address_space:  global
        .offset:         56
        .size:           8
        .value_kind:     global_buffer
      - .offset:         64
        .size:           8
        .value_kind:     by_value
      - .offset:         72
        .size:           4
        .value_kind:     by_value
      - .offset:         80
        .size:           8
        .value_kind:     by_value
      - .offset:         88
        .size:           8
        .value_kind:     by_value
      - .offset:         96
        .size:           8
        .value_kind:     by_value
      - .address_space:  global
        .offset:         104
        .size:           8
        .value_kind:     global_buffer
      - .offset:         112
        .size:           4
        .value_kind:     by_value
      - .offset:         120
        .size:           4
        .value_kind:     hidden_block_count_x
      - .offset:         124
        .size:           4
        .value_kind:     hidden_block_count_y
      - .offset:         128
        .size:           4
        .value_kind:     hidden_block_count_z
      - .offset:         132
        .size:           2
        .value_kind:     hidden_group_size_x
      - .offset:         134
        .size:           2
        .value_kind:     hidden_group_size_y
      - .offset:         136
        .size:           2
        .value_kind:     hidden_group_size_z
      - .offset:         138
        .size:           2
        .value_kind:     hidden_remainder_x
      - .offset:         140
        .size:           2
        .value_kind:     hidden_remainder_y
      - .offset:         142
        .size:           2
        .value_kind:     hidden_remainder_z
      - .offset:         160
        .size:           8
        .value_kind:     hidden_global_offset_x
      - .offset:         168
        .size:           8
        .value_kind:     hidden_global_offset_y
      - .offset:         176
        .size:           8
        .value_kind:     hidden_global_offset_z
      - .offset:         184
        .size:           2
        .value_kind:     hidden_grid_dims
    .group_segment_fixed_size: 9600
    .kernarg_segment_align: 8
    .kernarg_segment_size: 376
    .language:       OpenCL C
    .language_version:
      - 2
      - 0
    .max_flat_workgroup_size: 256
    .name:           _ZL26rocblas_hemvn_kernel_lowerILb0ELi64ELi4ELi33ELi32ELi16EidPKdPdEviT6_lT7_lT5_lS4_lS5_lS3_lT8_i
    .private_segment_fixed_size: 0
    .sgpr_count:     48
    .sgpr_spill_count: 0
    .symbol:         _ZL26rocblas_hemvn_kernel_lowerILb0ELi64ELi4ELi33ELi32ELi16EidPKdPdEviT6_lT7_lT5_lS4_lS5_lS3_lT8_i.kd
    .uniform_work_group_size: 1
    .uses_dynamic_stack: false
    .vgpr_count:     115
    .vgpr_spill_count: 0
    .wavefront_size: 32
    .workgroup_processor_mode: 1
  - .args:
      - .offset:         0
        .size:           4
        .value_kind:     by_value
      - .offset:         8
        .size:           8
        .value_kind:     by_value
      - .offset:         16
        .size:           8
        .value_kind:     by_value
      - .offset:         24
        .size:           8
        .value_kind:     by_value
      - .offset:         32
        .size:           8
        .value_kind:     by_value
      - .address_space:  global
        .offset:         40
        .size:           8
        .value_kind:     global_buffer
      - .offset:         48
        .size:           8
        .value_kind:     by_value
      - .offset:         56
        .size:           4
        .value_kind:     by_value
      - .offset:         64
        .size:           8
        .value_kind:     by_value
      - .actual_access:  read_only
        .address_space:  global
        .offset:         72
        .size:           8
        .value_kind:     global_buffer
      - .offset:         80
        .size:           4
        .value_kind:     by_value
      - .offset:         88
        .size:           4
        .value_kind:     hidden_block_count_x
      - .offset:         92
        .size:           4
        .value_kind:     hidden_block_count_y
      - .offset:         96
        .size:           4
        .value_kind:     hidden_block_count_z
      - .offset:         100
        .size:           2
        .value_kind:     hidden_group_size_x
      - .offset:         102
        .size:           2
        .value_kind:     hidden_group_size_y
      - .offset:         104
        .size:           2
        .value_kind:     hidden_group_size_z
      - .offset:         106
        .size:           2
        .value_kind:     hidden_remainder_x
      - .offset:         108
        .size:           2
        .value_kind:     hidden_remainder_y
      - .offset:         110
        .size:           2
        .value_kind:     hidden_remainder_z
      - .offset:         128
        .size:           8
        .value_kind:     hidden_global_offset_x
      - .offset:         136
        .size:           8
        .value_kind:     hidden_global_offset_y
      - .offset:         144
        .size:           8
        .value_kind:     hidden_global_offset_z
      - .offset:         152
        .size:           2
        .value_kind:     hidden_grid_dims
    .group_segment_fixed_size: 0
    .kernarg_segment_align: 8
    .kernarg_segment_size: 344
    .language:       OpenCL C
    .language_version:
      - 2
      - 0
    .max_flat_workgroup_size: 64
    .name:           _ZL36rocblas_hemvn_kernel_lower_block_sumILi64EidPddEviT1_lS1_lT2_lT0_lPT3_i
    .private_segment_fixed_size: 0
    .sgpr_count:     22
    .sgpr_spill_count: 0
    .symbol:         _ZL36rocblas_hemvn_kernel_lower_block_sumILi64EidPddEviT1_lS1_lT2_lT0_lPT3_i.kd
    .uniform_work_group_size: 1
    .uses_dynamic_stack: false
    .vgpr_count:     7
    .vgpr_spill_count: 0
    .wavefront_size: 32
    .workgroup_processor_mode: 1
  - .args:
      - .offset:         0
        .size:           4
        .value_kind:     by_value
      - .address_space:  global
        .offset:         8
        .size:           8
        .value_kind:     global_buffer
      - .offset:         16
        .size:           8
        .value_kind:     by_value
      - .address_space:  global
        .offset:         24
        .size:           8
        .value_kind:     global_buffer
      - .offset:         32
        .size:           8
        .value_kind:     by_value
      - .offset:         40
        .size:           8
        .value_kind:     by_value
      - .offset:         48
        .size:           8
        .value_kind:     by_value
      - .address_space:  global
        .offset:         56
        .size:           8
        .value_kind:     global_buffer
      - .offset:         64
        .size:           8
        .value_kind:     by_value
      - .offset:         72
        .size:           8
        .value_kind:     by_value
      - .offset:         80
        .size:           8
        .value_kind:     by_value
      - .address_space:  global
        .offset:         88
        .size:           8
        .value_kind:     global_buffer
      - .offset:         96
        .size:           8
        .value_kind:     by_value
      - .address_space:  global
        .offset:         104
        .size:           8
        .value_kind:     global_buffer
      - .offset:         112
        .size:           4
        .value_kind:     by_value
      - .offset:         120
        .size:           4
        .value_kind:     hidden_block_count_x
      - .offset:         124
        .size:           4
        .value_kind:     hidden_block_count_y
      - .offset:         128
        .size:           4
        .value_kind:     hidden_block_count_z
      - .offset:         132
        .size:           2
        .value_kind:     hidden_group_size_x
      - .offset:         134
        .size:           2
        .value_kind:     hidden_group_size_y
      - .offset:         136
        .size:           2
        .value_kind:     hidden_group_size_z
      - .offset:         138
        .size:           2
        .value_kind:     hidden_remainder_x
      - .offset:         140
        .size:           2
        .value_kind:     hidden_remainder_y
      - .offset:         142
        .size:           2
        .value_kind:     hidden_remainder_z
      - .offset:         160
        .size:           8
        .value_kind:     hidden_global_offset_x
      - .offset:         168
        .size:           8
        .value_kind:     hidden_global_offset_y
      - .offset:         176
        .size:           8
        .value_kind:     hidden_global_offset_z
      - .offset:         184
        .size:           2
        .value_kind:     hidden_grid_dims
    .group_segment_fixed_size: 9600
    .kernarg_segment_align: 8
    .kernarg_segment_size: 376
    .language:       OpenCL C
    .language_version:
      - 2
      - 0
    .max_flat_workgroup_size: 256
    .name:           _ZL26rocblas_hemvn_kernel_upperILb0ELi64ELi4ELi33ELi32ELi16ElPK19rocblas_complex_numIfES3_PS1_EviT6_lT7_lT5_lS6_lS7_lS5_lT8_i
    .private_segment_fixed_size: 0
    .sgpr_count:     38
    .sgpr_spill_count: 0
    .symbol:         _ZL26rocblas_hemvn_kernel_upperILb0ELi64ELi4ELi33ELi32ELi16ElPK19rocblas_complex_numIfES3_PS1_EviT6_lT7_lT5_lS6_lS7_lS5_lT8_i.kd
    .uniform_work_group_size: 1
    .uses_dynamic_stack: false
    .vgpr_count:     160
    .vgpr_spill_count: 0
    .wavefront_size: 32
    .workgroup_processor_mode: 1
  - .args:
      - .offset:         0
        .size:           4
        .value_kind:     by_value
      - .address_space:  global
        .offset:         8
        .size:           8
        .value_kind:     global_buffer
      - .offset:         16
        .size:           8
        .value_kind:     by_value
      - .address_space:  global
        .offset:         24
        .size:           8
        .value_kind:     global_buffer
      - .offset:         32
        .size:           8
        .value_kind:     by_value
      - .offset:         40
        .size:           4
        .value_kind:     by_value
      - .offset:         48
        .size:           8
        .value_kind:     by_value
      - .address_space:  global
        .offset:         56
        .size:           8
        .value_kind:     global_buffer
      - .offset:         64
        .size:           8
        .value_kind:     by_value
      - .offset:         72
        .size:           4
        .value_kind:     by_value
      - .offset:         80
        .size:           8
        .value_kind:     by_value
      - .address_space:  global
        .offset:         88
        .size:           8
        .value_kind:     global_buffer
      - .offset:         96
        .size:           8
        .value_kind:     by_value
      - .address_space:  global
        .offset:         104
        .size:           8
        .value_kind:     global_buffer
      - .offset:         112
        .size:           4
        .value_kind:     by_value
      - .offset:         120
        .size:           4
        .value_kind:     hidden_block_count_x
      - .offset:         124
        .size:           4
        .value_kind:     hidden_block_count_y
      - .offset:         128
        .size:           4
        .value_kind:     hidden_block_count_z
      - .offset:         132
        .size:           2
        .value_kind:     hidden_group_size_x
      - .offset:         134
        .size:           2
        .value_kind:     hidden_group_size_y
      - .offset:         136
        .size:           2
        .value_kind:     hidden_group_size_z
      - .offset:         138
        .size:           2
        .value_kind:     hidden_remainder_x
      - .offset:         140
        .size:           2
        .value_kind:     hidden_remainder_y
      - .offset:         142
        .size:           2
        .value_kind:     hidden_remainder_z
      - .offset:         160
        .size:           8
        .value_kind:     hidden_global_offset_x
      - .offset:         168
        .size:           8
        .value_kind:     hidden_global_offset_y
      - .offset:         176
        .size:           8
        .value_kind:     hidden_global_offset_z
      - .offset:         184
        .size:           2
        .value_kind:     hidden_grid_dims
    .group_segment_fixed_size: 9600
    .kernarg_segment_align: 8
    .kernarg_segment_size: 376
    .language:       OpenCL C
    .language_version:
      - 2
      - 0
    .max_flat_workgroup_size: 256
    .name:           _ZL26rocblas_hemvn_kernel_upperILb0ELi64ELi4ELi33ELi32ELi16EiPK19rocblas_complex_numIfES3_PS1_EviT6_lT7_lT5_lS6_lS7_lS5_lT8_i
    .private_segment_fixed_size: 0
    .sgpr_count:     40
    .sgpr_spill_count: 0
    .symbol:         _ZL26rocblas_hemvn_kernel_upperILb0ELi64ELi4ELi33ELi32ELi16EiPK19rocblas_complex_numIfES3_PS1_EviT6_lT7_lT5_lS6_lS7_lS5_lT8_i.kd
    .uniform_work_group_size: 1
    .uses_dynamic_stack: false
    .vgpr_count:     161
    .vgpr_spill_count: 0
    .wavefront_size: 32
    .workgroup_processor_mode: 1
  - .args:
      - .offset:         0
        .size:           4
        .value_kind:     by_value
      - .offset:         4
        .size:           8
        .value_kind:     by_value
      - .offset:         16
        .size:           8
        .value_kind:     by_value
      - .address_space:  global
        .offset:         24
        .size:           8
        .value_kind:     global_buffer
      - .offset:         32
        .size:           8
        .value_kind:     by_value
      - .offset:         40
        .size:           8
        .value_kind:     by_value
      - .offset:         48
        .size:           8
        .value_kind:     by_value
      - .address_space:  global
        .offset:         56
        .size:           8
        .value_kind:     global_buffer
      - .offset:         64
        .size:           8
        .value_kind:     by_value
      - .offset:         72
        .size:           8
        .value_kind:     by_value
      - .offset:         80
        .size:           8
        .value_kind:     by_value
      - .offset:         88
        .size:           8
        .value_kind:     by_value
      - .offset:         96
        .size:           8
        .value_kind:     by_value
      - .address_space:  global
        .offset:         104
        .size:           8
        .value_kind:     global_buffer
      - .offset:         112
        .size:           4
        .value_kind:     by_value
      - .offset:         120
        .size:           4
        .value_kind:     hidden_block_count_x
      - .offset:         124
        .size:           4
        .value_kind:     hidden_block_count_y
      - .offset:         128
        .size:           4
        .value_kind:     hidden_block_count_z
      - .offset:         132
        .size:           2
        .value_kind:     hidden_group_size_x
      - .offset:         134
        .size:           2
        .value_kind:     hidden_group_size_y
      - .offset:         136
        .size:           2
        .value_kind:     hidden_group_size_z
      - .offset:         138
        .size:           2
        .value_kind:     hidden_remainder_x
      - .offset:         140
        .size:           2
        .value_kind:     hidden_remainder_y
      - .offset:         142
        .size:           2
        .value_kind:     hidden_remainder_z
      - .offset:         160
        .size:           8
        .value_kind:     hidden_global_offset_x
      - .offset:         168
        .size:           8
        .value_kind:     hidden_global_offset_y
      - .offset:         176
        .size:           8
        .value_kind:     hidden_global_offset_z
      - .offset:         184
        .size:           2
        .value_kind:     hidden_grid_dims
    .group_segment_fixed_size: 9600
    .kernarg_segment_align: 8
    .kernarg_segment_size: 376
    .language:       OpenCL C
    .language_version:
      - 2
      - 0
    .max_flat_workgroup_size: 256
    .name:           _ZL26rocblas_hemvn_kernel_upperILb0ELi64ELi4ELi33ELi32ELi16El19rocblas_complex_numIfEPKS1_PS1_EviT6_lT7_lT5_lS6_lS7_lS5_lT8_i
    .private_segment_fixed_size: 0
    .sgpr_count:     32
    .sgpr_spill_count: 0
    .symbol:         _ZL26rocblas_hemvn_kernel_upperILb0ELi64ELi4ELi33ELi32ELi16El19rocblas_complex_numIfEPKS1_PS1_EviT6_lT7_lT5_lS6_lS7_lS5_lT8_i.kd
    .uniform_work_group_size: 1
    .uses_dynamic_stack: false
    .vgpr_count:     160
    .vgpr_spill_count: 0
    .wavefront_size: 32
    .workgroup_processor_mode: 1
  - .args:
      - .offset:         0
        .size:           4
        .value_kind:     by_value
      - .offset:         4
        .size:           8
        .value_kind:     by_value
      - .offset:         16
        .size:           8
        .value_kind:     by_value
      - .address_space:  global
        .offset:         24
        .size:           8
        .value_kind:     global_buffer
      - .offset:         32
        .size:           8
        .value_kind:     by_value
      - .offset:         40
        .size:           4
        .value_kind:     by_value
      - .offset:         48
        .size:           8
        .value_kind:     by_value
      - .address_space:  global
        .offset:         56
        .size:           8
        .value_kind:     global_buffer
      - .offset:         64
        .size:           8
        .value_kind:     by_value
      - .offset:         72
        .size:           4
        .value_kind:     by_value
      - .offset:         80
        .size:           8
        .value_kind:     by_value
      - .offset:         88
        .size:           8
        .value_kind:     by_value
      - .offset:         96
        .size:           8
        .value_kind:     by_value
      - .address_space:  global
        .offset:         104
        .size:           8
        .value_kind:     global_buffer
      - .offset:         112
        .size:           4
        .value_kind:     by_value
      - .offset:         120
        .size:           4
        .value_kind:     hidden_block_count_x
      - .offset:         124
        .size:           4
        .value_kind:     hidden_block_count_y
      - .offset:         128
        .size:           4
        .value_kind:     hidden_block_count_z
      - .offset:         132
        .size:           2
        .value_kind:     hidden_group_size_x
      - .offset:         134
        .size:           2
        .value_kind:     hidden_group_size_y
      - .offset:         136
        .size:           2
        .value_kind:     hidden_group_size_z
      - .offset:         138
        .size:           2
        .value_kind:     hidden_remainder_x
      - .offset:         140
        .size:           2
        .value_kind:     hidden_remainder_y
      - .offset:         142
        .size:           2
        .value_kind:     hidden_remainder_z
      - .offset:         160
        .size:           8
        .value_kind:     hidden_global_offset_x
      - .offset:         168
        .size:           8
        .value_kind:     hidden_global_offset_y
      - .offset:         176
        .size:           8
        .value_kind:     hidden_global_offset_z
      - .offset:         184
        .size:           2
        .value_kind:     hidden_grid_dims
    .group_segment_fixed_size: 9600
    .kernarg_segment_align: 8
    .kernarg_segment_size: 376
    .language:       OpenCL C
    .language_version:
      - 2
      - 0
    .max_flat_workgroup_size: 256
    .name:           _ZL26rocblas_hemvn_kernel_upperILb0ELi64ELi4ELi33ELi32ELi16Ei19rocblas_complex_numIfEPKS1_PS1_EviT6_lT7_lT5_lS6_lS7_lS5_lT8_i
    .private_segment_fixed_size: 0
    .sgpr_count:     40
    .sgpr_spill_count: 0
    .symbol:         _ZL26rocblas_hemvn_kernel_upperILb0ELi64ELi4ELi33ELi32ELi16Ei19rocblas_complex_numIfEPKS1_PS1_EviT6_lT7_lT5_lS6_lS7_lS5_lT8_i.kd
    .uniform_work_group_size: 1
    .uses_dynamic_stack: false
    .vgpr_count:     161
    .vgpr_spill_count: 0
    .wavefront_size: 32
    .workgroup_processor_mode: 1
  - .args:
      - .offset:         0
        .size:           4
        .value_kind:     by_value
      - .address_space:  global
        .offset:         8
        .size:           8
        .value_kind:     global_buffer
      - .offset:         16
        .size:           8
        .value_kind:     by_value
      - .address_space:  global
        .offset:         24
        .size:           8
        .value_kind:     global_buffer
      - .offset:         32
        .size:           8
        .value_kind:     by_value
      - .offset:         40
        .size:           8
        .value_kind:     by_value
      - .offset:         48
        .size:           8
        .value_kind:     by_value
      - .address_space:  global
        .offset:         56
        .size:           8
        .value_kind:     global_buffer
      - .offset:         64
        .size:           8
        .value_kind:     by_value
      - .offset:         72
        .size:           8
        .value_kind:     by_value
      - .offset:         80
        .size:           8
        .value_kind:     by_value
      - .address_space:  global
        .offset:         88
        .size:           8
        .value_kind:     global_buffer
      - .offset:         96
        .size:           8
        .value_kind:     by_value
      - .address_space:  global
        .offset:         104
        .size:           8
        .value_kind:     global_buffer
      - .offset:         112
        .size:           4
        .value_kind:     by_value
      - .offset:         120
        .size:           4
        .value_kind:     hidden_block_count_x
      - .offset:         124
        .size:           4
        .value_kind:     hidden_block_count_y
      - .offset:         128
        .size:           4
        .value_kind:     hidden_block_count_z
      - .offset:         132
        .size:           2
        .value_kind:     hidden_group_size_x
      - .offset:         134
        .size:           2
        .value_kind:     hidden_group_size_y
      - .offset:         136
        .size:           2
        .value_kind:     hidden_group_size_z
      - .offset:         138
        .size:           2
        .value_kind:     hidden_remainder_x
      - .offset:         140
        .size:           2
        .value_kind:     hidden_remainder_y
      - .offset:         142
        .size:           2
        .value_kind:     hidden_remainder_z
      - .offset:         160
        .size:           8
        .value_kind:     hidden_global_offset_x
      - .offset:         168
        .size:           8
        .value_kind:     hidden_global_offset_y
      - .offset:         176
        .size:           8
        .value_kind:     hidden_global_offset_z
      - .offset:         184
        .size:           2
        .value_kind:     hidden_grid_dims
    .group_segment_fixed_size: 9600
    .kernarg_segment_align: 8
    .kernarg_segment_size: 376
    .language:       OpenCL C
    .language_version:
      - 2
      - 0
    .max_flat_workgroup_size: 256
    .name:           _ZL26rocblas_hemvn_kernel_lowerILb0ELi64ELi4ELi33ELi32ELi16ElPK19rocblas_complex_numIfES3_PS1_EviT6_lT7_lT5_lS6_lS7_lS5_lT8_i
    .private_segment_fixed_size: 0
    .sgpr_count:     48
    .sgpr_spill_count: 0
    .symbol:         _ZL26rocblas_hemvn_kernel_lowerILb0ELi64ELi4ELi33ELi32ELi16ElPK19rocblas_complex_numIfES3_PS1_EviT6_lT7_lT5_lS6_lS7_lS5_lT8_i.kd
    .uniform_work_group_size: 1
    .uses_dynamic_stack: false
    .vgpr_count:     117
    .vgpr_spill_count: 0
    .wavefront_size: 32
    .workgroup_processor_mode: 1
  - .args:
      - .offset:         0
        .size:           4
        .value_kind:     by_value
      - .address_space:  global
        .offset:         8
        .size:           8
        .value_kind:     global_buffer
      - .offset:         16
        .size:           8
        .value_kind:     by_value
      - .address_space:  global
        .offset:         24
        .size:           8
        .value_kind:     global_buffer
      - .offset:         32
        .size:           8
        .value_kind:     by_value
      - .offset:         40
        .size:           4
        .value_kind:     by_value
      - .offset:         48
        .size:           8
        .value_kind:     by_value
      - .address_space:  global
        .offset:         56
        .size:           8
        .value_kind:     global_buffer
      - .offset:         64
        .size:           8
        .value_kind:     by_value
      - .offset:         72
        .size:           4
        .value_kind:     by_value
      - .offset:         80
        .size:           8
        .value_kind:     by_value
      - .address_space:  global
        .offset:         88
        .size:           8
        .value_kind:     global_buffer
      - .offset:         96
        .size:           8
        .value_kind:     by_value
      - .address_space:  global
        .offset:         104
        .size:           8
        .value_kind:     global_buffer
      - .offset:         112
        .size:           4
        .value_kind:     by_value
      - .offset:         120
        .size:           4
        .value_kind:     hidden_block_count_x
      - .offset:         124
        .size:           4
        .value_kind:     hidden_block_count_y
      - .offset:         128
        .size:           4
        .value_kind:     hidden_block_count_z
      - .offset:         132
        .size:           2
        .value_kind:     hidden_group_size_x
      - .offset:         134
        .size:           2
        .value_kind:     hidden_group_size_y
      - .offset:         136
        .size:           2
        .value_kind:     hidden_group_size_z
      - .offset:         138
        .size:           2
        .value_kind:     hidden_remainder_x
      - .offset:         140
        .size:           2
        .value_kind:     hidden_remainder_y
      - .offset:         142
        .size:           2
        .value_kind:     hidden_remainder_z
      - .offset:         160
        .size:           8
        .value_kind:     hidden_global_offset_x
      - .offset:         168
        .size:           8
        .value_kind:     hidden_global_offset_y
      - .offset:         176
        .size:           8
        .value_kind:     hidden_global_offset_z
      - .offset:         184
        .size:           2
        .value_kind:     hidden_grid_dims
    .group_segment_fixed_size: 9600
    .kernarg_segment_align: 8
    .kernarg_segment_size: 376
    .language:       OpenCL C
    .language_version:
      - 2
      - 0
    .max_flat_workgroup_size: 256
    .name:           _ZL26rocblas_hemvn_kernel_lowerILb0ELi64ELi4ELi33ELi32ELi16EiPK19rocblas_complex_numIfES3_PS1_EviT6_lT7_lT5_lS6_lS7_lS5_lT8_i
    .private_segment_fixed_size: 0
    .sgpr_count:     48
    .sgpr_spill_count: 0
    .symbol:         _ZL26rocblas_hemvn_kernel_lowerILb0ELi64ELi4ELi33ELi32ELi16EiPK19rocblas_complex_numIfES3_PS1_EviT6_lT7_lT5_lS6_lS7_lS5_lT8_i.kd
    .uniform_work_group_size: 1
    .uses_dynamic_stack: false
    .vgpr_count:     115
    .vgpr_spill_count: 0
    .wavefront_size: 32
    .workgroup_processor_mode: 1
  - .args:
      - .offset:         0
        .size:           4
        .value_kind:     by_value
      - .offset:         4
        .size:           8
        .value_kind:     by_value
      - .offset:         16
        .size:           8
        .value_kind:     by_value
      - .address_space:  global
        .offset:         24
        .size:           8
        .value_kind:     global_buffer
      - .offset:         32
        .size:           8
        .value_kind:     by_value
      - .offset:         40
        .size:           8
        .value_kind:     by_value
      - .offset:         48
        .size:           8
        .value_kind:     by_value
      - .address_space:  global
        .offset:         56
        .size:           8
        .value_kind:     global_buffer
      - .offset:         64
        .size:           8
        .value_kind:     by_value
      - .offset:         72
        .size:           8
        .value_kind:     by_value
      - .offset:         80
        .size:           8
        .value_kind:     by_value
      - .offset:         88
        .size:           8
        .value_kind:     by_value
      - .offset:         96
        .size:           8
        .value_kind:     by_value
      - .address_space:  global
        .offset:         104
        .size:           8
        .value_kind:     global_buffer
      - .offset:         112
        .size:           4
        .value_kind:     by_value
      - .offset:         120
        .size:           4
        .value_kind:     hidden_block_count_x
      - .offset:         124
        .size:           4
        .value_kind:     hidden_block_count_y
      - .offset:         128
        .size:           4
        .value_kind:     hidden_block_count_z
      - .offset:         132
        .size:           2
        .value_kind:     hidden_group_size_x
      - .offset:         134
        .size:           2
        .value_kind:     hidden_group_size_y
      - .offset:         136
        .size:           2
        .value_kind:     hidden_group_size_z
      - .offset:         138
        .size:           2
        .value_kind:     hidden_remainder_x
      - .offset:         140
        .size:           2
        .value_kind:     hidden_remainder_y
      - .offset:         142
        .size:           2
        .value_kind:     hidden_remainder_z
      - .offset:         160
        .size:           8
        .value_kind:     hidden_global_offset_x
      - .offset:         168
        .size:           8
        .value_kind:     hidden_global_offset_y
      - .offset:         176
        .size:           8
        .value_kind:     hidden_global_offset_z
      - .offset:         184
        .size:           2
        .value_kind:     hidden_grid_dims
    .group_segment_fixed_size: 9600
    .kernarg_segment_align: 8
    .kernarg_segment_size: 376
    .language:       OpenCL C
    .language_version:
      - 2
      - 0
    .max_flat_workgroup_size: 256
    .name:           _ZL26rocblas_hemvn_kernel_lowerILb0ELi64ELi4ELi33ELi32ELi16El19rocblas_complex_numIfEPKS1_PS1_EviT6_lT7_lT5_lS6_lS7_lS5_lT8_i
    .private_segment_fixed_size: 0
    .sgpr_count:     48
    .sgpr_spill_count: 0
    .symbol:         _ZL26rocblas_hemvn_kernel_lowerILb0ELi64ELi4ELi33ELi32ELi16El19rocblas_complex_numIfEPKS1_PS1_EviT6_lT7_lT5_lS6_lS7_lS5_lT8_i.kd
    .uniform_work_group_size: 1
    .uses_dynamic_stack: false
    .vgpr_count:     117
    .vgpr_spill_count: 0
    .wavefront_size: 32
    .workgroup_processor_mode: 1
  - .args:
      - .offset:         0
        .size:           4
        .value_kind:     by_value
      - .offset:         4
        .size:           8
        .value_kind:     by_value
      - .offset:         16
        .size:           8
        .value_kind:     by_value
      - .address_space:  global
        .offset:         24
        .size:           8
        .value_kind:     global_buffer
      - .offset:         32
        .size:           8
        .value_kind:     by_value
      - .offset:         40
        .size:           4
        .value_kind:     by_value
      - .offset:         48
        .size:           8
        .value_kind:     by_value
      - .address_space:  global
        .offset:         56
        .size:           8
        .value_kind:     global_buffer
      - .offset:         64
        .size:           8
        .value_kind:     by_value
      - .offset:         72
        .size:           4
        .value_kind:     by_value
      - .offset:         80
        .size:           8
        .value_kind:     by_value
      - .offset:         88
        .size:           8
        .value_kind:     by_value
      - .offset:         96
        .size:           8
        .value_kind:     by_value
      - .address_space:  global
        .offset:         104
        .size:           8
        .value_kind:     global_buffer
      - .offset:         112
        .size:           4
        .value_kind:     by_value
      - .offset:         120
        .size:           4
        .value_kind:     hidden_block_count_x
      - .offset:         124
        .size:           4
        .value_kind:     hidden_block_count_y
      - .offset:         128
        .size:           4
        .value_kind:     hidden_block_count_z
      - .offset:         132
        .size:           2
        .value_kind:     hidden_group_size_x
      - .offset:         134
        .size:           2
        .value_kind:     hidden_group_size_y
      - .offset:         136
        .size:           2
        .value_kind:     hidden_group_size_z
      - .offset:         138
        .size:           2
        .value_kind:     hidden_remainder_x
      - .offset:         140
        .size:           2
        .value_kind:     hidden_remainder_y
      - .offset:         142
        .size:           2
        .value_kind:     hidden_remainder_z
      - .offset:         160
        .size:           8
        .value_kind:     hidden_global_offset_x
      - .offset:         168
        .size:           8
        .value_kind:     hidden_global_offset_y
      - .offset:         176
        .size:           8
        .value_kind:     hidden_global_offset_z
      - .offset:         184
        .size:           2
        .value_kind:     hidden_grid_dims
    .group_segment_fixed_size: 9600
    .kernarg_segment_align: 8
    .kernarg_segment_size: 376
    .language:       OpenCL C
    .language_version:
      - 2
      - 0
    .max_flat_workgroup_size: 256
    .name:           _ZL26rocblas_hemvn_kernel_lowerILb0ELi64ELi4ELi33ELi32ELi16Ei19rocblas_complex_numIfEPKS1_PS1_EviT6_lT7_lT5_lS6_lS7_lS5_lT8_i
    .private_segment_fixed_size: 0
    .sgpr_count:     48
    .sgpr_spill_count: 0
    .symbol:         _ZL26rocblas_hemvn_kernel_lowerILb0ELi64ELi4ELi33ELi32ELi16Ei19rocblas_complex_numIfEPKS1_PS1_EviT6_lT7_lT5_lS6_lS7_lS5_lT8_i.kd
    .uniform_work_group_size: 1
    .uses_dynamic_stack: false
    .vgpr_count:     115
    .vgpr_spill_count: 0
    .wavefront_size: 32
    .workgroup_processor_mode: 1
  - .args:
      - .offset:         0
        .size:           4
        .value_kind:     by_value
      - .address_space:  global
        .offset:         8
        .size:           8
        .value_kind:     global_buffer
      - .offset:         16
        .size:           8
        .value_kind:     by_value
      - .address_space:  global
        .offset:         24
        .size:           8
        .value_kind:     global_buffer
      - .offset:         32
        .size:           8
        .value_kind:     by_value
      - .offset:         40
        .size:           8
        .value_kind:     by_value
      - .offset:         48
        .size:           8
        .value_kind:     by_value
      - .address_space:  global
        .offset:         56
        .size:           8
        .value_kind:     global_buffer
      - .offset:         64
        .size:           8
        .value_kind:     by_value
      - .offset:         72
        .size:           8
        .value_kind:     by_value
      - .offset:         80
        .size:           8
        .value_kind:     by_value
      - .address_space:  global
        .offset:         88
        .size:           8
        .value_kind:     global_buffer
      - .offset:         96
        .size:           8
        .value_kind:     by_value
      - .address_space:  global
        .offset:         104
        .size:           8
        .value_kind:     global_buffer
      - .offset:         112
        .size:           4
        .value_kind:     by_value
      - .offset:         120
        .size:           4
        .value_kind:     hidden_block_count_x
      - .offset:         124
        .size:           4
        .value_kind:     hidden_block_count_y
      - .offset:         128
        .size:           4
        .value_kind:     hidden_block_count_z
      - .offset:         132
        .size:           2
        .value_kind:     hidden_group_size_x
      - .offset:         134
        .size:           2
        .value_kind:     hidden_group_size_y
      - .offset:         136
        .size:           2
        .value_kind:     hidden_group_size_z
      - .offset:         138
        .size:           2
        .value_kind:     hidden_remainder_x
      - .offset:         140
        .size:           2
        .value_kind:     hidden_remainder_y
      - .offset:         142
        .size:           2
        .value_kind:     hidden_remainder_z
      - .offset:         160
        .size:           8
        .value_kind:     hidden_global_offset_x
      - .offset:         168
        .size:           8
        .value_kind:     hidden_global_offset_y
      - .offset:         176
        .size:           8
        .value_kind:     hidden_global_offset_z
      - .offset:         184
        .size:           2
        .value_kind:     hidden_grid_dims
    .group_segment_fixed_size: 19200
    .kernarg_segment_align: 8
    .kernarg_segment_size: 376
    .language:       OpenCL C
    .language_version:
      - 2
      - 0
    .max_flat_workgroup_size: 256
    .name:           _ZL26rocblas_hemvn_kernel_upperILb0ELi64ELi4ELi33ELi32ELi16ElPK19rocblas_complex_numIdES3_PS1_EviT6_lT7_lT5_lS6_lS7_lS5_lT8_i
    .private_segment_fixed_size: 0
    .sgpr_count:     38
    .sgpr_spill_count: 0
    .symbol:         _ZL26rocblas_hemvn_kernel_upperILb0ELi64ELi4ELi33ELi32ELi16ElPK19rocblas_complex_numIdES3_PS1_EviT6_lT7_lT5_lS6_lS7_lS5_lT8_i.kd
    .uniform_work_group_size: 1
    .uses_dynamic_stack: false
    .vgpr_count:     248
    .vgpr_spill_count: 0
    .wavefront_size: 32
    .workgroup_processor_mode: 1
  - .args:
      - .offset:         0
        .size:           4
        .value_kind:     by_value
      - .address_space:  global
        .offset:         8
        .size:           8
        .value_kind:     global_buffer
      - .offset:         16
        .size:           8
        .value_kind:     by_value
      - .address_space:  global
        .offset:         24
        .size:           8
        .value_kind:     global_buffer
      - .offset:         32
        .size:           8
        .value_kind:     by_value
      - .offset:         40
        .size:           4
        .value_kind:     by_value
      - .offset:         48
        .size:           8
        .value_kind:     by_value
      - .address_space:  global
        .offset:         56
        .size:           8
        .value_kind:     global_buffer
      - .offset:         64
        .size:           8
        .value_kind:     by_value
      - .offset:         72
        .size:           4
        .value_kind:     by_value
      - .offset:         80
        .size:           8
        .value_kind:     by_value
      - .address_space:  global
        .offset:         88
        .size:           8
        .value_kind:     global_buffer
      - .offset:         96
        .size:           8
        .value_kind:     by_value
      - .address_space:  global
        .offset:         104
        .size:           8
        .value_kind:     global_buffer
      - .offset:         112
        .size:           4
        .value_kind:     by_value
      - .offset:         120
        .size:           4
        .value_kind:     hidden_block_count_x
      - .offset:         124
        .size:           4
        .value_kind:     hidden_block_count_y
      - .offset:         128
        .size:           4
        .value_kind:     hidden_block_count_z
      - .offset:         132
        .size:           2
        .value_kind:     hidden_group_size_x
      - .offset:         134
        .size:           2
        .value_kind:     hidden_group_size_y
      - .offset:         136
        .size:           2
        .value_kind:     hidden_group_size_z
      - .offset:         138
        .size:           2
        .value_kind:     hidden_remainder_x
      - .offset:         140
        .size:           2
        .value_kind:     hidden_remainder_y
      - .offset:         142
        .size:           2
        .value_kind:     hidden_remainder_z
      - .offset:         160
        .size:           8
        .value_kind:     hidden_global_offset_x
      - .offset:         168
        .size:           8
        .value_kind:     hidden_global_offset_y
      - .offset:         176
        .size:           8
        .value_kind:     hidden_global_offset_z
      - .offset:         184
        .size:           2
        .value_kind:     hidden_grid_dims
    .group_segment_fixed_size: 19200
    .kernarg_segment_align: 8
    .kernarg_segment_size: 376
    .language:       OpenCL C
    .language_version:
      - 2
      - 0
    .max_flat_workgroup_size: 256
    .name:           _ZL26rocblas_hemvn_kernel_upperILb0ELi64ELi4ELi33ELi32ELi16EiPK19rocblas_complex_numIdES3_PS1_EviT6_lT7_lT5_lS6_lS7_lS5_lT8_i
    .private_segment_fixed_size: 0
    .sgpr_count:     37
    .sgpr_spill_count: 0
    .symbol:         _ZL26rocblas_hemvn_kernel_upperILb0ELi64ELi4ELi33ELi32ELi16EiPK19rocblas_complex_numIdES3_PS1_EviT6_lT7_lT5_lS6_lS7_lS5_lT8_i.kd
    .uniform_work_group_size: 1
    .uses_dynamic_stack: false
    .vgpr_count:     239
    .vgpr_spill_count: 0
    .wavefront_size: 32
    .workgroup_processor_mode: 1
  - .args:
      - .offset:         0
        .size:           4
        .value_kind:     by_value
      - .offset:         8
        .size:           16
        .value_kind:     by_value
      - .offset:         24
        .size:           8
        .value_kind:     by_value
      - .address_space:  global
        .offset:         32
        .size:           8
        .value_kind:     global_buffer
      - .offset:         40
        .size:           8
        .value_kind:     by_value
      - .offset:         48
        .size:           8
        .value_kind:     by_value
      - .offset:         56
        .size:           8
        .value_kind:     by_value
      - .address_space:  global
        .offset:         64
        .size:           8
        .value_kind:     global_buffer
      - .offset:         72
        .size:           8
        .value_kind:     by_value
      - .offset:         80
        .size:           8
        .value_kind:     by_value
      - .offset:         88
        .size:           8
        .value_kind:     by_value
      - .offset:         96
        .size:           16
        .value_kind:     by_value
      - .offset:         112
        .size:           8
        .value_kind:     by_value
      - .address_space:  global
        .offset:         120
        .size:           8
        .value_kind:     global_buffer
      - .offset:         128
        .size:           4
        .value_kind:     by_value
      - .offset:         136
        .size:           4
        .value_kind:     hidden_block_count_x
      - .offset:         140
        .size:           4
        .value_kind:     hidden_block_count_y
      - .offset:         144
        .size:           4
        .value_kind:     hidden_block_count_z
      - .offset:         148
        .size:           2
        .value_kind:     hidden_group_size_x
      - .offset:         150
        .size:           2
        .value_kind:     hidden_group_size_y
      - .offset:         152
        .size:           2
        .value_kind:     hidden_group_size_z
      - .offset:         154
        .size:           2
        .value_kind:     hidden_remainder_x
      - .offset:         156
        .size:           2
        .value_kind:     hidden_remainder_y
      - .offset:         158
        .size:           2
        .value_kind:     hidden_remainder_z
      - .offset:         176
        .size:           8
        .value_kind:     hidden_global_offset_x
      - .offset:         184
        .size:           8
        .value_kind:     hidden_global_offset_y
      - .offset:         192
        .size:           8
        .value_kind:     hidden_global_offset_z
      - .offset:         200
        .size:           2
        .value_kind:     hidden_grid_dims
    .group_segment_fixed_size: 19200
    .kernarg_segment_align: 8
    .kernarg_segment_size: 392
    .language:       OpenCL C
    .language_version:
      - 2
      - 0
    .max_flat_workgroup_size: 256
    .name:           _ZL26rocblas_hemvn_kernel_upperILb0ELi64ELi4ELi33ELi32ELi16El19rocblas_complex_numIdEPKS1_PS1_EviT6_lT7_lT5_lS6_lS7_lS5_lT8_i
    .private_segment_fixed_size: 0
    .sgpr_count:     32
    .sgpr_spill_count: 0
    .symbol:         _ZL26rocblas_hemvn_kernel_upperILb0ELi64ELi4ELi33ELi32ELi16El19rocblas_complex_numIdEPKS1_PS1_EviT6_lT7_lT5_lS6_lS7_lS5_lT8_i.kd
    .uniform_work_group_size: 1
    .uses_dynamic_stack: false
    .vgpr_count:     248
    .vgpr_spill_count: 0
    .wavefront_size: 32
    .workgroup_processor_mode: 1
  - .args:
      - .offset:         0
        .size:           4
        .value_kind:     by_value
      - .offset:         8
        .size:           16
        .value_kind:     by_value
      - .offset:         24
        .size:           8
        .value_kind:     by_value
      - .address_space:  global
        .offset:         32
        .size:           8
        .value_kind:     global_buffer
      - .offset:         40
        .size:           8
        .value_kind:     by_value
      - .offset:         48
        .size:           4
        .value_kind:     by_value
      - .offset:         56
        .size:           8
        .value_kind:     by_value
      - .address_space:  global
        .offset:         64
        .size:           8
        .value_kind:     global_buffer
      - .offset:         72
        .size:           8
        .value_kind:     by_value
      - .offset:         80
        .size:           4
        .value_kind:     by_value
      - .offset:         88
        .size:           8
        .value_kind:     by_value
      - .offset:         96
        .size:           16
        .value_kind:     by_value
      - .offset:         112
        .size:           8
        .value_kind:     by_value
      - .address_space:  global
        .offset:         120
        .size:           8
        .value_kind:     global_buffer
      - .offset:         128
        .size:           4
        .value_kind:     by_value
      - .offset:         136
        .size:           4
        .value_kind:     hidden_block_count_x
      - .offset:         140
        .size:           4
        .value_kind:     hidden_block_count_y
      - .offset:         144
        .size:           4
        .value_kind:     hidden_block_count_z
      - .offset:         148
        .size:           2
        .value_kind:     hidden_group_size_x
      - .offset:         150
        .size:           2
        .value_kind:     hidden_group_size_y
      - .offset:         152
        .size:           2
        .value_kind:     hidden_group_size_z
      - .offset:         154
        .size:           2
        .value_kind:     hidden_remainder_x
      - .offset:         156
        .size:           2
        .value_kind:     hidden_remainder_y
      - .offset:         158
        .size:           2
        .value_kind:     hidden_remainder_z
      - .offset:         176
        .size:           8
        .value_kind:     hidden_global_offset_x
      - .offset:         184
        .size:           8
        .value_kind:     hidden_global_offset_y
      - .offset:         192
        .size:           8
        .value_kind:     hidden_global_offset_z
      - .offset:         200
        .size:           2
        .value_kind:     hidden_grid_dims
    .group_segment_fixed_size: 19200
    .kernarg_segment_align: 8
    .kernarg_segment_size: 392
    .language:       OpenCL C
    .language_version:
      - 2
      - 0
    .max_flat_workgroup_size: 256
    .name:           _ZL26rocblas_hemvn_kernel_upperILb0ELi64ELi4ELi33ELi32ELi16Ei19rocblas_complex_numIdEPKS1_PS1_EviT6_lT7_lT5_lS6_lS7_lS5_lT8_i
    .private_segment_fixed_size: 0
    .sgpr_count:     37
    .sgpr_spill_count: 0
    .symbol:         _ZL26rocblas_hemvn_kernel_upperILb0ELi64ELi4ELi33ELi32ELi16Ei19rocblas_complex_numIdEPKS1_PS1_EviT6_lT7_lT5_lS6_lS7_lS5_lT8_i.kd
    .uniform_work_group_size: 1
    .uses_dynamic_stack: false
    .vgpr_count:     239
    .vgpr_spill_count: 0
    .wavefront_size: 32
    .workgroup_processor_mode: 1
  - .args:
      - .offset:         0
        .size:           4
        .value_kind:     by_value
      - .address_space:  global
        .offset:         8
        .size:           8
        .value_kind:     global_buffer
      - .offset:         16
        .size:           8
        .value_kind:     by_value
      - .address_space:  global
        .offset:         24
        .size:           8
        .value_kind:     global_buffer
      - .offset:         32
        .size:           8
        .value_kind:     by_value
      - .offset:         40
        .size:           8
        .value_kind:     by_value
      - .offset:         48
        .size:           8
        .value_kind:     by_value
      - .address_space:  global
        .offset:         56
        .size:           8
        .value_kind:     global_buffer
      - .offset:         64
        .size:           8
        .value_kind:     by_value
      - .offset:         72
        .size:           8
        .value_kind:     by_value
      - .offset:         80
        .size:           8
        .value_kind:     by_value
      - .address_space:  global
        .offset:         88
        .size:           8
        .value_kind:     global_buffer
      - .offset:         96
        .size:           8
        .value_kind:     by_value
      - .address_space:  global
        .offset:         104
        .size:           8
        .value_kind:     global_buffer
      - .offset:         112
        .size:           4
        .value_kind:     by_value
      - .offset:         120
        .size:           4
        .value_kind:     hidden_block_count_x
      - .offset:         124
        .size:           4
        .value_kind:     hidden_block_count_y
      - .offset:         128
        .size:           4
        .value_kind:     hidden_block_count_z
      - .offset:         132
        .size:           2
        .value_kind:     hidden_group_size_x
      - .offset:         134
        .size:           2
        .value_kind:     hidden_group_size_y
      - .offset:         136
        .size:           2
        .value_kind:     hidden_group_size_z
      - .offset:         138
        .size:           2
        .value_kind:     hidden_remainder_x
      - .offset:         140
        .size:           2
        .value_kind:     hidden_remainder_y
      - .offset:         142
        .size:           2
        .value_kind:     hidden_remainder_z
      - .offset:         160
        .size:           8
        .value_kind:     hidden_global_offset_x
      - .offset:         168
        .size:           8
        .value_kind:     hidden_global_offset_y
      - .offset:         176
        .size:           8
        .value_kind:     hidden_global_offset_z
      - .offset:         184
        .size:           2
        .value_kind:     hidden_grid_dims
    .group_segment_fixed_size: 19200
    .kernarg_segment_align: 8
    .kernarg_segment_size: 376
    .language:       OpenCL C
    .language_version:
      - 2
      - 0
    .max_flat_workgroup_size: 256
    .name:           _ZL26rocblas_hemvn_kernel_lowerILb0ELi64ELi4ELi33ELi32ELi16ElPK19rocblas_complex_numIdES3_PS1_EviT6_lT7_lT5_lS6_lS7_lS5_lT8_i
    .private_segment_fixed_size: 0
    .sgpr_count:     34
    .sgpr_spill_count: 0
    .symbol:         _ZL26rocblas_hemvn_kernel_lowerILb0ELi64ELi4ELi33ELi32ELi16ElPK19rocblas_complex_numIdES3_PS1_EviT6_lT7_lT5_lS6_lS7_lS5_lT8_i.kd
    .uniform_work_group_size: 1
    .uses_dynamic_stack: false
    .vgpr_count:     179
    .vgpr_spill_count: 0
    .wavefront_size: 32
    .workgroup_processor_mode: 1
  - .args:
      - .offset:         0
        .size:           4
        .value_kind:     by_value
      - .address_space:  global
        .offset:         8
        .size:           8
        .value_kind:     global_buffer
      - .offset:         16
        .size:           8
        .value_kind:     by_value
      - .address_space:  global
        .offset:         24
        .size:           8
        .value_kind:     global_buffer
      - .offset:         32
        .size:           8
        .value_kind:     by_value
      - .offset:         40
        .size:           4
        .value_kind:     by_value
      - .offset:         48
        .size:           8
        .value_kind:     by_value
      - .address_space:  global
        .offset:         56
        .size:           8
        .value_kind:     global_buffer
      - .offset:         64
        .size:           8
        .value_kind:     by_value
      - .offset:         72
        .size:           4
        .value_kind:     by_value
      - .offset:         80
        .size:           8
        .value_kind:     by_value
      - .address_space:  global
        .offset:         88
        .size:           8
        .value_kind:     global_buffer
      - .offset:         96
        .size:           8
        .value_kind:     by_value
      - .address_space:  global
        .offset:         104
        .size:           8
        .value_kind:     global_buffer
      - .offset:         112
        .size:           4
        .value_kind:     by_value
      - .offset:         120
        .size:           4
        .value_kind:     hidden_block_count_x
      - .offset:         124
        .size:           4
        .value_kind:     hidden_block_count_y
      - .offset:         128
        .size:           4
        .value_kind:     hidden_block_count_z
      - .offset:         132
        .size:           2
        .value_kind:     hidden_group_size_x
      - .offset:         134
        .size:           2
        .value_kind:     hidden_group_size_y
      - .offset:         136
        .size:           2
        .value_kind:     hidden_group_size_z
      - .offset:         138
        .size:           2
        .value_kind:     hidden_remainder_x
      - .offset:         140
        .size:           2
        .value_kind:     hidden_remainder_y
      - .offset:         142
        .size:           2
        .value_kind:     hidden_remainder_z
      - .offset:         160
        .size:           8
        .value_kind:     hidden_global_offset_x
      - .offset:         168
        .size:           8
        .value_kind:     hidden_global_offset_y
      - .offset:         176
        .size:           8
        .value_kind:     hidden_global_offset_z
      - .offset:         184
        .size:           2
        .value_kind:     hidden_grid_dims
    .group_segment_fixed_size: 19200
    .kernarg_segment_align: 8
    .kernarg_segment_size: 376
    .language:       OpenCL C
    .language_version:
      - 2
      - 0
    .max_flat_workgroup_size: 256
    .name:           _ZL26rocblas_hemvn_kernel_lowerILb0ELi64ELi4ELi33ELi32ELi16EiPK19rocblas_complex_numIdES3_PS1_EviT6_lT7_lT5_lS6_lS7_lS5_lT8_i
    .private_segment_fixed_size: 0
    .sgpr_count:     32
    .sgpr_spill_count: 0
    .symbol:         _ZL26rocblas_hemvn_kernel_lowerILb0ELi64ELi4ELi33ELi32ELi16EiPK19rocblas_complex_numIdES3_PS1_EviT6_lT7_lT5_lS6_lS7_lS5_lT8_i.kd
    .uniform_work_group_size: 1
    .uses_dynamic_stack: false
    .vgpr_count:     209
    .vgpr_spill_count: 0
    .wavefront_size: 32
    .workgroup_processor_mode: 1
  - .args:
      - .offset:         0
        .size:           4
        .value_kind:     by_value
      - .offset:         8
        .size:           16
        .value_kind:     by_value
      - .offset:         24
        .size:           8
        .value_kind:     by_value
      - .address_space:  global
        .offset:         32
        .size:           8
        .value_kind:     global_buffer
      - .offset:         40
        .size:           8
        .value_kind:     by_value
      - .offset:         48
        .size:           8
        .value_kind:     by_value
      - .offset:         56
        .size:           8
        .value_kind:     by_value
      - .address_space:  global
        .offset:         64
        .size:           8
        .value_kind:     global_buffer
      - .offset:         72
        .size:           8
        .value_kind:     by_value
      - .offset:         80
        .size:           8
        .value_kind:     by_value
      - .offset:         88
        .size:           8
        .value_kind:     by_value
      - .offset:         96
        .size:           16
        .value_kind:     by_value
      - .offset:         112
        .size:           8
        .value_kind:     by_value
      - .address_space:  global
        .offset:         120
        .size:           8
        .value_kind:     global_buffer
      - .offset:         128
        .size:           4
        .value_kind:     by_value
      - .offset:         136
        .size:           4
        .value_kind:     hidden_block_count_x
      - .offset:         140
        .size:           4
        .value_kind:     hidden_block_count_y
      - .offset:         144
        .size:           4
        .value_kind:     hidden_block_count_z
      - .offset:         148
        .size:           2
        .value_kind:     hidden_group_size_x
      - .offset:         150
        .size:           2
        .value_kind:     hidden_group_size_y
      - .offset:         152
        .size:           2
        .value_kind:     hidden_group_size_z
      - .offset:         154
        .size:           2
        .value_kind:     hidden_remainder_x
      - .offset:         156
        .size:           2
        .value_kind:     hidden_remainder_y
      - .offset:         158
        .size:           2
        .value_kind:     hidden_remainder_z
      - .offset:         176
        .size:           8
        .value_kind:     hidden_global_offset_x
      - .offset:         184
        .size:           8
        .value_kind:     hidden_global_offset_y
      - .offset:         192
        .size:           8
        .value_kind:     hidden_global_offset_z
      - .offset:         200
        .size:           2
        .value_kind:     hidden_grid_dims
    .group_segment_fixed_size: 19200
    .kernarg_segment_align: 8
    .kernarg_segment_size: 392
    .language:       OpenCL C
    .language_version:
      - 2
      - 0
    .max_flat_workgroup_size: 256
    .name:           _ZL26rocblas_hemvn_kernel_lowerILb0ELi64ELi4ELi33ELi32ELi16El19rocblas_complex_numIdEPKS1_PS1_EviT6_lT7_lT5_lS6_lS7_lS5_lT8_i
    .private_segment_fixed_size: 0
    .sgpr_count:     34
    .sgpr_spill_count: 0
    .symbol:         _ZL26rocblas_hemvn_kernel_lowerILb0ELi64ELi4ELi33ELi32ELi16El19rocblas_complex_numIdEPKS1_PS1_EviT6_lT7_lT5_lS6_lS7_lS5_lT8_i.kd
    .uniform_work_group_size: 1
    .uses_dynamic_stack: false
    .vgpr_count:     179
    .vgpr_spill_count: 0
    .wavefront_size: 32
    .workgroup_processor_mode: 1
  - .args:
      - .offset:         0
        .size:           4
        .value_kind:     by_value
      - .offset:         8
        .size:           16
        .value_kind:     by_value
      - .offset:         24
        .size:           8
        .value_kind:     by_value
      - .address_space:  global
        .offset:         32
        .size:           8
        .value_kind:     global_buffer
      - .offset:         40
        .size:           8
        .value_kind:     by_value
      - .offset:         48
        .size:           4
        .value_kind:     by_value
      - .offset:         56
        .size:           8
        .value_kind:     by_value
      - .address_space:  global
        .offset:         64
        .size:           8
        .value_kind:     global_buffer
      - .offset:         72
        .size:           8
        .value_kind:     by_value
      - .offset:         80
        .size:           4
        .value_kind:     by_value
      - .offset:         88
        .size:           8
        .value_kind:     by_value
      - .offset:         96
        .size:           16
        .value_kind:     by_value
      - .offset:         112
        .size:           8
        .value_kind:     by_value
      - .address_space:  global
        .offset:         120
        .size:           8
        .value_kind:     global_buffer
      - .offset:         128
        .size:           4
        .value_kind:     by_value
      - .offset:         136
        .size:           4
        .value_kind:     hidden_block_count_x
      - .offset:         140
        .size:           4
        .value_kind:     hidden_block_count_y
      - .offset:         144
        .size:           4
        .value_kind:     hidden_block_count_z
      - .offset:         148
        .size:           2
        .value_kind:     hidden_group_size_x
      - .offset:         150
        .size:           2
        .value_kind:     hidden_group_size_y
      - .offset:         152
        .size:           2
        .value_kind:     hidden_group_size_z
      - .offset:         154
        .size:           2
        .value_kind:     hidden_remainder_x
      - .offset:         156
        .size:           2
        .value_kind:     hidden_remainder_y
      - .offset:         158
        .size:           2
        .value_kind:     hidden_remainder_z
      - .offset:         176
        .size:           8
        .value_kind:     hidden_global_offset_x
      - .offset:         184
        .size:           8
        .value_kind:     hidden_global_offset_y
      - .offset:         192
        .size:           8
        .value_kind:     hidden_global_offset_z
      - .offset:         200
        .size:           2
        .value_kind:     hidden_grid_dims
    .group_segment_fixed_size: 19200
    .kernarg_segment_align: 8
    .kernarg_segment_size: 392
    .language:       OpenCL C
    .language_version:
      - 2
      - 0
    .max_flat_workgroup_size: 256
    .name:           _ZL26rocblas_hemvn_kernel_lowerILb0ELi64ELi4ELi33ELi32ELi16Ei19rocblas_complex_numIdEPKS1_PS1_EviT6_lT7_lT5_lS6_lS7_lS5_lT8_i
    .private_segment_fixed_size: 0
    .sgpr_count:     32
    .sgpr_spill_count: 0
    .symbol:         _ZL26rocblas_hemvn_kernel_lowerILb0ELi64ELi4ELi33ELi32ELi16Ei19rocblas_complex_numIdEPKS1_PS1_EviT6_lT7_lT5_lS6_lS7_lS5_lT8_i.kd
    .uniform_work_group_size: 1
    .uses_dynamic_stack: false
    .vgpr_count:     209
    .vgpr_spill_count: 0
    .wavefront_size: 32
    .workgroup_processor_mode: 1
  - .args:
      - .offset:         0
        .size:           1
        .value_kind:     by_value
      - .offset:         4
        .size:           4
        .value_kind:     by_value
      - .offset:         8
        .size:           8
        .value_kind:     by_value
      - .offset:         16
        .size:           8
        .value_kind:     by_value
      - .address_space:  global
        .offset:         24
        .size:           8
        .value_kind:     global_buffer
      - .offset:         32
        .size:           8
        .value_kind:     by_value
      - .offset:         40
        .size:           8
        .value_kind:     by_value
      - .offset:         48
        .size:           8
        .value_kind:     by_value
      - .address_space:  global
        .offset:         56
        .size:           8
        .value_kind:     global_buffer
      - .offset:         64
        .size:           8
        .value_kind:     by_value
      - .offset:         72
        .size:           8
        .value_kind:     by_value
      - .offset:         80
        .size:           8
        .value_kind:     by_value
      - .offset:         88
        .size:           8
        .value_kind:     by_value
      - .offset:         96
        .size:           8
        .value_kind:     by_value
      - .actual_access:  read_only
        .address_space:  global
        .offset:         104
        .size:           8
        .value_kind:     global_buffer
      - .offset:         112
        .size:           8
        .value_kind:     by_value
      - .offset:         120
        .size:           8
        .value_kind:     by_value
      - .offset:         128
        .size:           8
        .value_kind:     by_value
      - .offset:         136
        .size:           4
        .value_kind:     by_value
    .group_segment_fixed_size: 5248
    .kernarg_segment_align: 8
    .kernarg_segment_size: 140
    .language:       OpenCL C
    .language_version:
      - 2
      - 0
    .max_flat_workgroup_size: 128
    .name:           _ZL50rocblas_symv_kernel_upper_double_buffered_diagonalILi32ELi4E24rocblas_internal_val_ptrIfEPKPKfPKPfEvbiT1_lT2_lllSA_lllS9_lT3_llli
    .private_segment_fixed_size: 0
    .sgpr_count:     27
    .sgpr_spill_count: 0
    .symbol:         _ZL50rocblas_symv_kernel_upper_double_buffered_diagonalILi32ELi4E24rocblas_internal_val_ptrIfEPKPKfPKPfEvbiT1_lT2_lllSA_lllS9_lT3_llli.kd
    .uniform_work_group_size: 1
    .uses_dynamic_stack: false
    .vgpr_count:     19
    .vgpr_spill_count: 0
    .wavefront_size: 32
    .workgroup_processor_mode: 1
  - .args:
      - .offset:         0
        .size:           1
        .value_kind:     by_value
      - .offset:         4
        .size:           4
        .value_kind:     by_value
      - .offset:         8
        .size:           8
        .value_kind:     by_value
      - .offset:         16
        .size:           8
        .value_kind:     by_value
      - .address_space:  global
        .offset:         24
        .size:           8
        .value_kind:     global_buffer
      - .offset:         32
        .size:           8
        .value_kind:     by_value
      - .offset:         40
        .size:           8
        .value_kind:     by_value
      - .offset:         48
        .size:           8
        .value_kind:     by_value
      - .address_space:  global
        .offset:         56
        .size:           8
        .value_kind:     global_buffer
      - .offset:         64
        .size:           8
        .value_kind:     by_value
      - .offset:         72
        .size:           8
        .value_kind:     by_value
      - .offset:         80
        .size:           8
        .value_kind:     by_value
      - .actual_access:  read_only
        .address_space:  global
        .offset:         88
        .size:           8
        .value_kind:     global_buffer
      - .offset:         96
        .size:           8
        .value_kind:     by_value
      - .offset:         104
        .size:           8
        .value_kind:     by_value
      - .offset:         112
        .size:           8
        .value_kind:     by_value
      - .offset:         120
        .size:           4
        .value_kind:     by_value
      - .offset:         128
        .size:           4
        .value_kind:     hidden_block_count_x
      - .offset:         132
        .size:           4
        .value_kind:     hidden_block_count_y
      - .offset:         136
        .size:           4
        .value_kind:     hidden_block_count_z
      - .offset:         140
        .size:           2
        .value_kind:     hidden_group_size_x
      - .offset:         142
        .size:           2
        .value_kind:     hidden_group_size_y
      - .offset:         144
        .size:           2
        .value_kind:     hidden_group_size_z
      - .offset:         146
        .size:           2
        .value_kind:     hidden_remainder_x
      - .offset:         148
        .size:           2
        .value_kind:     hidden_remainder_y
      - .offset:         150
        .size:           2
        .value_kind:     hidden_remainder_z
      - .offset:         168
        .size:           8
        .value_kind:     hidden_global_offset_x
      - .offset:         176
        .size:           8
        .value_kind:     hidden_global_offset_y
      - .offset:         184
        .size:           8
        .value_kind:     hidden_global_offset_z
      - .offset:         192
        .size:           2
        .value_kind:     hidden_grid_dims
    .group_segment_fixed_size: 3200
    .kernarg_segment_align: 8
    .kernarg_segment_size: 384
    .language:       OpenCL C
    .language_version:
      - 2
      - 0
    .max_flat_workgroup_size: 128
    .name:           _ZL54rocblas_symv_kernel_upper_double_buffered_non_diagonalILi32ELi4ELi4E24rocblas_internal_val_ptrIfEPKPKfPKPfEvbiT2_lT3_lllSA_lllT4_llli
    .private_segment_fixed_size: 0
    .sgpr_count:     30
    .sgpr_spill_count: 0
    .symbol:         _ZL54rocblas_symv_kernel_upper_double_buffered_non_diagonalILi32ELi4ELi4E24rocblas_internal_val_ptrIfEPKPKfPKPfEvbiT2_lT3_lllSA_lllT4_llli.kd
    .uniform_work_group_size: 1
    .uses_dynamic_stack: false
    .vgpr_count:     45
    .vgpr_spill_count: 0
    .wavefront_size: 32
    .workgroup_processor_mode: 1
  - .args:
      - .offset:         0
        .size:           1
        .value_kind:     by_value
      - .offset:         4
        .size:           4
        .value_kind:     by_value
      - .offset:         8
        .size:           8
        .value_kind:     by_value
      - .offset:         16
        .size:           8
        .value_kind:     by_value
      - .address_space:  global
        .offset:         24
        .size:           8
        .value_kind:     global_buffer
      - .offset:         32
        .size:           8
        .value_kind:     by_value
      - .offset:         40
        .size:           8
        .value_kind:     by_value
      - .offset:         48
        .size:           8
        .value_kind:     by_value
      - .address_space:  global
        .offset:         56
        .size:           8
        .value_kind:     global_buffer
      - .offset:         64
        .size:           8
        .value_kind:     by_value
      - .offset:         72
        .size:           8
        .value_kind:     by_value
      - .offset:         80
        .size:           8
        .value_kind:     by_value
      - .offset:         88
        .size:           8
        .value_kind:     by_value
      - .offset:         96
        .size:           8
        .value_kind:     by_value
      - .actual_access:  read_only
        .address_space:  global
        .offset:         104
        .size:           8
        .value_kind:     global_buffer
      - .offset:         112
        .size:           8
        .value_kind:     by_value
      - .offset:         120
        .size:           8
        .value_kind:     by_value
      - .offset:         128
        .size:           8
        .value_kind:     by_value
      - .offset:         136
        .size:           4
        .value_kind:     by_value
      - .offset:         140
        .size:           4
        .value_kind:     by_value
      - .offset:         144
        .size:           4
        .value_kind:     hidden_block_count_x
      - .offset:         148
        .size:           4
        .value_kind:     hidden_block_count_y
      - .offset:         152
        .size:           4
        .value_kind:     hidden_block_count_z
      - .offset:         156
        .size:           2
        .value_kind:     hidden_group_size_x
      - .offset:         158
        .size:           2
        .value_kind:     hidden_group_size_y
      - .offset:         160
        .size:           2
        .value_kind:     hidden_group_size_z
      - .offset:         162
        .size:           2
        .value_kind:     hidden_remainder_x
      - .offset:         164
        .size:           2
        .value_kind:     hidden_remainder_y
      - .offset:         166
        .size:           2
        .value_kind:     hidden_remainder_z
      - .offset:         184
        .size:           8
        .value_kind:     hidden_global_offset_x
      - .offset:         192
        .size:           8
        .value_kind:     hidden_global_offset_y
      - .offset:         200
        .size:           8
        .value_kind:     hidden_global_offset_z
      - .offset:         208
        .size:           2
        .value_kind:     hidden_grid_dims
    .group_segment_fixed_size: 6272
    .kernarg_segment_align: 8
    .kernarg_segment_size: 400
    .language:       OpenCL C
    .language_version:
      - 2
      - 0
    .max_flat_workgroup_size: 256
    .name:           _ZL58rocblas_symv_kernel_upper_double_buffered_diagonal_genericILi32ELi8E24rocblas_internal_val_ptrIfEPKPKfPKPfEvbiT1_lT2_lllSA_lllS9_lT3_lllii
    .private_segment_fixed_size: 0
    .sgpr_count:     28
    .sgpr_spill_count: 0
    .symbol:         _ZL58rocblas_symv_kernel_upper_double_buffered_diagonal_genericILi32ELi8E24rocblas_internal_val_ptrIfEPKPKfPKPfEvbiT1_lT2_lllSA_lllS9_lT3_lllii.kd
    .uniform_work_group_size: 1
    .uses_dynamic_stack: false
    .vgpr_count:     17
    .vgpr_spill_count: 0
    .wavefront_size: 32
    .workgroup_processor_mode: 1
  - .args:
      - .offset:         0
        .size:           1
        .value_kind:     by_value
      - .offset:         4
        .size:           4
        .value_kind:     by_value
      - .offset:         8
        .size:           8
        .value_kind:     by_value
      - .offset:         16
        .size:           8
        .value_kind:     by_value
      - .address_space:  global
        .offset:         24
        .size:           8
        .value_kind:     global_buffer
      - .offset:         32
        .size:           8
        .value_kind:     by_value
      - .offset:         40
        .size:           8
        .value_kind:     by_value
      - .offset:         48
        .size:           8
        .value_kind:     by_value
      - .address_space:  global
        .offset:         56
        .size:           8
        .value_kind:     global_buffer
      - .offset:         64
        .size:           8
        .value_kind:     by_value
      - .offset:         72
        .size:           8
        .value_kind:     by_value
      - .offset:         80
        .size:           8
        .value_kind:     by_value
      - .actual_access:  read_only
        .address_space:  global
        .offset:         88
        .size:           8
        .value_kind:     global_buffer
      - .offset:         96
        .size:           8
        .value_kind:     by_value
      - .offset:         104
        .size:           8
        .value_kind:     by_value
      - .offset:         112
        .size:           8
        .value_kind:     by_value
      - .offset:         120
        .size:           4
        .value_kind:     by_value
      - .offset:         124
        .size:           4
        .value_kind:     by_value
      - .offset:         128
        .size:           4
        .value_kind:     hidden_block_count_x
      - .offset:         132
        .size:           4
        .value_kind:     hidden_block_count_y
      - .offset:         136
        .size:           4
        .value_kind:     hidden_block_count_z
      - .offset:         140
        .size:           2
        .value_kind:     hidden_group_size_x
      - .offset:         142
        .size:           2
        .value_kind:     hidden_group_size_y
      - .offset:         144
        .size:           2
        .value_kind:     hidden_group_size_z
      - .offset:         146
        .size:           2
        .value_kind:     hidden_remainder_x
      - .offset:         148
        .size:           2
        .value_kind:     hidden_remainder_y
      - .offset:         150
        .size:           2
        .value_kind:     hidden_remainder_z
      - .offset:         168
        .size:           8
        .value_kind:     hidden_global_offset_x
      - .offset:         176
        .size:           8
        .value_kind:     hidden_global_offset_y
      - .offset:         184
        .size:           8
        .value_kind:     hidden_global_offset_z
      - .offset:         192
        .size:           2
        .value_kind:     hidden_grid_dims
    .group_segment_fixed_size: 4224
    .kernarg_segment_align: 8
    .kernarg_segment_size: 384
    .language:       OpenCL C
    .language_version:
      - 2
      - 0
    .max_flat_workgroup_size: 256
    .name:           _ZL62rocblas_symv_kernel_upper_double_buffered_non_diagonal_genericILi32ELi8ELi2ELi0E24rocblas_internal_val_ptrIfEPKPKfPKPfEvbiT3_lT4_lllSA_lllT5_lllii
    .private_segment_fixed_size: 0
    .sgpr_count:     31
    .sgpr_spill_count: 0
    .symbol:         _ZL62rocblas_symv_kernel_upper_double_buffered_non_diagonal_genericILi32ELi8ELi2ELi0E24rocblas_internal_val_ptrIfEPKPKfPKPfEvbiT3_lT4_lllSA_lllT5_lllii.kd
    .uniform_work_group_size: 1
    .uses_dynamic_stack: false
    .vgpr_count:     38
    .vgpr_spill_count: 0
    .wavefront_size: 32
    .workgroup_processor_mode: 1
  - .args:
      - .offset:         0
        .size:           1
        .value_kind:     by_value
      - .offset:         4
        .size:           4
        .value_kind:     by_value
      - .offset:         8
        .size:           8
        .value_kind:     by_value
      - .offset:         16
        .size:           8
        .value_kind:     by_value
      - .address_space:  global
        .offset:         24
        .size:           8
        .value_kind:     global_buffer
      - .offset:         32
        .size:           8
        .value_kind:     by_value
      - .offset:         40
        .size:           8
        .value_kind:     by_value
      - .offset:         48
        .size:           8
        .value_kind:     by_value
      - .address_space:  global
        .offset:         56
        .size:           8
        .value_kind:     global_buffer
      - .offset:         64
        .size:           8
        .value_kind:     by_value
      - .offset:         72
        .size:           8
        .value_kind:     by_value
      - .offset:         80
        .size:           8
        .value_kind:     by_value
      - .actual_access:  read_only
        .address_space:  global
        .offset:         88
        .size:           8
        .value_kind:     global_buffer
      - .offset:         96
        .size:           8
        .value_kind:     by_value
      - .offset:         104
        .size:           8
        .value_kind:     by_value
      - .offset:         112
        .size:           8
        .value_kind:     by_value
      - .offset:         120
        .size:           4
        .value_kind:     by_value
      - .offset:         124
        .size:           4
        .value_kind:     by_value
      - .offset:         128
        .size:           4
        .value_kind:     hidden_block_count_x
      - .offset:         132
        .size:           4
        .value_kind:     hidden_block_count_y
      - .offset:         136
        .size:           4
        .value_kind:     hidden_block_count_z
      - .offset:         140
        .size:           2
        .value_kind:     hidden_group_size_x
      - .offset:         142
        .size:           2
        .value_kind:     hidden_group_size_y
      - .offset:         144
        .size:           2
        .value_kind:     hidden_group_size_z
      - .offset:         146
        .size:           2
        .value_kind:     hidden_remainder_x
      - .offset:         148
        .size:           2
        .value_kind:     hidden_remainder_y
      - .offset:         150
        .size:           2
        .value_kind:     hidden_remainder_z
      - .offset:         168
        .size:           8
        .value_kind:     hidden_global_offset_x
      - .offset:         176
        .size:           8
        .value_kind:     hidden_global_offset_y
      - .offset:         184
        .size:           8
        .value_kind:     hidden_global_offset_z
      - .offset:         192
        .size:           2
        .value_kind:     hidden_grid_dims
    .group_segment_fixed_size: 4224
    .kernarg_segment_align: 8
    .kernarg_segment_size: 384
    .language:       OpenCL C
    .language_version:
      - 2
      - 0
    .max_flat_workgroup_size: 256
    .name:           _ZL62rocblas_symv_kernel_upper_double_buffered_non_diagonal_genericILi32ELi8ELi2ELi1E24rocblas_internal_val_ptrIfEPKPKfPKPfEvbiT3_lT4_lllSA_lllT5_lllii
    .private_segment_fixed_size: 0
    .sgpr_count:     31
    .sgpr_spill_count: 0
    .symbol:         _ZL62rocblas_symv_kernel_upper_double_buffered_non_diagonal_genericILi32ELi8ELi2ELi1E24rocblas_internal_val_ptrIfEPKPKfPKPfEvbiT3_lT4_lllSA_lllT5_lllii.kd
    .uniform_work_group_size: 1
    .uses_dynamic_stack: false
    .vgpr_count:     41
    .vgpr_spill_count: 0
    .wavefront_size: 32
    .workgroup_processor_mode: 1
  - .args:
      - .offset:         0
        .size:           4
        .value_kind:     by_value
      - .address_space:  global
        .offset:         8
        .size:           8
        .value_kind:     global_buffer
      - .offset:         16
        .size:           8
        .value_kind:     by_value
      - .address_space:  global
        .offset:         24
        .size:           8
        .value_kind:     global_buffer
      - .offset:         32
        .size:           8
        .value_kind:     by_value
      - .offset:         40
        .size:           8
        .value_kind:     by_value
      - .offset:         48
        .size:           8
        .value_kind:     by_value
      - .address_space:  global
        .offset:         56
        .size:           8
        .value_kind:     global_buffer
      - .offset:         64
        .size:           8
        .value_kind:     by_value
      - .offset:         72
        .size:           8
        .value_kind:     by_value
      - .offset:         80
        .size:           8
        .value_kind:     by_value
      - .address_space:  global
        .offset:         88
        .size:           8
        .value_kind:     global_buffer
      - .offset:         96
        .size:           8
        .value_kind:     by_value
      - .address_space:  global
        .offset:         104
        .size:           8
        .value_kind:     global_buffer
      - .offset:         112
        .size:           4
        .value_kind:     by_value
      - .offset:         120
        .size:           4
        .value_kind:     hidden_block_count_x
      - .offset:         124
        .size:           4
        .value_kind:     hidden_block_count_y
      - .offset:         128
        .size:           4
        .value_kind:     hidden_block_count_z
      - .offset:         132
        .size:           2
        .value_kind:     hidden_group_size_x
      - .offset:         134
        .size:           2
        .value_kind:     hidden_group_size_y
      - .offset:         136
        .size:           2
        .value_kind:     hidden_group_size_z
      - .offset:         138
        .size:           2
        .value_kind:     hidden_remainder_x
      - .offset:         140
        .size:           2
        .value_kind:     hidden_remainder_y
      - .offset:         142
        .size:           2
        .value_kind:     hidden_remainder_z
      - .offset:         160
        .size:           8
        .value_kind:     hidden_global_offset_x
      - .offset:         168
        .size:           8
        .value_kind:     hidden_global_offset_y
      - .offset:         176
        .size:           8
        .value_kind:     hidden_global_offset_z
      - .offset:         184
        .size:           2
        .value_kind:     hidden_grid_dims
    .group_segment_fixed_size: 4800
    .kernarg_segment_align: 8
    .kernarg_segment_size: 376
    .language:       OpenCL C
    .language_version:
      - 2
      - 0
    .max_flat_workgroup_size: 256
    .name:           _ZL26rocblas_hemvn_kernel_upperILb0ELi64ELi4ELi33ELi32ELi16ElPKfPKS1_PfEviT6_lT7_lT5_lS6_lS7_lS5_lT8_i
    .private_segment_fixed_size: 0
    .sgpr_count:     34
    .sgpr_spill_count: 0
    .symbol:         _ZL26rocblas_hemvn_kernel_upperILb0ELi64ELi4ELi33ELi32ELi16ElPKfPKS1_PfEviT6_lT7_lT5_lS6_lS7_lS5_lT8_i.kd
    .uniform_work_group_size: 1
    .uses_dynamic_stack: false
    .vgpr_count:     111
    .vgpr_spill_count: 0
    .wavefront_size: 32
    .workgroup_processor_mode: 1
  - .args:
      - .offset:         0
        .size:           4
        .value_kind:     by_value
      - .address_space:  global
        .offset:         8
        .size:           8
        .value_kind:     global_buffer
      - .offset:         16
        .size:           8
        .value_kind:     by_value
      - .address_space:  global
        .offset:         24
        .size:           8
        .value_kind:     global_buffer
      - .offset:         32
        .size:           8
        .value_kind:     by_value
      - .actual_access:  read_only
        .address_space:  global
        .offset:         40
        .size:           8
        .value_kind:     global_buffer
      - .offset:         48
        .size:           8
        .value_kind:     by_value
      - .offset:         56
        .size:           8
        .value_kind:     by_value
      - .offset:         64
        .size:           8
        .value_kind:     by_value
      - .address_space:  global
        .offset:         72
        .size:           8
        .value_kind:     global_buffer
      - .offset:         80
        .size:           4
        .value_kind:     by_value
      - .offset:         88
        .size:           4
        .value_kind:     hidden_block_count_x
      - .offset:         92
        .size:           4
        .value_kind:     hidden_block_count_y
      - .offset:         96
        .size:           4
        .value_kind:     hidden_block_count_z
      - .offset:         100
        .size:           2
        .value_kind:     hidden_group_size_x
      - .offset:         102
        .size:           2
        .value_kind:     hidden_group_size_y
      - .offset:         104
        .size:           2
        .value_kind:     hidden_group_size_z
      - .offset:         106
        .size:           2
        .value_kind:     hidden_remainder_x
      - .offset:         108
        .size:           2
        .value_kind:     hidden_remainder_y
      - .offset:         110
        .size:           2
        .value_kind:     hidden_remainder_z
      - .offset:         128
        .size:           8
        .value_kind:     hidden_global_offset_x
      - .offset:         136
        .size:           8
        .value_kind:     hidden_global_offset_y
      - .offset:         144
        .size:           8
        .value_kind:     hidden_global_offset_z
      - .offset:         152
        .size:           2
        .value_kind:     hidden_grid_dims
    .group_segment_fixed_size: 0
    .kernarg_segment_align: 8
    .kernarg_segment_size: 344
    .language:       OpenCL C
    .language_version:
      - 2
      - 0
    .max_flat_workgroup_size: 64
    .name:           _ZL36rocblas_hemvn_kernel_upper_block_sumILi64ElPKfPKPffEviT1_lS5_lT2_lT0_lPT3_i
    .private_segment_fixed_size: 0
    .sgpr_count:     22
    .sgpr_spill_count: 0
    .symbol:         _ZL36rocblas_hemvn_kernel_upper_block_sumILi64ElPKfPKPffEviT1_lS5_lT2_lT0_lPT3_i.kd
    .uniform_work_group_size: 1
    .uses_dynamic_stack: false
    .vgpr_count:     7
    .vgpr_spill_count: 0
    .wavefront_size: 32
    .workgroup_processor_mode: 1
  - .args:
      - .offset:         0
        .size:           4
        .value_kind:     by_value
      - .address_space:  global
        .offset:         8
        .size:           8
        .value_kind:     global_buffer
      - .offset:         16
        .size:           8
        .value_kind:     by_value
      - .address_space:  global
        .offset:         24
        .size:           8
        .value_kind:     global_buffer
      - .offset:         32
        .size:           8
        .value_kind:     by_value
      - .offset:         40
        .size:           4
        .value_kind:     by_value
      - .offset:         48
        .size:           8
        .value_kind:     by_value
      - .address_space:  global
        .offset:         56
        .size:           8
        .value_kind:     global_buffer
      - .offset:         64
        .size:           8
        .value_kind:     by_value
      - .offset:         72
        .size:           4
        .value_kind:     by_value
      - .offset:         80
        .size:           8
        .value_kind:     by_value
      - .address_space:  global
        .offset:         88
        .size:           8
        .value_kind:     global_buffer
      - .offset:         96
        .size:           8
        .value_kind:     by_value
      - .address_space:  global
        .offset:         104
        .size:           8
        .value_kind:     global_buffer
      - .offset:         112
        .size:           4
        .value_kind:     by_value
      - .offset:         120
        .size:           4
        .value_kind:     hidden_block_count_x
      - .offset:         124
        .size:           4
        .value_kind:     hidden_block_count_y
      - .offset:         128
        .size:           4
        .value_kind:     hidden_block_count_z
      - .offset:         132
        .size:           2
        .value_kind:     hidden_group_size_x
      - .offset:         134
        .size:           2
        .value_kind:     hidden_group_size_y
      - .offset:         136
        .size:           2
        .value_kind:     hidden_group_size_z
      - .offset:         138
        .size:           2
        .value_kind:     hidden_remainder_x
      - .offset:         140
        .size:           2
        .value_kind:     hidden_remainder_y
      - .offset:         142
        .size:           2
        .value_kind:     hidden_remainder_z
      - .offset:         160
        .size:           8
        .value_kind:     hidden_global_offset_x
      - .offset:         168
        .size:           8
        .value_kind:     hidden_global_offset_y
      - .offset:         176
        .size:           8
        .value_kind:     hidden_global_offset_z
      - .offset:         184
        .size:           2
        .value_kind:     hidden_grid_dims
    .group_segment_fixed_size: 4800
    .kernarg_segment_align: 8
    .kernarg_segment_size: 376
    .language:       OpenCL C
    .language_version:
      - 2
      - 0
    .max_flat_workgroup_size: 256
    .name:           _ZL26rocblas_hemvn_kernel_upperILb0ELi64ELi4ELi33ELi32ELi16EiPKfPKS1_PfEviT6_lT7_lT5_lS6_lS7_lS5_lT8_i
    .private_segment_fixed_size: 0
    .sgpr_count:     46
    .sgpr_spill_count: 0
    .symbol:         _ZL26rocblas_hemvn_kernel_upperILb0ELi64ELi4ELi33ELi32ELi16EiPKfPKS1_PfEviT6_lT7_lT5_lS6_lS7_lS5_lT8_i.kd
    .uniform_work_group_size: 1
    .uses_dynamic_stack: false
    .vgpr_count:     127
    .vgpr_spill_count: 0
    .wavefront_size: 32
    .workgroup_processor_mode: 1
  - .args:
      - .offset:         0
        .size:           4
        .value_kind:     by_value
      - .address_space:  global
        .offset:         8
        .size:           8
        .value_kind:     global_buffer
      - .offset:         16
        .size:           8
        .value_kind:     by_value
      - .address_space:  global
        .offset:         24
        .size:           8
        .value_kind:     global_buffer
      - .offset:         32
        .size:           8
        .value_kind:     by_value
      - .actual_access:  read_only
        .address_space:  global
        .offset:         40
        .size:           8
        .value_kind:     global_buffer
      - .offset:         48
        .size:           8
        .value_kind:     by_value
      - .offset:         56
        .size:           4
        .value_kind:     by_value
      - .offset:         64
        .size:           8
        .value_kind:     by_value
      - .address_space:  global
        .offset:         72
        .size:           8
        .value_kind:     global_buffer
      - .offset:         80
        .size:           4
        .value_kind:     by_value
      - .offset:         88
        .size:           4
        .value_kind:     hidden_block_count_x
      - .offset:         92
        .size:           4
        .value_kind:     hidden_block_count_y
      - .offset:         96
        .size:           4
        .value_kind:     hidden_block_count_z
      - .offset:         100
        .size:           2
        .value_kind:     hidden_group_size_x
      - .offset:         102
        .size:           2
        .value_kind:     hidden_group_size_y
      - .offset:         104
        .size:           2
        .value_kind:     hidden_group_size_z
      - .offset:         106
        .size:           2
        .value_kind:     hidden_remainder_x
      - .offset:         108
        .size:           2
        .value_kind:     hidden_remainder_y
      - .offset:         110
        .size:           2
        .value_kind:     hidden_remainder_z
      - .offset:         128
        .size:           8
        .value_kind:     hidden_global_offset_x
      - .offset:         136
        .size:           8
        .value_kind:     hidden_global_offset_y
      - .offset:         144
        .size:           8
        .value_kind:     hidden_global_offset_z
      - .offset:         152
        .size:           2
        .value_kind:     hidden_grid_dims
    .group_segment_fixed_size: 0
    .kernarg_segment_align: 8
    .kernarg_segment_size: 344
    .language:       OpenCL C
    .language_version:
      - 2
      - 0
    .max_flat_workgroup_size: 64
    .name:           _ZL36rocblas_hemvn_kernel_upper_block_sumILi64EiPKfPKPffEviT1_lS5_lT2_lT0_lPT3_i
    .private_segment_fixed_size: 0
    .sgpr_count:     22
    .sgpr_spill_count: 0
    .symbol:         _ZL36rocblas_hemvn_kernel_upper_block_sumILi64EiPKfPKPffEviT1_lS5_lT2_lT0_lPT3_i.kd
    .uniform_work_group_size: 1
    .uses_dynamic_stack: false
    .vgpr_count:     6
    .vgpr_spill_count: 0
    .wavefront_size: 32
    .workgroup_processor_mode: 1
  - .args:
      - .offset:         0
        .size:           4
        .value_kind:     by_value
      - .offset:         4
        .size:           4
        .value_kind:     by_value
      - .offset:         8
        .size:           8
        .value_kind:     by_value
      - .address_space:  global
        .offset:         16
        .size:           8
        .value_kind:     global_buffer
      - .offset:         24
        .size:           8
        .value_kind:     by_value
      - .offset:         32
        .size:           8
        .value_kind:     by_value
      - .offset:         40
        .size:           8
        .value_kind:     by_value
      - .address_space:  global
        .offset:         48
        .size:           8
        .value_kind:     global_buffer
      - .offset:         56
        .size:           8
        .value_kind:     by_value
      - .offset:         64
        .size:           8
        .value_kind:     by_value
      - .offset:         72
        .size:           8
        .value_kind:     by_value
      - .offset:         80
        .size:           4
        .value_kind:     by_value
      - .offset:         88
        .size:           8
        .value_kind:     by_value
      - .address_space:  global
        .offset:         96
        .size:           8
        .value_kind:     global_buffer
      - .offset:         104
        .size:           4
        .value_kind:     by_value
      - .offset:         112
        .size:           4
        .value_kind:     hidden_block_count_x
      - .offset:         116
        .size:           4
        .value_kind:     hidden_block_count_y
      - .offset:         120
        .size:           4
        .value_kind:     hidden_block_count_z
      - .offset:         124
        .size:           2
        .value_kind:     hidden_group_size_x
      - .offset:         126
        .size:           2
        .value_kind:     hidden_group_size_y
      - .offset:         128
        .size:           2
        .value_kind:     hidden_group_size_z
      - .offset:         130
        .size:           2
        .value_kind:     hidden_remainder_x
      - .offset:         132
        .size:           2
        .value_kind:     hidden_remainder_y
      - .offset:         134
        .size:           2
        .value_kind:     hidden_remainder_z
      - .offset:         152
        .size:           8
        .value_kind:     hidden_global_offset_x
      - .offset:         160
        .size:           8
        .value_kind:     hidden_global_offset_y
      - .offset:         168
        .size:           8
        .value_kind:     hidden_global_offset_z
      - .offset:         176
        .size:           2
        .value_kind:     hidden_grid_dims
    .group_segment_fixed_size: 4800
    .kernarg_segment_align: 8
    .kernarg_segment_size: 368
    .language:       OpenCL C
    .language_version:
      - 2
      - 0
    .max_flat_workgroup_size: 256
    .name:           _ZL26rocblas_hemvn_kernel_upperILb0ELi64ELi4ELi33ELi32ELi16ElfPKPKfPfEviT6_lT7_lT5_lS6_lS7_lS5_lT8_i
    .private_segment_fixed_size: 0
    .sgpr_count:     34
    .sgpr_spill_count: 0
    .symbol:         _ZL26rocblas_hemvn_kernel_upperILb0ELi64ELi4ELi33ELi32ELi16ElfPKPKfPfEviT6_lT7_lT5_lS6_lS7_lS5_lT8_i.kd
    .uniform_work_group_size: 1
    .uses_dynamic_stack: false
    .vgpr_count:     111
    .vgpr_spill_count: 0
    .wavefront_size: 32
    .workgroup_processor_mode: 1
  - .args:
      - .offset:         0
        .size:           4
        .value_kind:     by_value
      - .offset:         4
        .size:           4
        .value_kind:     by_value
      - .offset:         8
        .size:           8
        .value_kind:     by_value
      - .offset:         16
        .size:           4
        .value_kind:     by_value
      - .offset:         24
        .size:           8
        .value_kind:     by_value
      - .actual_access:  read_only
        .address_space:  global
        .offset:         32
        .size:           8
        .value_kind:     global_buffer
      - .offset:         40
        .size:           8
        .value_kind:     by_value
      - .offset:         48
        .size:           8
        .value_kind:     by_value
      - .offset:         56
        .size:           8
        .value_kind:     by_value
      - .address_space:  global
        .offset:         64
        .size:           8
        .value_kind:     global_buffer
      - .offset:         72
        .size:           4
        .value_kind:     by_value
      - .offset:         80
        .size:           4
        .value_kind:     hidden_block_count_x
      - .offset:         84
        .size:           4
        .value_kind:     hidden_block_count_y
      - .offset:         88
        .size:           4
        .value_kind:     hidden_block_count_z
      - .offset:         92
        .size:           2
        .value_kind:     hidden_group_size_x
      - .offset:         94
        .size:           2
        .value_kind:     hidden_group_size_y
      - .offset:         96
        .size:           2
        .value_kind:     hidden_group_size_z
      - .offset:         98
        .size:           2
        .value_kind:     hidden_remainder_x
      - .offset:         100
        .size:           2
        .value_kind:     hidden_remainder_y
      - .offset:         102
        .size:           2
        .value_kind:     hidden_remainder_z
      - .offset:         120
        .size:           8
        .value_kind:     hidden_global_offset_x
      - .offset:         128
        .size:           8
        .value_kind:     hidden_global_offset_y
      - .offset:         136
        .size:           8
        .value_kind:     hidden_global_offset_z
      - .offset:         144
        .size:           2
        .value_kind:     hidden_grid_dims
    .group_segment_fixed_size: 0
    .kernarg_segment_align: 8
    .kernarg_segment_size: 336
    .language:       OpenCL C
    .language_version:
      - 2
      - 0
    .max_flat_workgroup_size: 64
    .name:           _ZL36rocblas_hemvn_kernel_upper_block_sumILi64ElfPKPffEviT1_lS3_lT2_lT0_lPT3_i
    .private_segment_fixed_size: 0
    .sgpr_count:     20
    .sgpr_spill_count: 0
    .symbol:         _ZL36rocblas_hemvn_kernel_upper_block_sumILi64ElfPKPffEviT1_lS3_lT2_lT0_lPT3_i.kd
    .uniform_work_group_size: 1
    .uses_dynamic_stack: false
    .vgpr_count:     7
    .vgpr_spill_count: 0
    .wavefront_size: 32
    .workgroup_processor_mode: 1
  - .args:
      - .offset:         0
        .size:           4
        .value_kind:     by_value
      - .offset:         4
        .size:           4
        .value_kind:     by_value
      - .offset:         8
        .size:           8
        .value_kind:     by_value
      - .address_space:  global
        .offset:         16
        .size:           8
        .value_kind:     global_buffer
      - .offset:         24
        .size:           8
        .value_kind:     by_value
      - .offset:         32
        .size:           4
        .value_kind:     by_value
      - .offset:         40
        .size:           8
        .value_kind:     by_value
      - .address_space:  global
        .offset:         48
        .size:           8
        .value_kind:     global_buffer
      - .offset:         56
        .size:           8
        .value_kind:     by_value
      - .offset:         64
        .size:           4
        .value_kind:     by_value
      - .offset:         72
        .size:           8
        .value_kind:     by_value
      - .offset:         80
        .size:           4
        .value_kind:     by_value
      - .offset:         88
        .size:           8
        .value_kind:     by_value
      - .address_space:  global
        .offset:         96
        .size:           8
        .value_kind:     global_buffer
      - .offset:         104
        .size:           4
        .value_kind:     by_value
      - .offset:         112
        .size:           4
        .value_kind:     hidden_block_count_x
      - .offset:         116
        .size:           4
        .value_kind:     hidden_block_count_y
      - .offset:         120
        .size:           4
        .value_kind:     hidden_block_count_z
      - .offset:         124
        .size:           2
        .value_kind:     hidden_group_size_x
      - .offset:         126
        .size:           2
        .value_kind:     hidden_group_size_y
      - .offset:         128
        .size:           2
        .value_kind:     hidden_group_size_z
      - .offset:         130
        .size:           2
        .value_kind:     hidden_remainder_x
      - .offset:         132
        .size:           2
        .value_kind:     hidden_remainder_y
      - .offset:         134
        .size:           2
        .value_kind:     hidden_remainder_z
      - .offset:         152
        .size:           8
        .value_kind:     hidden_global_offset_x
      - .offset:         160
        .size:           8
        .value_kind:     hidden_global_offset_y
      - .offset:         168
        .size:           8
        .value_kind:     hidden_global_offset_z
      - .offset:         176
        .size:           2
        .value_kind:     hidden_grid_dims
    .group_segment_fixed_size: 4800
    .kernarg_segment_align: 8
    .kernarg_segment_size: 368
    .language:       OpenCL C
    .language_version:
      - 2
      - 0
    .max_flat_workgroup_size: 256
    .name:           _ZL26rocblas_hemvn_kernel_upperILb0ELi64ELi4ELi33ELi32ELi16EifPKPKfPfEviT6_lT7_lT5_lS6_lS7_lS5_lT8_i
    .private_segment_fixed_size: 0
    .sgpr_count:     46
    .sgpr_spill_count: 0
    .symbol:         _ZL26rocblas_hemvn_kernel_upperILb0ELi64ELi4ELi33ELi32ELi16EifPKPKfPfEviT6_lT7_lT5_lS6_lS7_lS5_lT8_i.kd
    .uniform_work_group_size: 1
    .uses_dynamic_stack: false
    .vgpr_count:     127
    .vgpr_spill_count: 0
    .wavefront_size: 32
    .workgroup_processor_mode: 1
  - .args:
      - .offset:         0
        .size:           4
        .value_kind:     by_value
      - .offset:         4
        .size:           4
        .value_kind:     by_value
      - .offset:         8
        .size:           8
        .value_kind:     by_value
      - .offset:         16
        .size:           4
        .value_kind:     by_value
      - .offset:         24
        .size:           8
        .value_kind:     by_value
      - .actual_access:  read_only
        .address_space:  global
        .offset:         32
        .size:           8
        .value_kind:     global_buffer
      - .offset:         40
        .size:           8
        .value_kind:     by_value
      - .offset:         48
        .size:           4
        .value_kind:     by_value
      - .offset:         56
        .size:           8
        .value_kind:     by_value
      - .address_space:  global
        .offset:         64
        .size:           8
        .value_kind:     global_buffer
      - .offset:         72
        .size:           4
        .value_kind:     by_value
      - .offset:         80
        .size:           4
        .value_kind:     hidden_block_count_x
      - .offset:         84
        .size:           4
        .value_kind:     hidden_block_count_y
      - .offset:         88
        .size:           4
        .value_kind:     hidden_block_count_z
      - .offset:         92
        .size:           2
        .value_kind:     hidden_group_size_x
      - .offset:         94
        .size:           2
        .value_kind:     hidden_group_size_y
      - .offset:         96
        .size:           2
        .value_kind:     hidden_group_size_z
      - .offset:         98
        .size:           2
        .value_kind:     hidden_remainder_x
      - .offset:         100
        .size:           2
        .value_kind:     hidden_remainder_y
      - .offset:         102
        .size:           2
        .value_kind:     hidden_remainder_z
      - .offset:         120
        .size:           8
        .value_kind:     hidden_global_offset_x
      - .offset:         128
        .size:           8
        .value_kind:     hidden_global_offset_y
      - .offset:         136
        .size:           8
        .value_kind:     hidden_global_offset_z
      - .offset:         144
        .size:           2
        .value_kind:     hidden_grid_dims
    .group_segment_fixed_size: 0
    .kernarg_segment_align: 8
    .kernarg_segment_size: 336
    .language:       OpenCL C
    .language_version:
      - 2
      - 0
    .max_flat_workgroup_size: 64
    .name:           _ZL36rocblas_hemvn_kernel_upper_block_sumILi64EifPKPffEviT1_lS3_lT2_lT0_lPT3_i
    .private_segment_fixed_size: 0
    .sgpr_count:     22
    .sgpr_spill_count: 0
    .symbol:         _ZL36rocblas_hemvn_kernel_upper_block_sumILi64EifPKPffEviT1_lS3_lT2_lT0_lPT3_i.kd
    .uniform_work_group_size: 1
    .uses_dynamic_stack: false
    .vgpr_count:     6
    .vgpr_spill_count: 0
    .wavefront_size: 32
    .workgroup_processor_mode: 1
  - .args:
      - .offset:         0
        .size:           1
        .value_kind:     by_value
      - .offset:         4
        .size:           4
        .value_kind:     by_value
      - .offset:         8
        .size:           8
        .value_kind:     by_value
      - .offset:         16
        .size:           8
        .value_kind:     by_value
      - .address_space:  global
        .offset:         24
        .size:           8
        .value_kind:     global_buffer
      - .offset:         32
        .size:           8
        .value_kind:     by_value
      - .offset:         40
        .size:           8
        .value_kind:     by_value
      - .offset:         48
        .size:           8
        .value_kind:     by_value
      - .address_space:  global
        .offset:         56
        .size:           8
        .value_kind:     global_buffer
      - .offset:         64
        .size:           8
        .value_kind:     by_value
      - .offset:         72
        .size:           8
        .value_kind:     by_value
      - .offset:         80
        .size:           8
        .value_kind:     by_value
      - .offset:         88
        .size:           8
        .value_kind:     by_value
      - .offset:         96
        .size:           8
        .value_kind:     by_value
      - .actual_access:  read_only
        .address_space:  global
        .offset:         104
        .size:           8
        .value_kind:     global_buffer
      - .offset:         112
        .size:           8
        .value_kind:     by_value
      - .offset:         120
        .size:           8
        .value_kind:     by_value
      - .offset:         128
        .size:           8
        .value_kind:     by_value
      - .offset:         136
        .size:           4
        .value_kind:     by_value
    .group_segment_fixed_size: 5248
    .kernarg_segment_align: 8
    .kernarg_segment_size: 140
    .language:       OpenCL C
    .language_version:
      - 2
      - 0
    .max_flat_workgroup_size: 128
    .name:           _ZL50rocblas_symv_kernel_lower_double_buffered_diagonalILi32ELi4E24rocblas_internal_val_ptrIfEPKPKfPKPfEvbiT1_lT2_lllSA_lllS9_lT3_llli
    .private_segment_fixed_size: 0
    .sgpr_count:     27
    .sgpr_spill_count: 0
    .symbol:         _ZL50rocblas_symv_kernel_lower_double_buffered_diagonalILi32ELi4E24rocblas_internal_val_ptrIfEPKPKfPKPfEvbiT1_lT2_lllSA_lllS9_lT3_llli.kd
    .uniform_work_group_size: 1
    .uses_dynamic_stack: false
    .vgpr_count:     20
    .vgpr_spill_count: 0
    .wavefront_size: 32
    .workgroup_processor_mode: 1
  - .args:
      - .offset:         0
        .size:           1
        .value_kind:     by_value
      - .offset:         4
        .size:           4
        .value_kind:     by_value
      - .offset:         8
        .size:           8
        .value_kind:     by_value
      - .offset:         16
        .size:           8
        .value_kind:     by_value
      - .address_space:  global
        .offset:         24
        .size:           8
        .value_kind:     global_buffer
      - .offset:         32
        .size:           8
        .value_kind:     by_value
      - .offset:         40
        .size:           8
        .value_kind:     by_value
      - .offset:         48
        .size:           8
        .value_kind:     by_value
      - .address_space:  global
        .offset:         56
        .size:           8
        .value_kind:     global_buffer
      - .offset:         64
        .size:           8
        .value_kind:     by_value
      - .offset:         72
        .size:           8
        .value_kind:     by_value
      - .offset:         80
        .size:           8
        .value_kind:     by_value
      - .actual_access:  read_only
        .address_space:  global
        .offset:         88
        .size:           8
        .value_kind:     global_buffer
      - .offset:         96
        .size:           8
        .value_kind:     by_value
      - .offset:         104
        .size:           8
        .value_kind:     by_value
      - .offset:         112
        .size:           8
        .value_kind:     by_value
      - .offset:         120
        .size:           4
        .value_kind:     by_value
      - .offset:         128
        .size:           4
        .value_kind:     hidden_block_count_x
      - .offset:         132
        .size:           4
        .value_kind:     hidden_block_count_y
      - .offset:         136
        .size:           4
        .value_kind:     hidden_block_count_z
      - .offset:         140
        .size:           2
        .value_kind:     hidden_group_size_x
      - .offset:         142
        .size:           2
        .value_kind:     hidden_group_size_y
      - .offset:         144
        .size:           2
        .value_kind:     hidden_group_size_z
      - .offset:         146
        .size:           2
        .value_kind:     hidden_remainder_x
      - .offset:         148
        .size:           2
        .value_kind:     hidden_remainder_y
      - .offset:         150
        .size:           2
        .value_kind:     hidden_remainder_z
      - .offset:         168
        .size:           8
        .value_kind:     hidden_global_offset_x
      - .offset:         176
        .size:           8
        .value_kind:     hidden_global_offset_y
      - .offset:         184
        .size:           8
        .value_kind:     hidden_global_offset_z
      - .offset:         192
        .size:           2
        .value_kind:     hidden_grid_dims
    .group_segment_fixed_size: 3200
    .kernarg_segment_align: 8
    .kernarg_segment_size: 384
    .language:       OpenCL C
    .language_version:
      - 2
      - 0
    .max_flat_workgroup_size: 128
    .name:           _ZL54rocblas_symv_kernel_lower_double_buffered_non_diagonalILi32ELi4ELi4E24rocblas_internal_val_ptrIfEPKPKfPKPfEvbiT2_lT3_lllSA_lllT4_llli
    .private_segment_fixed_size: 0
    .sgpr_count:     30
    .sgpr_spill_count: 0
    .symbol:         _ZL54rocblas_symv_kernel_lower_double_buffered_non_diagonalILi32ELi4ELi4E24rocblas_internal_val_ptrIfEPKPKfPKPfEvbiT2_lT3_lllSA_lllT4_llli.kd
    .uniform_work_group_size: 1
    .uses_dynamic_stack: false
    .vgpr_count:     44
    .vgpr_spill_count: 0
    .wavefront_size: 32
    .workgroup_processor_mode: 1
  - .args:
      - .offset:         0
        .size:           1
        .value_kind:     by_value
      - .offset:         4
        .size:           4
        .value_kind:     by_value
      - .offset:         8
        .size:           8
        .value_kind:     by_value
      - .offset:         16
        .size:           8
        .value_kind:     by_value
      - .address_space:  global
        .offset:         24
        .size:           8
        .value_kind:     global_buffer
      - .offset:         32
        .size:           8
        .value_kind:     by_value
      - .offset:         40
        .size:           8
        .value_kind:     by_value
      - .offset:         48
        .size:           8
        .value_kind:     by_value
      - .address_space:  global
        .offset:         56
        .size:           8
        .value_kind:     global_buffer
      - .offset:         64
        .size:           8
        .value_kind:     by_value
      - .offset:         72
        .size:           8
        .value_kind:     by_value
      - .offset:         80
        .size:           8
        .value_kind:     by_value
      - .offset:         88
        .size:           8
        .value_kind:     by_value
      - .offset:         96
        .size:           8
        .value_kind:     by_value
      - .actual_access:  read_only
        .address_space:  global
        .offset:         104
        .size:           8
        .value_kind:     global_buffer
      - .offset:         112
        .size:           8
        .value_kind:     by_value
      - .offset:         120
        .size:           8
        .value_kind:     by_value
      - .offset:         128
        .size:           8
        .value_kind:     by_value
      - .offset:         136
        .size:           4
        .value_kind:     by_value
      - .offset:         140
        .size:           4
        .value_kind:     by_value
      - .offset:         144
        .size:           4
        .value_kind:     hidden_block_count_x
      - .offset:         148
        .size:           4
        .value_kind:     hidden_block_count_y
      - .offset:         152
        .size:           4
        .value_kind:     hidden_block_count_z
      - .offset:         156
        .size:           2
        .value_kind:     hidden_group_size_x
      - .offset:         158
        .size:           2
        .value_kind:     hidden_group_size_y
      - .offset:         160
        .size:           2
        .value_kind:     hidden_group_size_z
      - .offset:         162
        .size:           2
        .value_kind:     hidden_remainder_x
      - .offset:         164
        .size:           2
        .value_kind:     hidden_remainder_y
      - .offset:         166
        .size:           2
        .value_kind:     hidden_remainder_z
      - .offset:         184
        .size:           8
        .value_kind:     hidden_global_offset_x
      - .offset:         192
        .size:           8
        .value_kind:     hidden_global_offset_y
      - .offset:         200
        .size:           8
        .value_kind:     hidden_global_offset_z
      - .offset:         208
        .size:           2
        .value_kind:     hidden_grid_dims
    .group_segment_fixed_size: 5248
    .kernarg_segment_align: 8
    .kernarg_segment_size: 400
    .language:       OpenCL C
    .language_version:
      - 2
      - 0
    .max_flat_workgroup_size: 128
    .name:           _ZL58rocblas_symv_kernel_lower_double_buffered_diagonal_genericILi32ELi4E24rocblas_internal_val_ptrIfEPKPKfPKPfEvbiT1_lT2_lllSA_lllS9_lT3_lllii
    .private_segment_fixed_size: 0
    .sgpr_count:     29
    .sgpr_spill_count: 0
    .symbol:         _ZL58rocblas_symv_kernel_lower_double_buffered_diagonal_genericILi32ELi4E24rocblas_internal_val_ptrIfEPKPKfPKPfEvbiT1_lT2_lllSA_lllS9_lT3_lllii.kd
    .uniform_work_group_size: 1
    .uses_dynamic_stack: false
    .vgpr_count:     25
    .vgpr_spill_count: 0
    .wavefront_size: 32
    .workgroup_processor_mode: 1
  - .args:
      - .offset:         0
        .size:           1
        .value_kind:     by_value
      - .offset:         4
        .size:           4
        .value_kind:     by_value
      - .offset:         8
        .size:           8
        .value_kind:     by_value
      - .offset:         16
        .size:           8
        .value_kind:     by_value
      - .address_space:  global
        .offset:         24
        .size:           8
        .value_kind:     global_buffer
      - .offset:         32
        .size:           8
        .value_kind:     by_value
      - .offset:         40
        .size:           8
        .value_kind:     by_value
      - .offset:         48
        .size:           8
        .value_kind:     by_value
      - .address_space:  global
        .offset:         56
        .size:           8
        .value_kind:     global_buffer
      - .offset:         64
        .size:           8
        .value_kind:     by_value
      - .offset:         72
        .size:           8
        .value_kind:     by_value
      - .offset:         80
        .size:           8
        .value_kind:     by_value
      - .actual_access:  read_only
        .address_space:  global
        .offset:         88
        .size:           8
        .value_kind:     global_buffer
      - .offset:         96
        .size:           8
        .value_kind:     by_value
      - .offset:         104
        .size:           8
        .value_kind:     by_value
      - .offset:         112
        .size:           8
        .value_kind:     by_value
      - .offset:         120
        .size:           4
        .value_kind:     by_value
      - .offset:         124
        .size:           4
        .value_kind:     by_value
      - .offset:         128
        .size:           4
        .value_kind:     hidden_block_count_x
      - .offset:         132
        .size:           4
        .value_kind:     hidden_block_count_y
      - .offset:         136
        .size:           4
        .value_kind:     hidden_block_count_z
      - .offset:         140
        .size:           2
        .value_kind:     hidden_group_size_x
      - .offset:         142
        .size:           2
        .value_kind:     hidden_group_size_y
      - .offset:         144
        .size:           2
        .value_kind:     hidden_group_size_z
      - .offset:         146
        .size:           2
        .value_kind:     hidden_remainder_x
      - .offset:         148
        .size:           2
        .value_kind:     hidden_remainder_y
      - .offset:         150
        .size:           2
        .value_kind:     hidden_remainder_z
      - .offset:         168
        .size:           8
        .value_kind:     hidden_global_offset_x
      - .offset:         176
        .size:           8
        .value_kind:     hidden_global_offset_y
      - .offset:         184
        .size:           8
        .value_kind:     hidden_global_offset_z
      - .offset:         192
        .size:           2
        .value_kind:     hidden_grid_dims
    .group_segment_fixed_size: 3200
    .kernarg_segment_align: 8
    .kernarg_segment_size: 384
    .language:       OpenCL C
    .language_version:
      - 2
      - 0
    .max_flat_workgroup_size: 128
    .name:           _ZL62rocblas_symv_kernel_lower_double_buffered_non_diagonal_genericILi32ELi4ELi4E24rocblas_internal_val_ptrIfEPKPKfPKPfEvbiT2_lT3_lllSA_lllT4_lllii
    .private_segment_fixed_size: 0
    .sgpr_count:     40
    .sgpr_spill_count: 0
    .symbol:         _ZL62rocblas_symv_kernel_lower_double_buffered_non_diagonal_genericILi32ELi4ELi4E24rocblas_internal_val_ptrIfEPKPKfPKPfEvbiT2_lT3_lllSA_lllT4_lllii.kd
    .uniform_work_group_size: 1
    .uses_dynamic_stack: false
    .vgpr_count:     54
    .vgpr_spill_count: 0
    .wavefront_size: 32
    .workgroup_processor_mode: 1
  - .args:
      - .offset:         0
        .size:           4
        .value_kind:     by_value
      - .address_space:  global
        .offset:         8
        .size:           8
        .value_kind:     global_buffer
      - .offset:         16
        .size:           8
        .value_kind:     by_value
      - .address_space:  global
        .offset:         24
        .size:           8
        .value_kind:     global_buffer
      - .offset:         32
        .size:           8
        .value_kind:     by_value
      - .offset:         40
        .size:           8
        .value_kind:     by_value
      - .offset:         48
        .size:           8
        .value_kind:     by_value
      - .address_space:  global
        .offset:         56
        .size:           8
        .value_kind:     global_buffer
      - .offset:         64
        .size:           8
        .value_kind:     by_value
      - .offset:         72
        .size:           8
        .value_kind:     by_value
      - .offset:         80
        .size:           8
        .value_kind:     by_value
      - .address_space:  global
        .offset:         88
        .size:           8
        .value_kind:     global_buffer
      - .offset:         96
        .size:           8
        .value_kind:     by_value
      - .address_space:  global
        .offset:         104
        .size:           8
        .value_kind:     global_buffer
      - .offset:         112
        .size:           4
        .value_kind:     by_value
      - .offset:         120
        .size:           4
        .value_kind:     hidden_block_count_x
      - .offset:         124
        .size:           4
        .value_kind:     hidden_block_count_y
      - .offset:         128
        .size:           4
        .value_kind:     hidden_block_count_z
      - .offset:         132
        .size:           2
        .value_kind:     hidden_group_size_x
      - .offset:         134
        .size:           2
        .value_kind:     hidden_group_size_y
      - .offset:         136
        .size:           2
        .value_kind:     hidden_group_size_z
      - .offset:         138
        .size:           2
        .value_kind:     hidden_remainder_x
      - .offset:         140
        .size:           2
        .value_kind:     hidden_remainder_y
      - .offset:         142
        .size:           2
        .value_kind:     hidden_remainder_z
      - .offset:         160
        .size:           8
        .value_kind:     hidden_global_offset_x
      - .offset:         168
        .size:           8
        .value_kind:     hidden_global_offset_y
      - .offset:         176
        .size:           8
        .value_kind:     hidden_global_offset_z
      - .offset:         184
        .size:           2
        .value_kind:     hidden_grid_dims
    .group_segment_fixed_size: 4800
    .kernarg_segment_align: 8
    .kernarg_segment_size: 376
    .language:       OpenCL C
    .language_version:
      - 2
      - 0
    .max_flat_workgroup_size: 256
    .name:           _ZL26rocblas_hemvn_kernel_lowerILb0ELi64ELi4ELi33ELi32ELi16ElPKfPKS1_PfEviT6_lT7_lT5_lS6_lS7_lS5_lT8_i
    .private_segment_fixed_size: 0
    .sgpr_count:     48
    .sgpr_spill_count: 0
    .symbol:         _ZL26rocblas_hemvn_kernel_lowerILb0ELi64ELi4ELi33ELi32ELi16ElPKfPKS1_PfEviT6_lT7_lT5_lS6_lS7_lS5_lT8_i.kd
    .uniform_work_group_size: 1
    .uses_dynamic_stack: false
    .vgpr_count:     68
    .vgpr_spill_count: 0
    .wavefront_size: 32
    .workgroup_processor_mode: 1
  - .args:
      - .offset:         0
        .size:           4
        .value_kind:     by_value
      - .address_space:  global
        .offset:         8
        .size:           8
        .value_kind:     global_buffer
      - .offset:         16
        .size:           8
        .value_kind:     by_value
      - .address_space:  global
        .offset:         24
        .size:           8
        .value_kind:     global_buffer
      - .offset:         32
        .size:           8
        .value_kind:     by_value
      - .actual_access:  read_only
        .address_space:  global
        .offset:         40
        .size:           8
        .value_kind:     global_buffer
      - .offset:         48
        .size:           8
        .value_kind:     by_value
      - .offset:         56
        .size:           8
        .value_kind:     by_value
      - .offset:         64
        .size:           8
        .value_kind:     by_value
      - .actual_access:  read_only
        .address_space:  global
        .offset:         72
        .size:           8
        .value_kind:     global_buffer
      - .offset:         80
        .size:           4
        .value_kind:     by_value
      - .offset:         88
        .size:           4
        .value_kind:     hidden_block_count_x
      - .offset:         92
        .size:           4
        .value_kind:     hidden_block_count_y
      - .offset:         96
        .size:           4
        .value_kind:     hidden_block_count_z
      - .offset:         100
        .size:           2
        .value_kind:     hidden_group_size_x
      - .offset:         102
        .size:           2
        .value_kind:     hidden_group_size_y
      - .offset:         104
        .size:           2
        .value_kind:     hidden_group_size_z
      - .offset:         106
        .size:           2
        .value_kind:     hidden_remainder_x
      - .offset:         108
        .size:           2
        .value_kind:     hidden_remainder_y
      - .offset:         110
        .size:           2
        .value_kind:     hidden_remainder_z
      - .offset:         128
        .size:           8
        .value_kind:     hidden_global_offset_x
      - .offset:         136
        .size:           8
        .value_kind:     hidden_global_offset_y
      - .offset:         144
        .size:           8
        .value_kind:     hidden_global_offset_z
      - .offset:         152
        .size:           2
        .value_kind:     hidden_grid_dims
    .group_segment_fixed_size: 0
    .kernarg_segment_align: 8
    .kernarg_segment_size: 344
    .language:       OpenCL C
    .language_version:
      - 2
      - 0
    .max_flat_workgroup_size: 64
    .name:           _ZL36rocblas_hemvn_kernel_lower_block_sumILi64ElPKfPKPffEviT1_lS5_lT2_lT0_lPT3_i
    .private_segment_fixed_size: 0
    .sgpr_count:     22
    .sgpr_spill_count: 0
    .symbol:         _ZL36rocblas_hemvn_kernel_lower_block_sumILi64ElPKfPKPffEviT1_lS5_lT2_lT0_lPT3_i.kd
    .uniform_work_group_size: 1
    .uses_dynamic_stack: false
    .vgpr_count:     7
    .vgpr_spill_count: 0
    .wavefront_size: 32
    .workgroup_processor_mode: 1
  - .args:
      - .offset:         0
        .size:           4
        .value_kind:     by_value
      - .address_space:  global
        .offset:         8
        .size:           8
        .value_kind:     global_buffer
      - .offset:         16
        .size:           8
        .value_kind:     by_value
      - .address_space:  global
        .offset:         24
        .size:           8
        .value_kind:     global_buffer
      - .offset:         32
        .size:           8
        .value_kind:     by_value
      - .offset:         40
        .size:           4
        .value_kind:     by_value
      - .offset:         48
        .size:           8
        .value_kind:     by_value
      - .address_space:  global
        .offset:         56
        .size:           8
        .value_kind:     global_buffer
      - .offset:         64
        .size:           8
        .value_kind:     by_value
      - .offset:         72
        .size:           4
        .value_kind:     by_value
      - .offset:         80
        .size:           8
        .value_kind:     by_value
      - .address_space:  global
        .offset:         88
        .size:           8
        .value_kind:     global_buffer
      - .offset:         96
        .size:           8
        .value_kind:     by_value
      - .address_space:  global
        .offset:         104
        .size:           8
        .value_kind:     global_buffer
      - .offset:         112
        .size:           4
        .value_kind:     by_value
      - .offset:         120
        .size:           4
        .value_kind:     hidden_block_count_x
      - .offset:         124
        .size:           4
        .value_kind:     hidden_block_count_y
      - .offset:         128
        .size:           4
        .value_kind:     hidden_block_count_z
      - .offset:         132
        .size:           2
        .value_kind:     hidden_group_size_x
      - .offset:         134
        .size:           2
        .value_kind:     hidden_group_size_y
      - .offset:         136
        .size:           2
        .value_kind:     hidden_group_size_z
      - .offset:         138
        .size:           2
        .value_kind:     hidden_remainder_x
      - .offset:         140
        .size:           2
        .value_kind:     hidden_remainder_y
      - .offset:         142
        .size:           2
        .value_kind:     hidden_remainder_z
      - .offset:         160
        .size:           8
        .value_kind:     hidden_global_offset_x
      - .offset:         168
        .size:           8
        .value_kind:     hidden_global_offset_y
      - .offset:         176
        .size:           8
        .value_kind:     hidden_global_offset_z
      - .offset:         184
        .size:           2
        .value_kind:     hidden_grid_dims
    .group_segment_fixed_size: 4800
    .kernarg_segment_align: 8
    .kernarg_segment_size: 376
    .language:       OpenCL C
    .language_version:
      - 2
      - 0
    .max_flat_workgroup_size: 256
    .name:           _ZL26rocblas_hemvn_kernel_lowerILb0ELi64ELi4ELi33ELi32ELi16EiPKfPKS1_PfEviT6_lT7_lT5_lS6_lS7_lS5_lT8_i
    .private_segment_fixed_size: 0
    .sgpr_count:     48
    .sgpr_spill_count: 0
    .symbol:         _ZL26rocblas_hemvn_kernel_lowerILb0ELi64ELi4ELi33ELi32ELi16EiPKfPKS1_PfEviT6_lT7_lT5_lS6_lS7_lS5_lT8_i.kd
    .uniform_work_group_size: 1
    .uses_dynamic_stack: false
    .vgpr_count:     66
    .vgpr_spill_count: 0
    .wavefront_size: 32
    .workgroup_processor_mode: 1
  - .args:
      - .offset:         0
        .size:           4
        .value_kind:     by_value
      - .address_space:  global
        .offset:         8
        .size:           8
        .value_kind:     global_buffer
      - .offset:         16
        .size:           8
        .value_kind:     by_value
      - .address_space:  global
        .offset:         24
        .size:           8
        .value_kind:     global_buffer
      - .offset:         32
        .size:           8
        .value_kind:     by_value
      - .actual_access:  read_only
        .address_space:  global
        .offset:         40
        .size:           8
        .value_kind:     global_buffer
      - .offset:         48
        .size:           8
        .value_kind:     by_value
      - .offset:         56
        .size:           4
        .value_kind:     by_value
      - .offset:         64
        .size:           8
        .value_kind:     by_value
      - .actual_access:  read_only
        .address_space:  global
        .offset:         72
        .size:           8
        .value_kind:     global_buffer
      - .offset:         80
        .size:           4
        .value_kind:     by_value
      - .offset:         88
        .size:           4
        .value_kind:     hidden_block_count_x
      - .offset:         92
        .size:           4
        .value_kind:     hidden_block_count_y
      - .offset:         96
        .size:           4
        .value_kind:     hidden_block_count_z
      - .offset:         100
        .size:           2
        .value_kind:     hidden_group_size_x
      - .offset:         102
        .size:           2
        .value_kind:     hidden_group_size_y
      - .offset:         104
        .size:           2
        .value_kind:     hidden_group_size_z
      - .offset:         106
        .size:           2
        .value_kind:     hidden_remainder_x
      - .offset:         108
        .size:           2
        .value_kind:     hidden_remainder_y
      - .offset:         110
        .size:           2
        .value_kind:     hidden_remainder_z
      - .offset:         128
        .size:           8
        .value_kind:     hidden_global_offset_x
      - .offset:         136
        .size:           8
        .value_kind:     hidden_global_offset_y
      - .offset:         144
        .size:           8
        .value_kind:     hidden_global_offset_z
      - .offset:         152
        .size:           2
        .value_kind:     hidden_grid_dims
    .group_segment_fixed_size: 0
    .kernarg_segment_align: 8
    .kernarg_segment_size: 344
    .language:       OpenCL C
    .language_version:
      - 2
      - 0
    .max_flat_workgroup_size: 64
    .name:           _ZL36rocblas_hemvn_kernel_lower_block_sumILi64EiPKfPKPffEviT1_lS5_lT2_lT0_lPT3_i
    .private_segment_fixed_size: 0
    .sgpr_count:     22
    .sgpr_spill_count: 0
    .symbol:         _ZL36rocblas_hemvn_kernel_lower_block_sumILi64EiPKfPKPffEviT1_lS5_lT2_lT0_lPT3_i.kd
    .uniform_work_group_size: 1
    .uses_dynamic_stack: false
    .vgpr_count:     7
    .vgpr_spill_count: 0
    .wavefront_size: 32
    .workgroup_processor_mode: 1
  - .args:
      - .offset:         0
        .size:           4
        .value_kind:     by_value
      - .offset:         4
        .size:           4
        .value_kind:     by_value
      - .offset:         8
        .size:           8
        .value_kind:     by_value
      - .address_space:  global
        .offset:         16
        .size:           8
        .value_kind:     global_buffer
      - .offset:         24
        .size:           8
        .value_kind:     by_value
      - .offset:         32
        .size:           8
        .value_kind:     by_value
      - .offset:         40
        .size:           8
        .value_kind:     by_value
      - .address_space:  global
        .offset:         48
        .size:           8
        .value_kind:     global_buffer
      - .offset:         56
        .size:           8
        .value_kind:     by_value
      - .offset:         64
        .size:           8
        .value_kind:     by_value
      - .offset:         72
        .size:           8
        .value_kind:     by_value
      - .offset:         80
        .size:           4
        .value_kind:     by_value
      - .offset:         88
        .size:           8
        .value_kind:     by_value
      - .address_space:  global
        .offset:         96
        .size:           8
        .value_kind:     global_buffer
      - .offset:         104
        .size:           4
        .value_kind:     by_value
      - .offset:         112
        .size:           4
        .value_kind:     hidden_block_count_x
      - .offset:         116
        .size:           4
        .value_kind:     hidden_block_count_y
      - .offset:         120
        .size:           4
        .value_kind:     hidden_block_count_z
      - .offset:         124
        .size:           2
        .value_kind:     hidden_group_size_x
      - .offset:         126
        .size:           2
        .value_kind:     hidden_group_size_y
      - .offset:         128
        .size:           2
        .value_kind:     hidden_group_size_z
      - .offset:         130
        .size:           2
        .value_kind:     hidden_remainder_x
      - .offset:         132
        .size:           2
        .value_kind:     hidden_remainder_y
      - .offset:         134
        .size:           2
        .value_kind:     hidden_remainder_z
      - .offset:         152
        .size:           8
        .value_kind:     hidden_global_offset_x
      - .offset:         160
        .size:           8
        .value_kind:     hidden_global_offset_y
      - .offset:         168
        .size:           8
        .value_kind:     hidden_global_offset_z
      - .offset:         176
        .size:           2
        .value_kind:     hidden_grid_dims
    .group_segment_fixed_size: 4800
    .kernarg_segment_align: 8
    .kernarg_segment_size: 368
    .language:       OpenCL C
    .language_version:
      - 2
      - 0
    .max_flat_workgroup_size: 256
    .name:           _ZL26rocblas_hemvn_kernel_lowerILb0ELi64ELi4ELi33ELi32ELi16ElfPKPKfPfEviT6_lT7_lT5_lS6_lS7_lS5_lT8_i
    .private_segment_fixed_size: 0
    .sgpr_count:     48
    .sgpr_spill_count: 0
    .symbol:         _ZL26rocblas_hemvn_kernel_lowerILb0ELi64ELi4ELi33ELi32ELi16ElfPKPKfPfEviT6_lT7_lT5_lS6_lS7_lS5_lT8_i.kd
    .uniform_work_group_size: 1
    .uses_dynamic_stack: false
    .vgpr_count:     68
    .vgpr_spill_count: 0
    .wavefront_size: 32
    .workgroup_processor_mode: 1
  - .args:
      - .offset:         0
        .size:           4
        .value_kind:     by_value
      - .offset:         4
        .size:           4
        .value_kind:     by_value
      - .offset:         8
        .size:           8
        .value_kind:     by_value
      - .offset:         16
        .size:           4
        .value_kind:     by_value
      - .offset:         24
        .size:           8
        .value_kind:     by_value
      - .actual_access:  read_only
        .address_space:  global
        .offset:         32
        .size:           8
        .value_kind:     global_buffer
      - .offset:         40
        .size:           8
        .value_kind:     by_value
      - .offset:         48
        .size:           8
        .value_kind:     by_value
      - .offset:         56
        .size:           8
        .value_kind:     by_value
      - .actual_access:  read_only
        .address_space:  global
        .offset:         64
        .size:           8
        .value_kind:     global_buffer
      - .offset:         72
        .size:           4
        .value_kind:     by_value
      - .offset:         80
        .size:           4
        .value_kind:     hidden_block_count_x
      - .offset:         84
        .size:           4
        .value_kind:     hidden_block_count_y
      - .offset:         88
        .size:           4
        .value_kind:     hidden_block_count_z
      - .offset:         92
        .size:           2
        .value_kind:     hidden_group_size_x
      - .offset:         94
        .size:           2
        .value_kind:     hidden_group_size_y
      - .offset:         96
        .size:           2
        .value_kind:     hidden_group_size_z
      - .offset:         98
        .size:           2
        .value_kind:     hidden_remainder_x
      - .offset:         100
        .size:           2
        .value_kind:     hidden_remainder_y
      - .offset:         102
        .size:           2
        .value_kind:     hidden_remainder_z
      - .offset:         120
        .size:           8
        .value_kind:     hidden_global_offset_x
      - .offset:         128
        .size:           8
        .value_kind:     hidden_global_offset_y
      - .offset:         136
        .size:           8
        .value_kind:     hidden_global_offset_z
      - .offset:         144
        .size:           2
        .value_kind:     hidden_grid_dims
    .group_segment_fixed_size: 0
    .kernarg_segment_align: 8
    .kernarg_segment_size: 336
    .language:       OpenCL C
    .language_version:
      - 2
      - 0
    .max_flat_workgroup_size: 64
    .name:           _ZL36rocblas_hemvn_kernel_lower_block_sumILi64ElfPKPffEviT1_lS3_lT2_lT0_lPT3_i
    .private_segment_fixed_size: 0
    .sgpr_count:     20
    .sgpr_spill_count: 0
    .symbol:         _ZL36rocblas_hemvn_kernel_lower_block_sumILi64ElfPKPffEviT1_lS3_lT2_lT0_lPT3_i.kd
    .uniform_work_group_size: 1
    .uses_dynamic_stack: false
    .vgpr_count:     7
    .vgpr_spill_count: 0
    .wavefront_size: 32
    .workgroup_processor_mode: 1
  - .args:
      - .offset:         0
        .size:           4
        .value_kind:     by_value
      - .offset:         4
        .size:           4
        .value_kind:     by_value
      - .offset:         8
        .size:           8
        .value_kind:     by_value
      - .address_space:  global
        .offset:         16
        .size:           8
        .value_kind:     global_buffer
      - .offset:         24
        .size:           8
        .value_kind:     by_value
      - .offset:         32
        .size:           4
        .value_kind:     by_value
      - .offset:         40
        .size:           8
        .value_kind:     by_value
      - .address_space:  global
        .offset:         48
        .size:           8
        .value_kind:     global_buffer
      - .offset:         56
        .size:           8
        .value_kind:     by_value
      - .offset:         64
        .size:           4
        .value_kind:     by_value
      - .offset:         72
        .size:           8
        .value_kind:     by_value
      - .offset:         80
        .size:           4
        .value_kind:     by_value
      - .offset:         88
        .size:           8
        .value_kind:     by_value
      - .address_space:  global
        .offset:         96
        .size:           8
        .value_kind:     global_buffer
      - .offset:         104
        .size:           4
        .value_kind:     by_value
      - .offset:         112
        .size:           4
        .value_kind:     hidden_block_count_x
      - .offset:         116
        .size:           4
        .value_kind:     hidden_block_count_y
      - .offset:         120
        .size:           4
        .value_kind:     hidden_block_count_z
      - .offset:         124
        .size:           2
        .value_kind:     hidden_group_size_x
      - .offset:         126
        .size:           2
        .value_kind:     hidden_group_size_y
      - .offset:         128
        .size:           2
        .value_kind:     hidden_group_size_z
      - .offset:         130
        .size:           2
        .value_kind:     hidden_remainder_x
      - .offset:         132
        .size:           2
        .value_kind:     hidden_remainder_y
      - .offset:         134
        .size:           2
        .value_kind:     hidden_remainder_z
      - .offset:         152
        .size:           8
        .value_kind:     hidden_global_offset_x
      - .offset:         160
        .size:           8
        .value_kind:     hidden_global_offset_y
      - .offset:         168
        .size:           8
        .value_kind:     hidden_global_offset_z
      - .offset:         176
        .size:           2
        .value_kind:     hidden_grid_dims
    .group_segment_fixed_size: 4800
    .kernarg_segment_align: 8
    .kernarg_segment_size: 368
    .language:       OpenCL C
    .language_version:
      - 2
      - 0
    .max_flat_workgroup_size: 256
    .name:           _ZL26rocblas_hemvn_kernel_lowerILb0ELi64ELi4ELi33ELi32ELi16EifPKPKfPfEviT6_lT7_lT5_lS6_lS7_lS5_lT8_i
    .private_segment_fixed_size: 0
    .sgpr_count:     48
    .sgpr_spill_count: 0
    .symbol:         _ZL26rocblas_hemvn_kernel_lowerILb0ELi64ELi4ELi33ELi32ELi16EifPKPKfPfEviT6_lT7_lT5_lS6_lS7_lS5_lT8_i.kd
    .uniform_work_group_size: 1
    .uses_dynamic_stack: false
    .vgpr_count:     66
    .vgpr_spill_count: 0
    .wavefront_size: 32
    .workgroup_processor_mode: 1
  - .args:
      - .offset:         0
        .size:           4
        .value_kind:     by_value
      - .offset:         4
        .size:           4
        .value_kind:     by_value
      - .offset:         8
        .size:           8
        .value_kind:     by_value
      - .offset:         16
        .size:           4
        .value_kind:     by_value
      - .offset:         24
        .size:           8
        .value_kind:     by_value
      - .actual_access:  read_only
        .address_space:  global
        .offset:         32
        .size:           8
        .value_kind:     global_buffer
      - .offset:         40
        .size:           8
        .value_kind:     by_value
      - .offset:         48
        .size:           4
        .value_kind:     by_value
      - .offset:         56
        .size:           8
        .value_kind:     by_value
      - .actual_access:  read_only
        .address_space:  global
        .offset:         64
        .size:           8
        .value_kind:     global_buffer
      - .offset:         72
        .size:           4
        .value_kind:     by_value
      - .offset:         80
        .size:           4
        .value_kind:     hidden_block_count_x
      - .offset:         84
        .size:           4
        .value_kind:     hidden_block_count_y
      - .offset:         88
        .size:           4
        .value_kind:     hidden_block_count_z
      - .offset:         92
        .size:           2
        .value_kind:     hidden_group_size_x
      - .offset:         94
        .size:           2
        .value_kind:     hidden_group_size_y
      - .offset:         96
        .size:           2
        .value_kind:     hidden_group_size_z
      - .offset:         98
        .size:           2
        .value_kind:     hidden_remainder_x
      - .offset:         100
        .size:           2
        .value_kind:     hidden_remainder_y
      - .offset:         102
        .size:           2
        .value_kind:     hidden_remainder_z
      - .offset:         120
        .size:           8
        .value_kind:     hidden_global_offset_x
      - .offset:         128
        .size:           8
        .value_kind:     hidden_global_offset_y
      - .offset:         136
        .size:           8
        .value_kind:     hidden_global_offset_z
      - .offset:         144
        .size:           2
        .value_kind:     hidden_grid_dims
    .group_segment_fixed_size: 0
    .kernarg_segment_align: 8
    .kernarg_segment_size: 336
    .language:       OpenCL C
    .language_version:
      - 2
      - 0
    .max_flat_workgroup_size: 64
    .name:           _ZL36rocblas_hemvn_kernel_lower_block_sumILi64EifPKPffEviT1_lS3_lT2_lT0_lPT3_i
    .private_segment_fixed_size: 0
    .sgpr_count:     22
    .sgpr_spill_count: 0
    .symbol:         _ZL36rocblas_hemvn_kernel_lower_block_sumILi64EifPKPffEviT1_lS3_lT2_lT0_lPT3_i.kd
    .uniform_work_group_size: 1
    .uses_dynamic_stack: false
    .vgpr_count:     7
    .vgpr_spill_count: 0
    .wavefront_size: 32
    .workgroup_processor_mode: 1
  - .args:
      - .offset:         0
        .size:           1
        .value_kind:     by_value
      - .offset:         4
        .size:           4
        .value_kind:     by_value
      - .offset:         8
        .size:           8
        .value_kind:     by_value
      - .offset:         16
        .size:           8
        .value_kind:     by_value
      - .address_space:  global
        .offset:         24
        .size:           8
        .value_kind:     global_buffer
      - .offset:         32
        .size:           8
        .value_kind:     by_value
      - .offset:         40
        .size:           8
        .value_kind:     by_value
      - .offset:         48
        .size:           8
        .value_kind:     by_value
      - .address_space:  global
        .offset:         56
        .size:           8
        .value_kind:     global_buffer
      - .offset:         64
        .size:           8
        .value_kind:     by_value
      - .offset:         72
        .size:           8
        .value_kind:     by_value
      - .offset:         80
        .size:           8
        .value_kind:     by_value
      - .offset:         88
        .size:           8
        .value_kind:     by_value
      - .offset:         96
        .size:           8
        .value_kind:     by_value
      - .actual_access:  read_only
        .address_space:  global
        .offset:         104
        .size:           8
        .value_kind:     global_buffer
      - .offset:         112
        .size:           8
        .value_kind:     by_value
      - .offset:         120
        .size:           8
        .value_kind:     by_value
      - .offset:         128
        .size:           8
        .value_kind:     by_value
      - .offset:         136
        .size:           4
        .value_kind:     by_value
    .group_segment_fixed_size: 10496
    .kernarg_segment_align: 8
    .kernarg_segment_size: 140
    .language:       OpenCL C
    .language_version:
      - 2
      - 0
    .max_flat_workgroup_size: 128
    .name:           _ZL50rocblas_symv_kernel_upper_double_buffered_diagonalILi32ELi4E24rocblas_internal_val_ptrIdEPKPKdPKPdEvbiT1_lT2_lllSA_lllS9_lT3_llli
    .private_segment_fixed_size: 0
    .sgpr_count:     22
    .sgpr_spill_count: 0
    .symbol:         _ZL50rocblas_symv_kernel_upper_double_buffered_diagonalILi32ELi4E24rocblas_internal_val_ptrIdEPKPKdPKPdEvbiT1_lT2_lllSA_lllS9_lT3_llli.kd
    .uniform_work_group_size: 1
    .uses_dynamic_stack: false
    .vgpr_count:     29
    .vgpr_spill_count: 0
    .wavefront_size: 32
    .workgroup_processor_mode: 1
  - .args:
      - .offset:         0
        .size:           1
        .value_kind:     by_value
      - .offset:         4
        .size:           4
        .value_kind:     by_value
      - .offset:         8
        .size:           8
        .value_kind:     by_value
      - .offset:         16
        .size:           8
        .value_kind:     by_value
      - .address_space:  global
        .offset:         24
        .size:           8
        .value_kind:     global_buffer
      - .offset:         32
        .size:           8
        .value_kind:     by_value
      - .offset:         40
        .size:           8
        .value_kind:     by_value
      - .offset:         48
        .size:           8
        .value_kind:     by_value
      - .address_space:  global
        .offset:         56
        .size:           8
        .value_kind:     global_buffer
      - .offset:         64
        .size:           8
        .value_kind:     by_value
      - .offset:         72
        .size:           8
        .value_kind:     by_value
      - .offset:         80
        .size:           8
        .value_kind:     by_value
      - .actual_access:  read_only
        .address_space:  global
        .offset:         88
        .size:           8
        .value_kind:     global_buffer
      - .offset:         96
        .size:           8
        .value_kind:     by_value
      - .offset:         104
        .size:           8
        .value_kind:     by_value
      - .offset:         112
        .size:           8
        .value_kind:     by_value
      - .offset:         120
        .size:           4
        .value_kind:     by_value
      - .offset:         128
        .size:           4
        .value_kind:     hidden_block_count_x
      - .offset:         132
        .size:           4
        .value_kind:     hidden_block_count_y
      - .offset:         136
        .size:           4
        .value_kind:     hidden_block_count_z
      - .offset:         140
        .size:           2
        .value_kind:     hidden_group_size_x
      - .offset:         142
        .size:           2
        .value_kind:     hidden_group_size_y
      - .offset:         144
        .size:           2
        .value_kind:     hidden_group_size_z
      - .offset:         146
        .size:           2
        .value_kind:     hidden_remainder_x
      - .offset:         148
        .size:           2
        .value_kind:     hidden_remainder_y
      - .offset:         150
        .size:           2
        .value_kind:     hidden_remainder_z
      - .offset:         168
        .size:           8
        .value_kind:     hidden_global_offset_x
      - .offset:         176
        .size:           8
        .value_kind:     hidden_global_offset_y
      - .offset:         184
        .size:           8
        .value_kind:     hidden_global_offset_z
      - .offset:         192
        .size:           2
        .value_kind:     hidden_grid_dims
    .group_segment_fixed_size: 6400
    .kernarg_segment_align: 8
    .kernarg_segment_size: 384
    .language:       OpenCL C
    .language_version:
      - 2
      - 0
    .max_flat_workgroup_size: 128
    .name:           _ZL54rocblas_symv_kernel_upper_double_buffered_non_diagonalILi32ELi4ELi4E24rocblas_internal_val_ptrIdEPKPKdPKPdEvbiT2_lT3_lllSA_lllT4_llli
    .private_segment_fixed_size: 0
    .sgpr_count:     28
    .sgpr_spill_count: 0
    .symbol:         _ZL54rocblas_symv_kernel_upper_double_buffered_non_diagonalILi32ELi4ELi4E24rocblas_internal_val_ptrIdEPKPKdPKPdEvbiT2_lT3_lllSA_lllT4_llli.kd
    .uniform_work_group_size: 1
    .uses_dynamic_stack: false
    .vgpr_count:     68
    .vgpr_spill_count: 0
    .wavefront_size: 32
    .workgroup_processor_mode: 1
  - .args:
      - .offset:         0
        .size:           1
        .value_kind:     by_value
      - .offset:         4
        .size:           4
        .value_kind:     by_value
      - .offset:         8
        .size:           8
        .value_kind:     by_value
      - .offset:         16
        .size:           8
        .value_kind:     by_value
      - .address_space:  global
        .offset:         24
        .size:           8
        .value_kind:     global_buffer
      - .offset:         32
        .size:           8
        .value_kind:     by_value
      - .offset:         40
        .size:           8
        .value_kind:     by_value
      - .offset:         48
        .size:           8
        .value_kind:     by_value
      - .address_space:  global
        .offset:         56
        .size:           8
        .value_kind:     global_buffer
      - .offset:         64
        .size:           8
        .value_kind:     by_value
      - .offset:         72
        .size:           8
        .value_kind:     by_value
      - .offset:         80
        .size:           8
        .value_kind:     by_value
      - .offset:         88
        .size:           8
        .value_kind:     by_value
      - .offset:         96
        .size:           8
        .value_kind:     by_value
      - .actual_access:  read_only
        .address_space:  global
        .offset:         104
        .size:           8
        .value_kind:     global_buffer
      - .offset:         112
        .size:           8
        .value_kind:     by_value
      - .offset:         120
        .size:           8
        .value_kind:     by_value
      - .offset:         128
        .size:           8
        .value_kind:     by_value
      - .offset:         136
        .size:           4
        .value_kind:     by_value
      - .offset:         140
        .size:           4
        .value_kind:     by_value
      - .offset:         144
        .size:           4
        .value_kind:     hidden_block_count_x
      - .offset:         148
        .size:           4
        .value_kind:     hidden_block_count_y
      - .offset:         152
        .size:           4
        .value_kind:     hidden_block_count_z
      - .offset:         156
        .size:           2
        .value_kind:     hidden_group_size_x
      - .offset:         158
        .size:           2
        .value_kind:     hidden_group_size_y
      - .offset:         160
        .size:           2
        .value_kind:     hidden_group_size_z
      - .offset:         162
        .size:           2
        .value_kind:     hidden_remainder_x
      - .offset:         164
        .size:           2
        .value_kind:     hidden_remainder_y
      - .offset:         166
        .size:           2
        .value_kind:     hidden_remainder_z
      - .offset:         184
        .size:           8
        .value_kind:     hidden_global_offset_x
      - .offset:         192
        .size:           8
        .value_kind:     hidden_global_offset_y
      - .offset:         200
        .size:           8
        .value_kind:     hidden_global_offset_z
      - .offset:         208
        .size:           2
        .value_kind:     hidden_grid_dims
    .group_segment_fixed_size: 12544
    .kernarg_segment_align: 8
    .kernarg_segment_size: 400
    .language:       OpenCL C
    .language_version:
      - 2
      - 0
    .max_flat_workgroup_size: 256
    .name:           _ZL58rocblas_symv_kernel_upper_double_buffered_diagonal_genericILi32ELi8E24rocblas_internal_val_ptrIdEPKPKdPKPdEvbiT1_lT2_lllSA_lllS9_lT3_lllii
    .private_segment_fixed_size: 0
    .sgpr_count:     22
    .sgpr_spill_count: 0
    .symbol:         _ZL58rocblas_symv_kernel_upper_double_buffered_diagonal_genericILi32ELi8E24rocblas_internal_val_ptrIdEPKPKdPKPdEvbiT1_lT2_lllSA_lllS9_lT3_lllii.kd
    .uniform_work_group_size: 1
    .uses_dynamic_stack: false
    .vgpr_count:     27
    .vgpr_spill_count: 0
    .wavefront_size: 32
    .workgroup_processor_mode: 1
  - .args:
      - .offset:         0
        .size:           1
        .value_kind:     by_value
      - .offset:         4
        .size:           4
        .value_kind:     by_value
      - .offset:         8
        .size:           8
        .value_kind:     by_value
      - .offset:         16
        .size:           8
        .value_kind:     by_value
      - .address_space:  global
        .offset:         24
        .size:           8
        .value_kind:     global_buffer
      - .offset:         32
        .size:           8
        .value_kind:     by_value
      - .offset:         40
        .size:           8
        .value_kind:     by_value
      - .offset:         48
        .size:           8
        .value_kind:     by_value
      - .address_space:  global
        .offset:         56
        .size:           8
        .value_kind:     global_buffer
      - .offset:         64
        .size:           8
        .value_kind:     by_value
      - .offset:         72
        .size:           8
        .value_kind:     by_value
      - .offset:         80
        .size:           8
        .value_kind:     by_value
      - .actual_access:  read_only
        .address_space:  global
        .offset:         88
        .size:           8
        .value_kind:     global_buffer
      - .offset:         96
        .size:           8
        .value_kind:     by_value
      - .offset:         104
        .size:           8
        .value_kind:     by_value
      - .offset:         112
        .size:           8
        .value_kind:     by_value
      - .offset:         120
        .size:           4
        .value_kind:     by_value
      - .offset:         124
        .size:           4
        .value_kind:     by_value
      - .offset:         128
        .size:           4
        .value_kind:     hidden_block_count_x
      - .offset:         132
        .size:           4
        .value_kind:     hidden_block_count_y
      - .offset:         136
        .size:           4
        .value_kind:     hidden_block_count_z
      - .offset:         140
        .size:           2
        .value_kind:     hidden_group_size_x
      - .offset:         142
        .size:           2
        .value_kind:     hidden_group_size_y
      - .offset:         144
        .size:           2
        .value_kind:     hidden_group_size_z
      - .offset:         146
        .size:           2
        .value_kind:     hidden_remainder_x
      - .offset:         148
        .size:           2
        .value_kind:     hidden_remainder_y
      - .offset:         150
        .size:           2
        .value_kind:     hidden_remainder_z
      - .offset:         168
        .size:           8
        .value_kind:     hidden_global_offset_x
      - .offset:         176
        .size:           8
        .value_kind:     hidden_global_offset_y
      - .offset:         184
        .size:           8
        .value_kind:     hidden_global_offset_z
      - .offset:         192
        .size:           2
        .value_kind:     hidden_grid_dims
    .group_segment_fixed_size: 8448
    .kernarg_segment_align: 8
    .kernarg_segment_size: 384
    .language:       OpenCL C
    .language_version:
      - 2
      - 0
    .max_flat_workgroup_size: 256
    .name:           _ZL62rocblas_symv_kernel_upper_double_buffered_non_diagonal_genericILi32ELi8ELi2ELi0E24rocblas_internal_val_ptrIdEPKPKdPKPdEvbiT3_lT4_lllSA_lllT5_lllii
    .private_segment_fixed_size: 0
    .sgpr_count:     31
    .sgpr_spill_count: 0
    .symbol:         _ZL62rocblas_symv_kernel_upper_double_buffered_non_diagonal_genericILi32ELi8ELi2ELi0E24rocblas_internal_val_ptrIdEPKPKdPKPdEvbiT3_lT4_lllSA_lllT5_lllii.kd
    .uniform_work_group_size: 1
    .uses_dynamic_stack: false
    .vgpr_count:     53
    .vgpr_spill_count: 0
    .wavefront_size: 32
    .workgroup_processor_mode: 1
  - .args:
      - .offset:         0
        .size:           1
        .value_kind:     by_value
      - .offset:         4
        .size:           4
        .value_kind:     by_value
      - .offset:         8
        .size:           8
        .value_kind:     by_value
      - .offset:         16
        .size:           8
        .value_kind:     by_value
      - .address_space:  global
        .offset:         24
        .size:           8
        .value_kind:     global_buffer
      - .offset:         32
        .size:           8
        .value_kind:     by_value
      - .offset:         40
        .size:           8
        .value_kind:     by_value
      - .offset:         48
        .size:           8
        .value_kind:     by_value
      - .address_space:  global
        .offset:         56
        .size:           8
        .value_kind:     global_buffer
      - .offset:         64
        .size:           8
        .value_kind:     by_value
      - .offset:         72
        .size:           8
        .value_kind:     by_value
      - .offset:         80
        .size:           8
        .value_kind:     by_value
      - .actual_access:  read_only
        .address_space:  global
        .offset:         88
        .size:           8
        .value_kind:     global_buffer
      - .offset:         96
        .size:           8
        .value_kind:     by_value
      - .offset:         104
        .size:           8
        .value_kind:     by_value
      - .offset:         112
        .size:           8
        .value_kind:     by_value
      - .offset:         120
        .size:           4
        .value_kind:     by_value
      - .offset:         124
        .size:           4
        .value_kind:     by_value
      - .offset:         128
        .size:           4
        .value_kind:     hidden_block_count_x
      - .offset:         132
        .size:           4
        .value_kind:     hidden_block_count_y
      - .offset:         136
        .size:           4
        .value_kind:     hidden_block_count_z
      - .offset:         140
        .size:           2
        .value_kind:     hidden_group_size_x
      - .offset:         142
        .size:           2
        .value_kind:     hidden_group_size_y
      - .offset:         144
        .size:           2
        .value_kind:     hidden_group_size_z
      - .offset:         146
        .size:           2
        .value_kind:     hidden_remainder_x
      - .offset:         148
        .size:           2
        .value_kind:     hidden_remainder_y
      - .offset:         150
        .size:           2
        .value_kind:     hidden_remainder_z
      - .offset:         168
        .size:           8
        .value_kind:     hidden_global_offset_x
      - .offset:         176
        .size:           8
        .value_kind:     hidden_global_offset_y
      - .offset:         184
        .size:           8
        .value_kind:     hidden_global_offset_z
      - .offset:         192
        .size:           2
        .value_kind:     hidden_grid_dims
    .group_segment_fixed_size: 8448
    .kernarg_segment_align: 8
    .kernarg_segment_size: 384
    .language:       OpenCL C
    .language_version:
      - 2
      - 0
    .max_flat_workgroup_size: 256
    .name:           _ZL62rocblas_symv_kernel_upper_double_buffered_non_diagonal_genericILi32ELi8ELi2ELi1E24rocblas_internal_val_ptrIdEPKPKdPKPdEvbiT3_lT4_lllSA_lllT5_lllii
    .private_segment_fixed_size: 0
    .sgpr_count:     30
    .sgpr_spill_count: 0
    .symbol:         _ZL62rocblas_symv_kernel_upper_double_buffered_non_diagonal_genericILi32ELi8ELi2ELi1E24rocblas_internal_val_ptrIdEPKPKdPKPdEvbiT3_lT4_lllSA_lllT5_lllii.kd
    .uniform_work_group_size: 1
    .uses_dynamic_stack: false
    .vgpr_count:     56
    .vgpr_spill_count: 0
    .wavefront_size: 32
    .workgroup_processor_mode: 1
  - .args:
      - .offset:         0
        .size:           4
        .value_kind:     by_value
      - .address_space:  global
        .offset:         8
        .size:           8
        .value_kind:     global_buffer
      - .offset:         16
        .size:           8
        .value_kind:     by_value
      - .address_space:  global
        .offset:         24
        .size:           8
        .value_kind:     global_buffer
      - .offset:         32
        .size:           8
        .value_kind:     by_value
      - .offset:         40
        .size:           8
        .value_kind:     by_value
      - .offset:         48
        .size:           8
        .value_kind:     by_value
      - .address_space:  global
        .offset:         56
        .size:           8
        .value_kind:     global_buffer
      - .offset:         64
        .size:           8
        .value_kind:     by_value
      - .offset:         72
        .size:           8
        .value_kind:     by_value
      - .offset:         80
        .size:           8
        .value_kind:     by_value
      - .address_space:  global
        .offset:         88
        .size:           8
        .value_kind:     global_buffer
      - .offset:         96
        .size:           8
        .value_kind:     by_value
      - .address_space:  global
        .offset:         104
        .size:           8
        .value_kind:     global_buffer
      - .offset:         112
        .size:           4
        .value_kind:     by_value
      - .offset:         120
        .size:           4
        .value_kind:     hidden_block_count_x
      - .offset:         124
        .size:           4
        .value_kind:     hidden_block_count_y
      - .offset:         128
        .size:           4
        .value_kind:     hidden_block_count_z
      - .offset:         132
        .size:           2
        .value_kind:     hidden_group_size_x
      - .offset:         134
        .size:           2
        .value_kind:     hidden_group_size_y
      - .offset:         136
        .size:           2
        .value_kind:     hidden_group_size_z
      - .offset:         138
        .size:           2
        .value_kind:     hidden_remainder_x
      - .offset:         140
        .size:           2
        .value_kind:     hidden_remainder_y
      - .offset:         142
        .size:           2
        .value_kind:     hidden_remainder_z
      - .offset:         160
        .size:           8
        .value_kind:     hidden_global_offset_x
      - .offset:         168
        .size:           8
        .value_kind:     hidden_global_offset_y
      - .offset:         176
        .size:           8
        .value_kind:     hidden_global_offset_z
      - .offset:         184
        .size:           2
        .value_kind:     hidden_grid_dims
    .group_segment_fixed_size: 9600
    .kernarg_segment_align: 8
    .kernarg_segment_size: 376
    .language:       OpenCL C
    .language_version:
      - 2
      - 0
    .max_flat_workgroup_size: 256
    .name:           _ZL26rocblas_hemvn_kernel_upperILb0ELi64ELi4ELi33ELi32ELi16ElPKdPKS1_PdEviT6_lT7_lT5_lS6_lS7_lS5_lT8_i
    .private_segment_fixed_size: 0
    .sgpr_count:     32
    .sgpr_spill_count: 0
    .symbol:         _ZL26rocblas_hemvn_kernel_upperILb0ELi64ELi4ELi33ELi32ELi16ElPKdPKS1_PdEviT6_lT7_lT5_lS6_lS7_lS5_lT8_i.kd
    .uniform_work_group_size: 1
    .uses_dynamic_stack: false
    .vgpr_count:     160
    .vgpr_spill_count: 0
    .wavefront_size: 32
    .workgroup_processor_mode: 1
  - .args:
      - .offset:         0
        .size:           4
        .value_kind:     by_value
      - .address_space:  global
        .offset:         8
        .size:           8
        .value_kind:     global_buffer
      - .offset:         16
        .size:           8
        .value_kind:     by_value
      - .address_space:  global
        .offset:         24
        .size:           8
        .value_kind:     global_buffer
      - .offset:         32
        .size:           8
        .value_kind:     by_value
      - .actual_access:  read_only
        .address_space:  global
        .offset:         40
        .size:           8
        .value_kind:     global_buffer
      - .offset:         48
        .size:           8
        .value_kind:     by_value
      - .offset:         56
        .size:           8
        .value_kind:     by_value
      - .offset:         64
        .size:           8
        .value_kind:     by_value
      - .address_space:  global
        .offset:         72
        .size:           8
        .value_kind:     global_buffer
      - .offset:         80
        .size:           4
        .value_kind:     by_value
      - .offset:         88
        .size:           4
        .value_kind:     hidden_block_count_x
      - .offset:         92
        .size:           4
        .value_kind:     hidden_block_count_y
      - .offset:         96
        .size:           4
        .value_kind:     hidden_block_count_z
      - .offset:         100
        .size:           2
        .value_kind:     hidden_group_size_x
      - .offset:         102
        .size:           2
        .value_kind:     hidden_group_size_y
      - .offset:         104
        .size:           2
        .value_kind:     hidden_group_size_z
      - .offset:         106
        .size:           2
        .value_kind:     hidden_remainder_x
      - .offset:         108
        .size:           2
        .value_kind:     hidden_remainder_y
      - .offset:         110
        .size:           2
        .value_kind:     hidden_remainder_z
      - .offset:         128
        .size:           8
        .value_kind:     hidden_global_offset_x
      - .offset:         136
        .size:           8
        .value_kind:     hidden_global_offset_y
      - .offset:         144
        .size:           8
        .value_kind:     hidden_global_offset_z
      - .offset:         152
        .size:           2
        .value_kind:     hidden_grid_dims
    .group_segment_fixed_size: 0
    .kernarg_segment_align: 8
    .kernarg_segment_size: 344
    .language:       OpenCL C
    .language_version:
      - 2
      - 0
    .max_flat_workgroup_size: 64
    .name:           _ZL36rocblas_hemvn_kernel_upper_block_sumILi64ElPKdPKPddEviT1_lS5_lT2_lT0_lPT3_i
    .private_segment_fixed_size: 0
    .sgpr_count:     22
    .sgpr_spill_count: 0
    .symbol:         _ZL36rocblas_hemvn_kernel_upper_block_sumILi64ElPKdPKPddEviT1_lS5_lT2_lT0_lPT3_i.kd
    .uniform_work_group_size: 1
    .uses_dynamic_stack: false
    .vgpr_count:     9
    .vgpr_spill_count: 0
    .wavefront_size: 32
    .workgroup_processor_mode: 1
  - .args:
      - .offset:         0
        .size:           4
        .value_kind:     by_value
      - .address_space:  global
        .offset:         8
        .size:           8
        .value_kind:     global_buffer
      - .offset:         16
        .size:           8
        .value_kind:     by_value
      - .address_space:  global
        .offset:         24
        .size:           8
        .value_kind:     global_buffer
      - .offset:         32
        .size:           8
        .value_kind:     by_value
      - .offset:         40
        .size:           4
        .value_kind:     by_value
      - .offset:         48
        .size:           8
        .value_kind:     by_value
      - .address_space:  global
        .offset:         56
        .size:           8
        .value_kind:     global_buffer
      - .offset:         64
        .size:           8
        .value_kind:     by_value
      - .offset:         72
        .size:           4
        .value_kind:     by_value
      - .offset:         80
        .size:           8
        .value_kind:     by_value
      - .address_space:  global
        .offset:         88
        .size:           8
        .value_kind:     global_buffer
      - .offset:         96
        .size:           8
        .value_kind:     by_value
      - .address_space:  global
        .offset:         104
        .size:           8
        .value_kind:     global_buffer
      - .offset:         112
        .size:           4
        .value_kind:     by_value
      - .offset:         120
        .size:           4
        .value_kind:     hidden_block_count_x
      - .offset:         124
        .size:           4
        .value_kind:     hidden_block_count_y
      - .offset:         128
        .size:           4
        .value_kind:     hidden_block_count_z
      - .offset:         132
        .size:           2
        .value_kind:     hidden_group_size_x
      - .offset:         134
        .size:           2
        .value_kind:     hidden_group_size_y
      - .offset:         136
        .size:           2
        .value_kind:     hidden_group_size_z
      - .offset:         138
        .size:           2
        .value_kind:     hidden_remainder_x
      - .offset:         140
        .size:           2
        .value_kind:     hidden_remainder_y
      - .offset:         142
        .size:           2
        .value_kind:     hidden_remainder_z
      - .offset:         160
        .size:           8
        .value_kind:     hidden_global_offset_x
      - .offset:         168
        .size:           8
        .value_kind:     hidden_global_offset_y
      - .offset:         176
        .size:           8
        .value_kind:     hidden_global_offset_z
      - .offset:         184
        .size:           2
        .value_kind:     hidden_grid_dims
    .group_segment_fixed_size: 9600
    .kernarg_segment_align: 8
    .kernarg_segment_size: 376
    .language:       OpenCL C
    .language_version:
      - 2
      - 0
    .max_flat_workgroup_size: 256
    .name:           _ZL26rocblas_hemvn_kernel_upperILb0ELi64ELi4ELi33ELi32ELi16EiPKdPKS1_PdEviT6_lT7_lT5_lS6_lS7_lS5_lT8_i
    .private_segment_fixed_size: 0
    .sgpr_count:     47
    .sgpr_spill_count: 0
    .symbol:         _ZL26rocblas_hemvn_kernel_upperILb0ELi64ELi4ELi33ELi32ELi16EiPKdPKS1_PdEviT6_lT7_lT5_lS6_lS7_lS5_lT8_i.kd
    .uniform_work_group_size: 1
    .uses_dynamic_stack: false
    .vgpr_count:     182
    .vgpr_spill_count: 0
    .wavefront_size: 32
    .workgroup_processor_mode: 1
  - .args:
      - .offset:         0
        .size:           4
        .value_kind:     by_value
      - .address_space:  global
        .offset:         8
        .size:           8
        .value_kind:     global_buffer
      - .offset:         16
        .size:           8
        .value_kind:     by_value
      - .address_space:  global
        .offset:         24
        .size:           8
        .value_kind:     global_buffer
      - .offset:         32
        .size:           8
        .value_kind:     by_value
      - .actual_access:  read_only
        .address_space:  global
        .offset:         40
        .size:           8
        .value_kind:     global_buffer
      - .offset:         48
        .size:           8
        .value_kind:     by_value
      - .offset:         56
        .size:           4
        .value_kind:     by_value
      - .offset:         64
        .size:           8
        .value_kind:     by_value
      - .address_space:  global
        .offset:         72
        .size:           8
        .value_kind:     global_buffer
      - .offset:         80
        .size:           4
        .value_kind:     by_value
      - .offset:         88
        .size:           4
        .value_kind:     hidden_block_count_x
      - .offset:         92
        .size:           4
        .value_kind:     hidden_block_count_y
      - .offset:         96
        .size:           4
        .value_kind:     hidden_block_count_z
      - .offset:         100
        .size:           2
        .value_kind:     hidden_group_size_x
      - .offset:         102
        .size:           2
        .value_kind:     hidden_group_size_y
      - .offset:         104
        .size:           2
        .value_kind:     hidden_group_size_z
      - .offset:         106
        .size:           2
        .value_kind:     hidden_remainder_x
      - .offset:         108
        .size:           2
        .value_kind:     hidden_remainder_y
      - .offset:         110
        .size:           2
        .value_kind:     hidden_remainder_z
      - .offset:         128
        .size:           8
        .value_kind:     hidden_global_offset_x
      - .offset:         136
        .size:           8
        .value_kind:     hidden_global_offset_y
      - .offset:         144
        .size:           8
        .value_kind:     hidden_global_offset_z
      - .offset:         152
        .size:           2
        .value_kind:     hidden_grid_dims
    .group_segment_fixed_size: 0
    .kernarg_segment_align: 8
    .kernarg_segment_size: 344
    .language:       OpenCL C
    .language_version:
      - 2
      - 0
    .max_flat_workgroup_size: 64
    .name:           _ZL36rocblas_hemvn_kernel_upper_block_sumILi64EiPKdPKPddEviT1_lS5_lT2_lT0_lPT3_i
    .private_segment_fixed_size: 0
    .sgpr_count:     22
    .sgpr_spill_count: 0
    .symbol:         _ZL36rocblas_hemvn_kernel_upper_block_sumILi64EiPKdPKPddEviT1_lS5_lT2_lT0_lPT3_i.kd
    .uniform_work_group_size: 1
    .uses_dynamic_stack: false
    .vgpr_count:     7
    .vgpr_spill_count: 0
    .wavefront_size: 32
    .workgroup_processor_mode: 1
  - .args:
      - .offset:         0
        .size:           4
        .value_kind:     by_value
      - .offset:         8
        .size:           8
        .value_kind:     by_value
      - .offset:         16
        .size:           8
        .value_kind:     by_value
      - .address_space:  global
        .offset:         24
        .size:           8
        .value_kind:     global_buffer
      - .offset:         32
        .size:           8
        .value_kind:     by_value
      - .offset:         40
        .size:           8
        .value_kind:     by_value
      - .offset:         48
        .size:           8
        .value_kind:     by_value
      - .address_space:  global
        .offset:         56
        .size:           8
        .value_kind:     global_buffer
      - .offset:         64
        .size:           8
        .value_kind:     by_value
      - .offset:         72
        .size:           8
        .value_kind:     by_value
      - .offset:         80
        .size:           8
        .value_kind:     by_value
      - .offset:         88
        .size:           8
        .value_kind:     by_value
      - .offset:         96
        .size:           8
        .value_kind:     by_value
      - .address_space:  global
        .offset:         104
        .size:           8
        .value_kind:     global_buffer
      - .offset:         112
        .size:           4
        .value_kind:     by_value
      - .offset:         120
        .size:           4
        .value_kind:     hidden_block_count_x
      - .offset:         124
        .size:           4
        .value_kind:     hidden_block_count_y
      - .offset:         128
        .size:           4
        .value_kind:     hidden_block_count_z
      - .offset:         132
        .size:           2
        .value_kind:     hidden_group_size_x
      - .offset:         134
        .size:           2
        .value_kind:     hidden_group_size_y
      - .offset:         136
        .size:           2
        .value_kind:     hidden_group_size_z
      - .offset:         138
        .size:           2
        .value_kind:     hidden_remainder_x
      - .offset:         140
        .size:           2
        .value_kind:     hidden_remainder_y
      - .offset:         142
        .size:           2
        .value_kind:     hidden_remainder_z
      - .offset:         160
        .size:           8
        .value_kind:     hidden_global_offset_x
      - .offset:         168
        .size:           8
        .value_kind:     hidden_global_offset_y
      - .offset:         176
        .size:           8
        .value_kind:     hidden_global_offset_z
      - .offset:         184
        .size:           2
        .value_kind:     hidden_grid_dims
    .group_segment_fixed_size: 9600
    .kernarg_segment_align: 8
    .kernarg_segment_size: 376
    .language:       OpenCL C
    .language_version:
      - 2
      - 0
    .max_flat_workgroup_size: 256
    .name:           _ZL26rocblas_hemvn_kernel_upperILb0ELi64ELi4ELi33ELi32ELi16EldPKPKdPdEviT6_lT7_lT5_lS6_lS7_lS5_lT8_i
    .private_segment_fixed_size: 0
    .sgpr_count:     32
    .sgpr_spill_count: 0
    .symbol:         _ZL26rocblas_hemvn_kernel_upperILb0ELi64ELi4ELi33ELi32ELi16EldPKPKdPdEviT6_lT7_lT5_lS6_lS7_lS5_lT8_i.kd
    .uniform_work_group_size: 1
    .uses_dynamic_stack: false
    .vgpr_count:     160
    .vgpr_spill_count: 0
    .wavefront_size: 32
    .workgroup_processor_mode: 1
  - .args:
      - .offset:         0
        .size:           4
        .value_kind:     by_value
      - .offset:         8
        .size:           8
        .value_kind:     by_value
      - .offset:         16
        .size:           8
        .value_kind:     by_value
      - .offset:         24
        .size:           8
        .value_kind:     by_value
      - .offset:         32
        .size:           8
        .value_kind:     by_value
      - .actual_access:  read_only
        .address_space:  global
        .offset:         40
        .size:           8
        .value_kind:     global_buffer
      - .offset:         48
        .size:           8
        .value_kind:     by_value
      - .offset:         56
        .size:           8
        .value_kind:     by_value
      - .offset:         64
        .size:           8
        .value_kind:     by_value
      - .address_space:  global
        .offset:         72
        .size:           8
        .value_kind:     global_buffer
      - .offset:         80
        .size:           4
        .value_kind:     by_value
      - .offset:         88
        .size:           4
        .value_kind:     hidden_block_count_x
      - .offset:         92
        .size:           4
        .value_kind:     hidden_block_count_y
      - .offset:         96
        .size:           4
        .value_kind:     hidden_block_count_z
      - .offset:         100
        .size:           2
        .value_kind:     hidden_group_size_x
      - .offset:         102
        .size:           2
        .value_kind:     hidden_group_size_y
      - .offset:         104
        .size:           2
        .value_kind:     hidden_group_size_z
      - .offset:         106
        .size:           2
        .value_kind:     hidden_remainder_x
      - .offset:         108
        .size:           2
        .value_kind:     hidden_remainder_y
      - .offset:         110
        .size:           2
        .value_kind:     hidden_remainder_z
      - .offset:         128
        .size:           8
        .value_kind:     hidden_global_offset_x
      - .offset:         136
        .size:           8
        .value_kind:     hidden_global_offset_y
      - .offset:         144
        .size:           8
        .value_kind:     hidden_global_offset_z
      - .offset:         152
        .size:           2
        .value_kind:     hidden_grid_dims
    .group_segment_fixed_size: 0
    .kernarg_segment_align: 8
    .kernarg_segment_size: 344
    .language:       OpenCL C
    .language_version:
      - 2
      - 0
    .max_flat_workgroup_size: 64
    .name:           _ZL36rocblas_hemvn_kernel_upper_block_sumILi64EldPKPddEviT1_lS3_lT2_lT0_lPT3_i
    .private_segment_fixed_size: 0
    .sgpr_count:     22
    .sgpr_spill_count: 0
    .symbol:         _ZL36rocblas_hemvn_kernel_upper_block_sumILi64EldPKPddEviT1_lS3_lT2_lT0_lPT3_i.kd
    .uniform_work_group_size: 1
    .uses_dynamic_stack: false
    .vgpr_count:     9
    .vgpr_spill_count: 0
    .wavefront_size: 32
    .workgroup_processor_mode: 1
  - .args:
      - .offset:         0
        .size:           4
        .value_kind:     by_value
      - .offset:         8
        .size:           8
        .value_kind:     by_value
      - .offset:         16
        .size:           8
        .value_kind:     by_value
      - .address_space:  global
        .offset:         24
        .size:           8
        .value_kind:     global_buffer
      - .offset:         32
        .size:           8
        .value_kind:     by_value
      - .offset:         40
        .size:           4
        .value_kind:     by_value
      - .offset:         48
        .size:           8
        .value_kind:     by_value
      - .address_space:  global
        .offset:         56
        .size:           8
        .value_kind:     global_buffer
      - .offset:         64
        .size:           8
        .value_kind:     by_value
      - .offset:         72
        .size:           4
        .value_kind:     by_value
      - .offset:         80
        .size:           8
        .value_kind:     by_value
      - .offset:         88
        .size:           8
        .value_kind:     by_value
      - .offset:         96
        .size:           8
        .value_kind:     by_value
      - .address_space:  global
        .offset:         104
        .size:           8
        .value_kind:     global_buffer
      - .offset:         112
        .size:           4
        .value_kind:     by_value
      - .offset:         120
        .size:           4
        .value_kind:     hidden_block_count_x
      - .offset:         124
        .size:           4
        .value_kind:     hidden_block_count_y
      - .offset:         128
        .size:           4
        .value_kind:     hidden_block_count_z
      - .offset:         132
        .size:           2
        .value_kind:     hidden_group_size_x
      - .offset:         134
        .size:           2
        .value_kind:     hidden_group_size_y
      - .offset:         136
        .size:           2
        .value_kind:     hidden_group_size_z
      - .offset:         138
        .size:           2
        .value_kind:     hidden_remainder_x
      - .offset:         140
        .size:           2
        .value_kind:     hidden_remainder_y
      - .offset:         142
        .size:           2
        .value_kind:     hidden_remainder_z
      - .offset:         160
        .size:           8
        .value_kind:     hidden_global_offset_x
      - .offset:         168
        .size:           8
        .value_kind:     hidden_global_offset_y
      - .offset:         176
        .size:           8
        .value_kind:     hidden_global_offset_z
      - .offset:         184
        .size:           2
        .value_kind:     hidden_grid_dims
    .group_segment_fixed_size: 9600
    .kernarg_segment_align: 8
    .kernarg_segment_size: 376
    .language:       OpenCL C
    .language_version:
      - 2
      - 0
    .max_flat_workgroup_size: 256
    .name:           _ZL26rocblas_hemvn_kernel_upperILb0ELi64ELi4ELi33ELi32ELi16EidPKPKdPdEviT6_lT7_lT5_lS6_lS7_lS5_lT8_i
    .private_segment_fixed_size: 0
    .sgpr_count:     47
    .sgpr_spill_count: 0
    .symbol:         _ZL26rocblas_hemvn_kernel_upperILb0ELi64ELi4ELi33ELi32ELi16EidPKPKdPdEviT6_lT7_lT5_lS6_lS7_lS5_lT8_i.kd
    .uniform_work_group_size: 1
    .uses_dynamic_stack: false
    .vgpr_count:     182
    .vgpr_spill_count: 0
    .wavefront_size: 32
    .workgroup_processor_mode: 1
  - .args:
      - .offset:         0
        .size:           4
        .value_kind:     by_value
      - .offset:         8
        .size:           8
        .value_kind:     by_value
      - .offset:         16
        .size:           8
        .value_kind:     by_value
      - .offset:         24
        .size:           8
        .value_kind:     by_value
      - .offset:         32
        .size:           8
        .value_kind:     by_value
      - .actual_access:  read_only
        .address_space:  global
        .offset:         40
        .size:           8
        .value_kind:     global_buffer
      - .offset:         48
        .size:           8
        .value_kind:     by_value
      - .offset:         56
        .size:           4
        .value_kind:     by_value
      - .offset:         64
        .size:           8
        .value_kind:     by_value
      - .address_space:  global
        .offset:         72
        .size:           8
        .value_kind:     global_buffer
      - .offset:         80
        .size:           4
        .value_kind:     by_value
      - .offset:         88
        .size:           4
        .value_kind:     hidden_block_count_x
      - .offset:         92
        .size:           4
        .value_kind:     hidden_block_count_y
      - .offset:         96
        .size:           4
        .value_kind:     hidden_block_count_z
      - .offset:         100
        .size:           2
        .value_kind:     hidden_group_size_x
      - .offset:         102
        .size:           2
        .value_kind:     hidden_group_size_y
      - .offset:         104
        .size:           2
        .value_kind:     hidden_group_size_z
      - .offset:         106
        .size:           2
        .value_kind:     hidden_remainder_x
      - .offset:         108
        .size:           2
        .value_kind:     hidden_remainder_y
      - .offset:         110
        .size:           2
        .value_kind:     hidden_remainder_z
      - .offset:         128
        .size:           8
        .value_kind:     hidden_global_offset_x
      - .offset:         136
        .size:           8
        .value_kind:     hidden_global_offset_y
      - .offset:         144
        .size:           8
        .value_kind:     hidden_global_offset_z
      - .offset:         152
        .size:           2
        .value_kind:     hidden_grid_dims
    .group_segment_fixed_size: 0
    .kernarg_segment_align: 8
    .kernarg_segment_size: 344
    .language:       OpenCL C
    .language_version:
      - 2
      - 0
    .max_flat_workgroup_size: 64
    .name:           _ZL36rocblas_hemvn_kernel_upper_block_sumILi64EidPKPddEviT1_lS3_lT2_lT0_lPT3_i
    .private_segment_fixed_size: 0
    .sgpr_count:     22
    .sgpr_spill_count: 0
    .symbol:         _ZL36rocblas_hemvn_kernel_upper_block_sumILi64EidPKPddEviT1_lS3_lT2_lT0_lPT3_i.kd
    .uniform_work_group_size: 1
    .uses_dynamic_stack: false
    .vgpr_count:     7
    .vgpr_spill_count: 0
    .wavefront_size: 32
    .workgroup_processor_mode: 1
  - .args:
      - .offset:         0
        .size:           1
        .value_kind:     by_value
      - .offset:         4
        .size:           4
        .value_kind:     by_value
      - .offset:         8
        .size:           8
        .value_kind:     by_value
      - .offset:         16
        .size:           8
        .value_kind:     by_value
      - .address_space:  global
        .offset:         24
        .size:           8
        .value_kind:     global_buffer
      - .offset:         32
        .size:           8
        .value_kind:     by_value
      - .offset:         40
        .size:           8
        .value_kind:     by_value
      - .offset:         48
        .size:           8
        .value_kind:     by_value
      - .address_space:  global
        .offset:         56
        .size:           8
        .value_kind:     global_buffer
      - .offset:         64
        .size:           8
        .value_kind:     by_value
      - .offset:         72
        .size:           8
        .value_kind:     by_value
      - .offset:         80
        .size:           8
        .value_kind:     by_value
      - .offset:         88
        .size:           8
        .value_kind:     by_value
      - .offset:         96
        .size:           8
        .value_kind:     by_value
      - .actual_access:  read_only
        .address_space:  global
        .offset:         104
        .size:           8
        .value_kind:     global_buffer
      - .offset:         112
        .size:           8
        .value_kind:     by_value
      - .offset:         120
        .size:           8
        .value_kind:     by_value
      - .offset:         128
        .size:           8
        .value_kind:     by_value
      - .offset:         136
        .size:           4
        .value_kind:     by_value
    .group_segment_fixed_size: 10496
    .kernarg_segment_align: 8
    .kernarg_segment_size: 140
    .language:       OpenCL C
    .language_version:
      - 2
      - 0
    .max_flat_workgroup_size: 128
    .name:           _ZL50rocblas_symv_kernel_lower_double_buffered_diagonalILi32ELi4E24rocblas_internal_val_ptrIdEPKPKdPKPdEvbiT1_lT2_lllSA_lllS9_lT3_llli
    .private_segment_fixed_size: 0
    .sgpr_count:     22
    .sgpr_spill_count: 0
    .symbol:         _ZL50rocblas_symv_kernel_lower_double_buffered_diagonalILi32ELi4E24rocblas_internal_val_ptrIdEPKPKdPKPdEvbiT1_lT2_lllSA_lllS9_lT3_llli.kd
    .uniform_work_group_size: 1
    .uses_dynamic_stack: false
    .vgpr_count:     31
    .vgpr_spill_count: 0
    .wavefront_size: 32
    .workgroup_processor_mode: 1
  - .args:
      - .offset:         0
        .size:           1
        .value_kind:     by_value
      - .offset:         4
        .size:           4
        .value_kind:     by_value
      - .offset:         8
        .size:           8
        .value_kind:     by_value
      - .offset:         16
        .size:           8
        .value_kind:     by_value
      - .address_space:  global
        .offset:         24
        .size:           8
        .value_kind:     global_buffer
      - .offset:         32
        .size:           8
        .value_kind:     by_value
      - .offset:         40
        .size:           8
        .value_kind:     by_value
      - .offset:         48
        .size:           8
        .value_kind:     by_value
      - .address_space:  global
        .offset:         56
        .size:           8
        .value_kind:     global_buffer
      - .offset:         64
        .size:           8
        .value_kind:     by_value
      - .offset:         72
        .size:           8
        .value_kind:     by_value
      - .offset:         80
        .size:           8
        .value_kind:     by_value
      - .actual_access:  read_only
        .address_space:  global
        .offset:         88
        .size:           8
        .value_kind:     global_buffer
      - .offset:         96
        .size:           8
        .value_kind:     by_value
      - .offset:         104
        .size:           8
        .value_kind:     by_value
      - .offset:         112
        .size:           8
        .value_kind:     by_value
      - .offset:         120
        .size:           4
        .value_kind:     by_value
      - .offset:         128
        .size:           4
        .value_kind:     hidden_block_count_x
      - .offset:         132
        .size:           4
        .value_kind:     hidden_block_count_y
      - .offset:         136
        .size:           4
        .value_kind:     hidden_block_count_z
      - .offset:         140
        .size:           2
        .value_kind:     hidden_group_size_x
      - .offset:         142
        .size:           2
        .value_kind:     hidden_group_size_y
      - .offset:         144
        .size:           2
        .value_kind:     hidden_group_size_z
      - .offset:         146
        .size:           2
        .value_kind:     hidden_remainder_x
      - .offset:         148
        .size:           2
        .value_kind:     hidden_remainder_y
      - .offset:         150
        .size:           2
        .value_kind:     hidden_remainder_z
      - .offset:         168
        .size:           8
        .value_kind:     hidden_global_offset_x
      - .offset:         176
        .size:           8
        .value_kind:     hidden_global_offset_y
      - .offset:         184
        .size:           8
        .value_kind:     hidden_global_offset_z
      - .offset:         192
        .size:           2
        .value_kind:     hidden_grid_dims
    .group_segment_fixed_size: 6400
    .kernarg_segment_align: 8
    .kernarg_segment_size: 384
    .language:       OpenCL C
    .language_version:
      - 2
      - 0
    .max_flat_workgroup_size: 128
    .name:           _ZL54rocblas_symv_kernel_lower_double_buffered_non_diagonalILi32ELi4ELi4E24rocblas_internal_val_ptrIdEPKPKdPKPdEvbiT2_lT3_lllSA_lllT4_llli
    .private_segment_fixed_size: 0
    .sgpr_count:     30
    .sgpr_spill_count: 0
    .symbol:         _ZL54rocblas_symv_kernel_lower_double_buffered_non_diagonalILi32ELi4ELi4E24rocblas_internal_val_ptrIdEPKPKdPKPdEvbiT2_lT3_lllSA_lllT4_llli.kd
    .uniform_work_group_size: 1
    .uses_dynamic_stack: false
    .vgpr_count:     66
    .vgpr_spill_count: 0
    .wavefront_size: 32
    .workgroup_processor_mode: 1
  - .args:
      - .offset:         0
        .size:           1
        .value_kind:     by_value
      - .offset:         4
        .size:           4
        .value_kind:     by_value
      - .offset:         8
        .size:           8
        .value_kind:     by_value
      - .offset:         16
        .size:           8
        .value_kind:     by_value
      - .address_space:  global
        .offset:         24
        .size:           8
        .value_kind:     global_buffer
      - .offset:         32
        .size:           8
        .value_kind:     by_value
      - .offset:         40
        .size:           8
        .value_kind:     by_value
      - .offset:         48
        .size:           8
        .value_kind:     by_value
      - .address_space:  global
        .offset:         56
        .size:           8
        .value_kind:     global_buffer
      - .offset:         64
        .size:           8
        .value_kind:     by_value
      - .offset:         72
        .size:           8
        .value_kind:     by_value
      - .offset:         80
        .size:           8
        .value_kind:     by_value
      - .offset:         88
        .size:           8
        .value_kind:     by_value
      - .offset:         96
        .size:           8
        .value_kind:     by_value
      - .actual_access:  read_only
        .address_space:  global
        .offset:         104
        .size:           8
        .value_kind:     global_buffer
      - .offset:         112
        .size:           8
        .value_kind:     by_value
      - .offset:         120
        .size:           8
        .value_kind:     by_value
      - .offset:         128
        .size:           8
        .value_kind:     by_value
      - .offset:         136
        .size:           4
        .value_kind:     by_value
      - .offset:         140
        .size:           4
        .value_kind:     by_value
      - .offset:         144
        .size:           4
        .value_kind:     hidden_block_count_x
      - .offset:         148
        .size:           4
        .value_kind:     hidden_block_count_y
      - .offset:         152
        .size:           4
        .value_kind:     hidden_block_count_z
      - .offset:         156
        .size:           2
        .value_kind:     hidden_group_size_x
      - .offset:         158
        .size:           2
        .value_kind:     hidden_group_size_y
      - .offset:         160
        .size:           2
        .value_kind:     hidden_group_size_z
      - .offset:         162
        .size:           2
        .value_kind:     hidden_remainder_x
      - .offset:         164
        .size:           2
        .value_kind:     hidden_remainder_y
      - .offset:         166
        .size:           2
        .value_kind:     hidden_remainder_z
      - .offset:         184
        .size:           8
        .value_kind:     hidden_global_offset_x
      - .offset:         192
        .size:           8
        .value_kind:     hidden_global_offset_y
      - .offset:         200
        .size:           8
        .value_kind:     hidden_global_offset_z
      - .offset:         208
        .size:           2
        .value_kind:     hidden_grid_dims
    .group_segment_fixed_size: 10496
    .kernarg_segment_align: 8
    .kernarg_segment_size: 400
    .language:       OpenCL C
    .language_version:
      - 2
      - 0
    .max_flat_workgroup_size: 128
    .name:           _ZL58rocblas_symv_kernel_lower_double_buffered_diagonal_genericILi32ELi4E24rocblas_internal_val_ptrIdEPKPKdPKPdEvbiT1_lT2_lllSA_lllS9_lT3_lllii
    .private_segment_fixed_size: 0
    .sgpr_count:     22
    .sgpr_spill_count: 0
    .symbol:         _ZL58rocblas_symv_kernel_lower_double_buffered_diagonal_genericILi32ELi4E24rocblas_internal_val_ptrIdEPKPKdPKPdEvbiT1_lT2_lllSA_lllS9_lT3_lllii.kd
    .uniform_work_group_size: 1
    .uses_dynamic_stack: false
    .vgpr_count:     36
    .vgpr_spill_count: 0
    .wavefront_size: 32
    .workgroup_processor_mode: 1
  - .args:
      - .offset:         0
        .size:           1
        .value_kind:     by_value
      - .offset:         4
        .size:           4
        .value_kind:     by_value
      - .offset:         8
        .size:           8
        .value_kind:     by_value
      - .offset:         16
        .size:           8
        .value_kind:     by_value
      - .address_space:  global
        .offset:         24
        .size:           8
        .value_kind:     global_buffer
      - .offset:         32
        .size:           8
        .value_kind:     by_value
      - .offset:         40
        .size:           8
        .value_kind:     by_value
      - .offset:         48
        .size:           8
        .value_kind:     by_value
      - .address_space:  global
        .offset:         56
        .size:           8
        .value_kind:     global_buffer
      - .offset:         64
        .size:           8
        .value_kind:     by_value
      - .offset:         72
        .size:           8
        .value_kind:     by_value
      - .offset:         80
        .size:           8
        .value_kind:     by_value
      - .actual_access:  read_only
        .address_space:  global
        .offset:         88
        .size:           8
        .value_kind:     global_buffer
      - .offset:         96
        .size:           8
        .value_kind:     by_value
      - .offset:         104
        .size:           8
        .value_kind:     by_value
      - .offset:         112
        .size:           8
        .value_kind:     by_value
      - .offset:         120
        .size:           4
        .value_kind:     by_value
      - .offset:         124
        .size:           4
        .value_kind:     by_value
      - .offset:         128
        .size:           4
        .value_kind:     hidden_block_count_x
      - .offset:         132
        .size:           4
        .value_kind:     hidden_block_count_y
      - .offset:         136
        .size:           4
        .value_kind:     hidden_block_count_z
      - .offset:         140
        .size:           2
        .value_kind:     hidden_group_size_x
      - .offset:         142
        .size:           2
        .value_kind:     hidden_group_size_y
      - .offset:         144
        .size:           2
        .value_kind:     hidden_group_size_z
      - .offset:         146
        .size:           2
        .value_kind:     hidden_remainder_x
      - .offset:         148
        .size:           2
        .value_kind:     hidden_remainder_y
      - .offset:         150
        .size:           2
        .value_kind:     hidden_remainder_z
      - .offset:         168
        .size:           8
        .value_kind:     hidden_global_offset_x
      - .offset:         176
        .size:           8
        .value_kind:     hidden_global_offset_y
      - .offset:         184
        .size:           8
        .value_kind:     hidden_global_offset_z
      - .offset:         192
        .size:           2
        .value_kind:     hidden_grid_dims
    .group_segment_fixed_size: 6400
    .kernarg_segment_align: 8
    .kernarg_segment_size: 384
    .language:       OpenCL C
    .language_version:
      - 2
      - 0
    .max_flat_workgroup_size: 128
    .name:           _ZL62rocblas_symv_kernel_lower_double_buffered_non_diagonal_genericILi32ELi4ELi4E24rocblas_internal_val_ptrIdEPKPKdPKPdEvbiT2_lT3_lllSA_lllT4_lllii
    .private_segment_fixed_size: 0
    .sgpr_count:     39
    .sgpr_spill_count: 0
    .symbol:         _ZL62rocblas_symv_kernel_lower_double_buffered_non_diagonal_genericILi32ELi4ELi4E24rocblas_internal_val_ptrIdEPKPKdPKPdEvbiT2_lT3_lllSA_lllT4_lllii.kd
    .uniform_work_group_size: 1
    .uses_dynamic_stack: false
    .vgpr_count:     82
    .vgpr_spill_count: 0
    .wavefront_size: 32
    .workgroup_processor_mode: 1
  - .args:
      - .offset:         0
        .size:           4
        .value_kind:     by_value
      - .address_space:  global
        .offset:         8
        .size:           8
        .value_kind:     global_buffer
      - .offset:         16
        .size:           8
        .value_kind:     by_value
      - .address_space:  global
        .offset:         24
        .size:           8
        .value_kind:     global_buffer
      - .offset:         32
        .size:           8
        .value_kind:     by_value
      - .offset:         40
        .size:           8
        .value_kind:     by_value
      - .offset:         48
        .size:           8
        .value_kind:     by_value
      - .address_space:  global
        .offset:         56
        .size:           8
        .value_kind:     global_buffer
      - .offset:         64
        .size:           8
        .value_kind:     by_value
      - .offset:         72
        .size:           8
        .value_kind:     by_value
      - .offset:         80
        .size:           8
        .value_kind:     by_value
      - .address_space:  global
        .offset:         88
        .size:           8
        .value_kind:     global_buffer
      - .offset:         96
        .size:           8
        .value_kind:     by_value
      - .address_space:  global
        .offset:         104
        .size:           8
        .value_kind:     global_buffer
      - .offset:         112
        .size:           4
        .value_kind:     by_value
      - .offset:         120
        .size:           4
        .value_kind:     hidden_block_count_x
      - .offset:         124
        .size:           4
        .value_kind:     hidden_block_count_y
      - .offset:         128
        .size:           4
        .value_kind:     hidden_block_count_z
      - .offset:         132
        .size:           2
        .value_kind:     hidden_group_size_x
      - .offset:         134
        .size:           2
        .value_kind:     hidden_group_size_y
      - .offset:         136
        .size:           2
        .value_kind:     hidden_group_size_z
      - .offset:         138
        .size:           2
        .value_kind:     hidden_remainder_x
      - .offset:         140
        .size:           2
        .value_kind:     hidden_remainder_y
      - .offset:         142
        .size:           2
        .value_kind:     hidden_remainder_z
      - .offset:         160
        .size:           8
        .value_kind:     hidden_global_offset_x
      - .offset:         168
        .size:           8
        .value_kind:     hidden_global_offset_y
      - .offset:         176
        .size:           8
        .value_kind:     hidden_global_offset_z
      - .offset:         184
        .size:           2
        .value_kind:     hidden_grid_dims
    .group_segment_fixed_size: 9600
    .kernarg_segment_align: 8
    .kernarg_segment_size: 376
    .language:       OpenCL C
    .language_version:
      - 2
      - 0
    .max_flat_workgroup_size: 256
    .name:           _ZL26rocblas_hemvn_kernel_lowerILb0ELi64ELi4ELi33ELi32ELi16ElPKdPKS1_PdEviT6_lT7_lT5_lS6_lS7_lS5_lT8_i
    .private_segment_fixed_size: 0
    .sgpr_count:     48
    .sgpr_spill_count: 0
    .symbol:         _ZL26rocblas_hemvn_kernel_lowerILb0ELi64ELi4ELi33ELi32ELi16ElPKdPKS1_PdEviT6_lT7_lT5_lS6_lS7_lS5_lT8_i.kd
    .uniform_work_group_size: 1
    .uses_dynamic_stack: false
    .vgpr_count:     117
    .vgpr_spill_count: 0
    .wavefront_size: 32
    .workgroup_processor_mode: 1
  - .args:
      - .offset:         0
        .size:           4
        .value_kind:     by_value
      - .address_space:  global
        .offset:         8
        .size:           8
        .value_kind:     global_buffer
      - .offset:         16
        .size:           8
        .value_kind:     by_value
      - .address_space:  global
        .offset:         24
        .size:           8
        .value_kind:     global_buffer
      - .offset:         32
        .size:           8
        .value_kind:     by_value
      - .actual_access:  read_only
        .address_space:  global
        .offset:         40
        .size:           8
        .value_kind:     global_buffer
      - .offset:         48
        .size:           8
        .value_kind:     by_value
      - .offset:         56
        .size:           8
        .value_kind:     by_value
      - .offset:         64
        .size:           8
        .value_kind:     by_value
      - .actual_access:  read_only
        .address_space:  global
        .offset:         72
        .size:           8
        .value_kind:     global_buffer
      - .offset:         80
        .size:           4
        .value_kind:     by_value
      - .offset:         88
        .size:           4
        .value_kind:     hidden_block_count_x
      - .offset:         92
        .size:           4
        .value_kind:     hidden_block_count_y
      - .offset:         96
        .size:           4
        .value_kind:     hidden_block_count_z
      - .offset:         100
        .size:           2
        .value_kind:     hidden_group_size_x
      - .offset:         102
        .size:           2
        .value_kind:     hidden_group_size_y
      - .offset:         104
        .size:           2
        .value_kind:     hidden_group_size_z
      - .offset:         106
        .size:           2
        .value_kind:     hidden_remainder_x
      - .offset:         108
        .size:           2
        .value_kind:     hidden_remainder_y
      - .offset:         110
        .size:           2
        .value_kind:     hidden_remainder_z
      - .offset:         128
        .size:           8
        .value_kind:     hidden_global_offset_x
      - .offset:         136
        .size:           8
        .value_kind:     hidden_global_offset_y
      - .offset:         144
        .size:           8
        .value_kind:     hidden_global_offset_z
      - .offset:         152
        .size:           2
        .value_kind:     hidden_grid_dims
    .group_segment_fixed_size: 0
    .kernarg_segment_align: 8
    .kernarg_segment_size: 344
    .language:       OpenCL C
    .language_version:
      - 2
      - 0
    .max_flat_workgroup_size: 64
    .name:           _ZL36rocblas_hemvn_kernel_lower_block_sumILi64ElPKdPKPddEviT1_lS5_lT2_lT0_lPT3_i
    .private_segment_fixed_size: 0
    .sgpr_count:     22
    .sgpr_spill_count: 0
    .symbol:         _ZL36rocblas_hemvn_kernel_lower_block_sumILi64ElPKdPKPddEviT1_lS5_lT2_lT0_lPT3_i.kd
    .uniform_work_group_size: 1
    .uses_dynamic_stack: false
    .vgpr_count:     9
    .vgpr_spill_count: 0
    .wavefront_size: 32
    .workgroup_processor_mode: 1
  - .args:
      - .offset:         0
        .size:           4
        .value_kind:     by_value
      - .address_space:  global
        .offset:         8
        .size:           8
        .value_kind:     global_buffer
      - .offset:         16
        .size:           8
        .value_kind:     by_value
      - .address_space:  global
        .offset:         24
        .size:           8
        .value_kind:     global_buffer
      - .offset:         32
        .size:           8
        .value_kind:     by_value
      - .offset:         40
        .size:           4
        .value_kind:     by_value
      - .offset:         48
        .size:           8
        .value_kind:     by_value
      - .address_space:  global
        .offset:         56
        .size:           8
        .value_kind:     global_buffer
      - .offset:         64
        .size:           8
        .value_kind:     by_value
      - .offset:         72
        .size:           4
        .value_kind:     by_value
      - .offset:         80
        .size:           8
        .value_kind:     by_value
      - .address_space:  global
        .offset:         88
        .size:           8
        .value_kind:     global_buffer
      - .offset:         96
        .size:           8
        .value_kind:     by_value
      - .address_space:  global
        .offset:         104
        .size:           8
        .value_kind:     global_buffer
      - .offset:         112
        .size:           4
        .value_kind:     by_value
      - .offset:         120
        .size:           4
        .value_kind:     hidden_block_count_x
      - .offset:         124
        .size:           4
        .value_kind:     hidden_block_count_y
      - .offset:         128
        .size:           4
        .value_kind:     hidden_block_count_z
      - .offset:         132
        .size:           2
        .value_kind:     hidden_group_size_x
      - .offset:         134
        .size:           2
        .value_kind:     hidden_group_size_y
      - .offset:         136
        .size:           2
        .value_kind:     hidden_group_size_z
      - .offset:         138
        .size:           2
        .value_kind:     hidden_remainder_x
      - .offset:         140
        .size:           2
        .value_kind:     hidden_remainder_y
      - .offset:         142
        .size:           2
        .value_kind:     hidden_remainder_z
      - .offset:         160
        .size:           8
        .value_kind:     hidden_global_offset_x
      - .offset:         168
        .size:           8
        .value_kind:     hidden_global_offset_y
      - .offset:         176
        .size:           8
        .value_kind:     hidden_global_offset_z
      - .offset:         184
        .size:           2
        .value_kind:     hidden_grid_dims
    .group_segment_fixed_size: 9600
    .kernarg_segment_align: 8
    .kernarg_segment_size: 376
    .language:       OpenCL C
    .language_version:
      - 2
      - 0
    .max_flat_workgroup_size: 256
    .name:           _ZL26rocblas_hemvn_kernel_lowerILb0ELi64ELi4ELi33ELi32ELi16EiPKdPKS1_PdEviT6_lT7_lT5_lS6_lS7_lS5_lT8_i
    .private_segment_fixed_size: 0
    .sgpr_count:     48
    .sgpr_spill_count: 0
    .symbol:         _ZL26rocblas_hemvn_kernel_lowerILb0ELi64ELi4ELi33ELi32ELi16EiPKdPKS1_PdEviT6_lT7_lT5_lS6_lS7_lS5_lT8_i.kd
    .uniform_work_group_size: 1
    .uses_dynamic_stack: false
    .vgpr_count:     115
    .vgpr_spill_count: 0
    .wavefront_size: 32
    .workgroup_processor_mode: 1
  - .args:
      - .offset:         0
        .size:           4
        .value_kind:     by_value
      - .address_space:  global
        .offset:         8
        .size:           8
        .value_kind:     global_buffer
      - .offset:         16
        .size:           8
        .value_kind:     by_value
      - .address_space:  global
        .offset:         24
        .size:           8
        .value_kind:     global_buffer
      - .offset:         32
        .size:           8
        .value_kind:     by_value
      - .actual_access:  read_only
        .address_space:  global
        .offset:         40
        .size:           8
        .value_kind:     global_buffer
      - .offset:         48
        .size:           8
        .value_kind:     by_value
      - .offset:         56
        .size:           4
        .value_kind:     by_value
      - .offset:         64
        .size:           8
        .value_kind:     by_value
      - .actual_access:  read_only
        .address_space:  global
        .offset:         72
        .size:           8
        .value_kind:     global_buffer
      - .offset:         80
        .size:           4
        .value_kind:     by_value
      - .offset:         88
        .size:           4
        .value_kind:     hidden_block_count_x
      - .offset:         92
        .size:           4
        .value_kind:     hidden_block_count_y
      - .offset:         96
        .size:           4
        .value_kind:     hidden_block_count_z
      - .offset:         100
        .size:           2
        .value_kind:     hidden_group_size_x
      - .offset:         102
        .size:           2
        .value_kind:     hidden_group_size_y
      - .offset:         104
        .size:           2
        .value_kind:     hidden_group_size_z
      - .offset:         106
        .size:           2
        .value_kind:     hidden_remainder_x
      - .offset:         108
        .size:           2
        .value_kind:     hidden_remainder_y
      - .offset:         110
        .size:           2
        .value_kind:     hidden_remainder_z
      - .offset:         128
        .size:           8
        .value_kind:     hidden_global_offset_x
      - .offset:         136
        .size:           8
        .value_kind:     hidden_global_offset_y
      - .offset:         144
        .size:           8
        .value_kind:     hidden_global_offset_z
      - .offset:         152
        .size:           2
        .value_kind:     hidden_grid_dims
    .group_segment_fixed_size: 0
    .kernarg_segment_align: 8
    .kernarg_segment_size: 344
    .language:       OpenCL C
    .language_version:
      - 2
      - 0
    .max_flat_workgroup_size: 64
    .name:           _ZL36rocblas_hemvn_kernel_lower_block_sumILi64EiPKdPKPddEviT1_lS5_lT2_lT0_lPT3_i
    .private_segment_fixed_size: 0
    .sgpr_count:     22
    .sgpr_spill_count: 0
    .symbol:         _ZL36rocblas_hemvn_kernel_lower_block_sumILi64EiPKdPKPddEviT1_lS5_lT2_lT0_lPT3_i.kd
    .uniform_work_group_size: 1
    .uses_dynamic_stack: false
    .vgpr_count:     7
    .vgpr_spill_count: 0
    .wavefront_size: 32
    .workgroup_processor_mode: 1
  - .args:
      - .offset:         0
        .size:           4
        .value_kind:     by_value
      - .offset:         8
        .size:           8
        .value_kind:     by_value
      - .offset:         16
        .size:           8
        .value_kind:     by_value
      - .address_space:  global
        .offset:         24
        .size:           8
        .value_kind:     global_buffer
      - .offset:         32
        .size:           8
        .value_kind:     by_value
      - .offset:         40
        .size:           8
        .value_kind:     by_value
      - .offset:         48
        .size:           8
        .value_kind:     by_value
      - .address_space:  global
        .offset:         56
        .size:           8
        .value_kind:     global_buffer
      - .offset:         64
        .size:           8
        .value_kind:     by_value
      - .offset:         72
        .size:           8
        .value_kind:     by_value
      - .offset:         80
        .size:           8
        .value_kind:     by_value
      - .offset:         88
        .size:           8
        .value_kind:     by_value
      - .offset:         96
        .size:           8
        .value_kind:     by_value
      - .address_space:  global
        .offset:         104
        .size:           8
        .value_kind:     global_buffer
      - .offset:         112
        .size:           4
        .value_kind:     by_value
      - .offset:         120
        .size:           4
        .value_kind:     hidden_block_count_x
      - .offset:         124
        .size:           4
        .value_kind:     hidden_block_count_y
      - .offset:         128
        .size:           4
        .value_kind:     hidden_block_count_z
      - .offset:         132
        .size:           2
        .value_kind:     hidden_group_size_x
      - .offset:         134
        .size:           2
        .value_kind:     hidden_group_size_y
      - .offset:         136
        .size:           2
        .value_kind:     hidden_group_size_z
      - .offset:         138
        .size:           2
        .value_kind:     hidden_remainder_x
      - .offset:         140
        .size:           2
        .value_kind:     hidden_remainder_y
      - .offset:         142
        .size:           2
        .value_kind:     hidden_remainder_z
      - .offset:         160
        .size:           8
        .value_kind:     hidden_global_offset_x
      - .offset:         168
        .size:           8
        .value_kind:     hidden_global_offset_y
      - .offset:         176
        .size:           8
        .value_kind:     hidden_global_offset_z
      - .offset:         184
        .size:           2
        .value_kind:     hidden_grid_dims
    .group_segment_fixed_size: 9600
    .kernarg_segment_align: 8
    .kernarg_segment_size: 376
    .language:       OpenCL C
    .language_version:
      - 2
      - 0
    .max_flat_workgroup_size: 256
    .name:           _ZL26rocblas_hemvn_kernel_lowerILb0ELi64ELi4ELi33ELi32ELi16EldPKPKdPdEviT6_lT7_lT5_lS6_lS7_lS5_lT8_i
    .private_segment_fixed_size: 0
    .sgpr_count:     48
    .sgpr_spill_count: 0
    .symbol:         _ZL26rocblas_hemvn_kernel_lowerILb0ELi64ELi4ELi33ELi32ELi16EldPKPKdPdEviT6_lT7_lT5_lS6_lS7_lS5_lT8_i.kd
    .uniform_work_group_size: 1
    .uses_dynamic_stack: false
    .vgpr_count:     117
    .vgpr_spill_count: 0
    .wavefront_size: 32
    .workgroup_processor_mode: 1
  - .args:
      - .offset:         0
        .size:           4
        .value_kind:     by_value
      - .offset:         8
        .size:           8
        .value_kind:     by_value
      - .offset:         16
        .size:           8
        .value_kind:     by_value
      - .offset:         24
        .size:           8
        .value_kind:     by_value
      - .offset:         32
        .size:           8
        .value_kind:     by_value
      - .actual_access:  read_only
        .address_space:  global
        .offset:         40
        .size:           8
        .value_kind:     global_buffer
      - .offset:         48
        .size:           8
        .value_kind:     by_value
      - .offset:         56
        .size:           8
        .value_kind:     by_value
      - .offset:         64
        .size:           8
        .value_kind:     by_value
      - .actual_access:  read_only
        .address_space:  global
        .offset:         72
        .size:           8
        .value_kind:     global_buffer
      - .offset:         80
        .size:           4
        .value_kind:     by_value
      - .offset:         88
        .size:           4
        .value_kind:     hidden_block_count_x
      - .offset:         92
        .size:           4
        .value_kind:     hidden_block_count_y
      - .offset:         96
        .size:           4
        .value_kind:     hidden_block_count_z
      - .offset:         100
        .size:           2
        .value_kind:     hidden_group_size_x
      - .offset:         102
        .size:           2
        .value_kind:     hidden_group_size_y
      - .offset:         104
        .size:           2
        .value_kind:     hidden_group_size_z
      - .offset:         106
        .size:           2
        .value_kind:     hidden_remainder_x
      - .offset:         108
        .size:           2
        .value_kind:     hidden_remainder_y
      - .offset:         110
        .size:           2
        .value_kind:     hidden_remainder_z
      - .offset:         128
        .size:           8
        .value_kind:     hidden_global_offset_x
      - .offset:         136
        .size:           8
        .value_kind:     hidden_global_offset_y
      - .offset:         144
        .size:           8
        .value_kind:     hidden_global_offset_z
      - .offset:         152
        .size:           2
        .value_kind:     hidden_grid_dims
    .group_segment_fixed_size: 0
    .kernarg_segment_align: 8
    .kernarg_segment_size: 344
    .language:       OpenCL C
    .language_version:
      - 2
      - 0
    .max_flat_workgroup_size: 64
    .name:           _ZL36rocblas_hemvn_kernel_lower_block_sumILi64EldPKPddEviT1_lS3_lT2_lT0_lPT3_i
    .private_segment_fixed_size: 0
    .sgpr_count:     22
    .sgpr_spill_count: 0
    .symbol:         _ZL36rocblas_hemvn_kernel_lower_block_sumILi64EldPKPddEviT1_lS3_lT2_lT0_lPT3_i.kd
    .uniform_work_group_size: 1
    .uses_dynamic_stack: false
    .vgpr_count:     9
    .vgpr_spill_count: 0
    .wavefront_size: 32
    .workgroup_processor_mode: 1
  - .args:
      - .offset:         0
        .size:           4
        .value_kind:     by_value
      - .offset:         8
        .size:           8
        .value_kind:     by_value
      - .offset:         16
        .size:           8
        .value_kind:     by_value
      - .address_space:  global
        .offset:         24
        .size:           8
        .value_kind:     global_buffer
      - .offset:         32
        .size:           8
        .value_kind:     by_value
      - .offset:         40
        .size:           4
        .value_kind:     by_value
      - .offset:         48
        .size:           8
        .value_kind:     by_value
      - .address_space:  global
        .offset:         56
        .size:           8
        .value_kind:     global_buffer
      - .offset:         64
        .size:           8
        .value_kind:     by_value
      - .offset:         72
        .size:           4
        .value_kind:     by_value
      - .offset:         80
        .size:           8
        .value_kind:     by_value
      - .offset:         88
        .size:           8
        .value_kind:     by_value
      - .offset:         96
        .size:           8
        .value_kind:     by_value
      - .address_space:  global
        .offset:         104
        .size:           8
        .value_kind:     global_buffer
      - .offset:         112
        .size:           4
        .value_kind:     by_value
      - .offset:         120
        .size:           4
        .value_kind:     hidden_block_count_x
      - .offset:         124
        .size:           4
        .value_kind:     hidden_block_count_y
      - .offset:         128
        .size:           4
        .value_kind:     hidden_block_count_z
      - .offset:         132
        .size:           2
        .value_kind:     hidden_group_size_x
      - .offset:         134
        .size:           2
        .value_kind:     hidden_group_size_y
      - .offset:         136
        .size:           2
        .value_kind:     hidden_group_size_z
      - .offset:         138
        .size:           2
        .value_kind:     hidden_remainder_x
      - .offset:         140
        .size:           2
        .value_kind:     hidden_remainder_y
      - .offset:         142
        .size:           2
        .value_kind:     hidden_remainder_z
      - .offset:         160
        .size:           8
        .value_kind:     hidden_global_offset_x
      - .offset:         168
        .size:           8
        .value_kind:     hidden_global_offset_y
      - .offset:         176
        .size:           8
        .value_kind:     hidden_global_offset_z
      - .offset:         184
        .size:           2
        .value_kind:     hidden_grid_dims
    .group_segment_fixed_size: 9600
    .kernarg_segment_align: 8
    .kernarg_segment_size: 376
    .language:       OpenCL C
    .language_version:
      - 2
      - 0
    .max_flat_workgroup_size: 256
    .name:           _ZL26rocblas_hemvn_kernel_lowerILb0ELi64ELi4ELi33ELi32ELi16EidPKPKdPdEviT6_lT7_lT5_lS6_lS7_lS5_lT8_i
    .private_segment_fixed_size: 0
    .sgpr_count:     48
    .sgpr_spill_count: 0
    .symbol:         _ZL26rocblas_hemvn_kernel_lowerILb0ELi64ELi4ELi33ELi32ELi16EidPKPKdPdEviT6_lT7_lT5_lS6_lS7_lS5_lT8_i.kd
    .uniform_work_group_size: 1
    .uses_dynamic_stack: false
    .vgpr_count:     115
    .vgpr_spill_count: 0
    .wavefront_size: 32
    .workgroup_processor_mode: 1
  - .args:
      - .offset:         0
        .size:           4
        .value_kind:     by_value
      - .offset:         8
        .size:           8
        .value_kind:     by_value
      - .offset:         16
        .size:           8
        .value_kind:     by_value
      - .offset:         24
        .size:           8
        .value_kind:     by_value
      - .offset:         32
        .size:           8
        .value_kind:     by_value
      - .actual_access:  read_only
        .address_space:  global
        .offset:         40
        .size:           8
        .value_kind:     global_buffer
      - .offset:         48
        .size:           8
        .value_kind:     by_value
      - .offset:         56
        .size:           4
        .value_kind:     by_value
      - .offset:         64
        .size:           8
        .value_kind:     by_value
      - .actual_access:  read_only
        .address_space:  global
        .offset:         72
        .size:           8
        .value_kind:     global_buffer
      - .offset:         80
        .size:           4
        .value_kind:     by_value
      - .offset:         88
        .size:           4
        .value_kind:     hidden_block_count_x
      - .offset:         92
        .size:           4
        .value_kind:     hidden_block_count_y
      - .offset:         96
        .size:           4
        .value_kind:     hidden_block_count_z
      - .offset:         100
        .size:           2
        .value_kind:     hidden_group_size_x
      - .offset:         102
        .size:           2
        .value_kind:     hidden_group_size_y
      - .offset:         104
        .size:           2
        .value_kind:     hidden_group_size_z
      - .offset:         106
        .size:           2
        .value_kind:     hidden_remainder_x
      - .offset:         108
        .size:           2
        .value_kind:     hidden_remainder_y
      - .offset:         110
        .size:           2
        .value_kind:     hidden_remainder_z
      - .offset:         128
        .size:           8
        .value_kind:     hidden_global_offset_x
      - .offset:         136
        .size:           8
        .value_kind:     hidden_global_offset_y
      - .offset:         144
        .size:           8
        .value_kind:     hidden_global_offset_z
      - .offset:         152
        .size:           2
        .value_kind:     hidden_grid_dims
    .group_segment_fixed_size: 0
    .kernarg_segment_align: 8
    .kernarg_segment_size: 344
    .language:       OpenCL C
    .language_version:
      - 2
      - 0
    .max_flat_workgroup_size: 64
    .name:           _ZL36rocblas_hemvn_kernel_lower_block_sumILi64EidPKPddEviT1_lS3_lT2_lT0_lPT3_i
    .private_segment_fixed_size: 0
    .sgpr_count:     22
    .sgpr_spill_count: 0
    .symbol:         _ZL36rocblas_hemvn_kernel_lower_block_sumILi64EidPKPddEviT1_lS3_lT2_lT0_lPT3_i.kd
    .uniform_work_group_size: 1
    .uses_dynamic_stack: false
    .vgpr_count:     7
    .vgpr_spill_count: 0
    .wavefront_size: 32
    .workgroup_processor_mode: 1
  - .args:
      - .offset:         0
        .size:           4
        .value_kind:     by_value
      - .address_space:  global
        .offset:         8
        .size:           8
        .value_kind:     global_buffer
      - .offset:         16
        .size:           8
        .value_kind:     by_value
      - .address_space:  global
        .offset:         24
        .size:           8
        .value_kind:     global_buffer
      - .offset:         32
        .size:           8
        .value_kind:     by_value
      - .offset:         40
        .size:           8
        .value_kind:     by_value
      - .offset:         48
        .size:           8
        .value_kind:     by_value
      - .address_space:  global
        .offset:         56
        .size:           8
        .value_kind:     global_buffer
      - .offset:         64
        .size:           8
        .value_kind:     by_value
      - .offset:         72
        .size:           8
        .value_kind:     by_value
      - .offset:         80
        .size:           8
        .value_kind:     by_value
      - .address_space:  global
        .offset:         88
        .size:           8
        .value_kind:     global_buffer
      - .offset:         96
        .size:           8
        .value_kind:     by_value
      - .address_space:  global
        .offset:         104
        .size:           8
        .value_kind:     global_buffer
      - .offset:         112
        .size:           4
        .value_kind:     by_value
      - .offset:         120
        .size:           4
        .value_kind:     hidden_block_count_x
      - .offset:         124
        .size:           4
        .value_kind:     hidden_block_count_y
      - .offset:         128
        .size:           4
        .value_kind:     hidden_block_count_z
      - .offset:         132
        .size:           2
        .value_kind:     hidden_group_size_x
      - .offset:         134
        .size:           2
        .value_kind:     hidden_group_size_y
      - .offset:         136
        .size:           2
        .value_kind:     hidden_group_size_z
      - .offset:         138
        .size:           2
        .value_kind:     hidden_remainder_x
      - .offset:         140
        .size:           2
        .value_kind:     hidden_remainder_y
      - .offset:         142
        .size:           2
        .value_kind:     hidden_remainder_z
      - .offset:         160
        .size:           8
        .value_kind:     hidden_global_offset_x
      - .offset:         168
        .size:           8
        .value_kind:     hidden_global_offset_y
      - .offset:         176
        .size:           8
        .value_kind:     hidden_global_offset_z
      - .offset:         184
        .size:           2
        .value_kind:     hidden_grid_dims
    .group_segment_fixed_size: 9600
    .kernarg_segment_align: 8
    .kernarg_segment_size: 376
    .language:       OpenCL C
    .language_version:
      - 2
      - 0
    .max_flat_workgroup_size: 256
    .name:           _ZL26rocblas_hemvn_kernel_upperILb0ELi64ELi4ELi33ELi32ELi16ElPK19rocblas_complex_numIfEPKS3_PS1_EviT6_lT7_lT5_lS8_lS9_lS7_lT8_i
    .private_segment_fixed_size: 0
    .sgpr_count:     32
    .sgpr_spill_count: 0
    .symbol:         _ZL26rocblas_hemvn_kernel_upperILb0ELi64ELi4ELi33ELi32ELi16ElPK19rocblas_complex_numIfEPKS3_PS1_EviT6_lT7_lT5_lS8_lS9_lS7_lT8_i.kd
    .uniform_work_group_size: 1
    .uses_dynamic_stack: false
    .vgpr_count:     160
    .vgpr_spill_count: 0
    .wavefront_size: 32
    .workgroup_processor_mode: 1
  - .args:
      - .offset:         0
        .size:           4
        .value_kind:     by_value
      - .address_space:  global
        .offset:         8
        .size:           8
        .value_kind:     global_buffer
      - .offset:         16
        .size:           8
        .value_kind:     by_value
      - .address_space:  global
        .offset:         24
        .size:           8
        .value_kind:     global_buffer
      - .offset:         32
        .size:           8
        .value_kind:     by_value
      - .offset:         40
        .size:           4
        .value_kind:     by_value
      - .offset:         48
        .size:           8
        .value_kind:     by_value
      - .address_space:  global
        .offset:         56
        .size:           8
        .value_kind:     global_buffer
      - .offset:         64
        .size:           8
        .value_kind:     by_value
      - .offset:         72
        .size:           4
        .value_kind:     by_value
      - .offset:         80
        .size:           8
        .value_kind:     by_value
      - .address_space:  global
        .offset:         88
        .size:           8
        .value_kind:     global_buffer
      - .offset:         96
        .size:           8
        .value_kind:     by_value
      - .address_space:  global
        .offset:         104
        .size:           8
        .value_kind:     global_buffer
      - .offset:         112
        .size:           4
        .value_kind:     by_value
      - .offset:         120
        .size:           4
        .value_kind:     hidden_block_count_x
      - .offset:         124
        .size:           4
        .value_kind:     hidden_block_count_y
      - .offset:         128
        .size:           4
        .value_kind:     hidden_block_count_z
      - .offset:         132
        .size:           2
        .value_kind:     hidden_group_size_x
      - .offset:         134
        .size:           2
        .value_kind:     hidden_group_size_y
      - .offset:         136
        .size:           2
        .value_kind:     hidden_group_size_z
      - .offset:         138
        .size:           2
        .value_kind:     hidden_remainder_x
      - .offset:         140
        .size:           2
        .value_kind:     hidden_remainder_y
      - .offset:         142
        .size:           2
        .value_kind:     hidden_remainder_z
      - .offset:         160
        .size:           8
        .value_kind:     hidden_global_offset_x
      - .offset:         168
        .size:           8
        .value_kind:     hidden_global_offset_y
      - .offset:         176
        .size:           8
        .value_kind:     hidden_global_offset_z
      - .offset:         184
        .size:           2
        .value_kind:     hidden_grid_dims
    .group_segment_fixed_size: 9600
    .kernarg_segment_align: 8
    .kernarg_segment_size: 376
    .language:       OpenCL C
    .language_version:
      - 2
      - 0
    .max_flat_workgroup_size: 256
    .name:           _ZL26rocblas_hemvn_kernel_upperILb0ELi64ELi4ELi33ELi32ELi16EiPK19rocblas_complex_numIfEPKS3_PS1_EviT6_lT7_lT5_lS8_lS9_lS7_lT8_i
    .private_segment_fixed_size: 0
    .sgpr_count:     40
    .sgpr_spill_count: 0
    .symbol:         _ZL26rocblas_hemvn_kernel_upperILb0ELi64ELi4ELi33ELi32ELi16EiPK19rocblas_complex_numIfEPKS3_PS1_EviT6_lT7_lT5_lS8_lS9_lS7_lT8_i.kd
    .uniform_work_group_size: 1
    .uses_dynamic_stack: false
    .vgpr_count:     161
    .vgpr_spill_count: 0
    .wavefront_size: 32
    .workgroup_processor_mode: 1
  - .args:
      - .offset:         0
        .size:           4
        .value_kind:     by_value
      - .offset:         4
        .size:           8
        .value_kind:     by_value
      - .offset:         16
        .size:           8
        .value_kind:     by_value
      - .address_space:  global
        .offset:         24
        .size:           8
        .value_kind:     global_buffer
      - .offset:         32
        .size:           8
        .value_kind:     by_value
      - .offset:         40
        .size:           8
        .value_kind:     by_value
      - .offset:         48
        .size:           8
        .value_kind:     by_value
      - .address_space:  global
        .offset:         56
        .size:           8
        .value_kind:     global_buffer
      - .offset:         64
        .size:           8
        .value_kind:     by_value
      - .offset:         72
        .size:           8
        .value_kind:     by_value
      - .offset:         80
        .size:           8
        .value_kind:     by_value
      - .offset:         88
        .size:           8
        .value_kind:     by_value
      - .offset:         96
        .size:           8
        .value_kind:     by_value
      - .address_space:  global
        .offset:         104
        .size:           8
        .value_kind:     global_buffer
      - .offset:         112
        .size:           4
        .value_kind:     by_value
      - .offset:         120
        .size:           4
        .value_kind:     hidden_block_count_x
      - .offset:         124
        .size:           4
        .value_kind:     hidden_block_count_y
      - .offset:         128
        .size:           4
        .value_kind:     hidden_block_count_z
      - .offset:         132
        .size:           2
        .value_kind:     hidden_group_size_x
      - .offset:         134
        .size:           2
        .value_kind:     hidden_group_size_y
      - .offset:         136
        .size:           2
        .value_kind:     hidden_group_size_z
      - .offset:         138
        .size:           2
        .value_kind:     hidden_remainder_x
      - .offset:         140
        .size:           2
        .value_kind:     hidden_remainder_y
      - .offset:         142
        .size:           2
        .value_kind:     hidden_remainder_z
      - .offset:         160
        .size:           8
        .value_kind:     hidden_global_offset_x
      - .offset:         168
        .size:           8
        .value_kind:     hidden_global_offset_y
      - .offset:         176
        .size:           8
        .value_kind:     hidden_global_offset_z
      - .offset:         184
        .size:           2
        .value_kind:     hidden_grid_dims
    .group_segment_fixed_size: 9600
    .kernarg_segment_align: 8
    .kernarg_segment_size: 376
    .language:       OpenCL C
    .language_version:
      - 2
      - 0
    .max_flat_workgroup_size: 256
    .name:           _ZL26rocblas_hemvn_kernel_upperILb0ELi64ELi4ELi33ELi32ELi16El19rocblas_complex_numIfEPKPKS1_PS1_EviT6_lT7_lT5_lS8_lS9_lS7_lT8_i
    .private_segment_fixed_size: 0
    .sgpr_count:     32
    .sgpr_spill_count: 0
    .symbol:         _ZL26rocblas_hemvn_kernel_upperILb0ELi64ELi4ELi33ELi32ELi16El19rocblas_complex_numIfEPKPKS1_PS1_EviT6_lT7_lT5_lS8_lS9_lS7_lT8_i.kd
    .uniform_work_group_size: 1
    .uses_dynamic_stack: false
    .vgpr_count:     160
    .vgpr_spill_count: 0
    .wavefront_size: 32
    .workgroup_processor_mode: 1
  - .args:
      - .offset:         0
        .size:           4
        .value_kind:     by_value
      - .offset:         4
        .size:           8
        .value_kind:     by_value
      - .offset:         16
        .size:           8
        .value_kind:     by_value
      - .address_space:  global
        .offset:         24
        .size:           8
        .value_kind:     global_buffer
      - .offset:         32
        .size:           8
        .value_kind:     by_value
      - .offset:         40
        .size:           4
        .value_kind:     by_value
      - .offset:         48
        .size:           8
        .value_kind:     by_value
      - .address_space:  global
        .offset:         56
        .size:           8
        .value_kind:     global_buffer
      - .offset:         64
        .size:           8
        .value_kind:     by_value
      - .offset:         72
        .size:           4
        .value_kind:     by_value
      - .offset:         80
        .size:           8
        .value_kind:     by_value
      - .offset:         88
        .size:           8
        .value_kind:     by_value
      - .offset:         96
        .size:           8
        .value_kind:     by_value
      - .address_space:  global
        .offset:         104
        .size:           8
        .value_kind:     global_buffer
      - .offset:         112
        .size:           4
        .value_kind:     by_value
      - .offset:         120
        .size:           4
        .value_kind:     hidden_block_count_x
      - .offset:         124
        .size:           4
        .value_kind:     hidden_block_count_y
      - .offset:         128
        .size:           4
        .value_kind:     hidden_block_count_z
      - .offset:         132
        .size:           2
        .value_kind:     hidden_group_size_x
      - .offset:         134
        .size:           2
        .value_kind:     hidden_group_size_y
      - .offset:         136
        .size:           2
        .value_kind:     hidden_group_size_z
      - .offset:         138
        .size:           2
        .value_kind:     hidden_remainder_x
      - .offset:         140
        .size:           2
        .value_kind:     hidden_remainder_y
      - .offset:         142
        .size:           2
        .value_kind:     hidden_remainder_z
      - .offset:         160
        .size:           8
        .value_kind:     hidden_global_offset_x
      - .offset:         168
        .size:           8
        .value_kind:     hidden_global_offset_y
      - .offset:         176
        .size:           8
        .value_kind:     hidden_global_offset_z
      - .offset:         184
        .size:           2
        .value_kind:     hidden_grid_dims
    .group_segment_fixed_size: 9600
    .kernarg_segment_align: 8
    .kernarg_segment_size: 376
    .language:       OpenCL C
    .language_version:
      - 2
      - 0
    .max_flat_workgroup_size: 256
    .name:           _ZL26rocblas_hemvn_kernel_upperILb0ELi64ELi4ELi33ELi32ELi16Ei19rocblas_complex_numIfEPKPKS1_PS1_EviT6_lT7_lT5_lS8_lS9_lS7_lT8_i
    .private_segment_fixed_size: 0
    .sgpr_count:     40
    .sgpr_spill_count: 0
    .symbol:         _ZL26rocblas_hemvn_kernel_upperILb0ELi64ELi4ELi33ELi32ELi16Ei19rocblas_complex_numIfEPKPKS1_PS1_EviT6_lT7_lT5_lS8_lS9_lS7_lT8_i.kd
    .uniform_work_group_size: 1
    .uses_dynamic_stack: false
    .vgpr_count:     161
    .vgpr_spill_count: 0
    .wavefront_size: 32
    .workgroup_processor_mode: 1
  - .args:
      - .offset:         0
        .size:           4
        .value_kind:     by_value
      - .address_space:  global
        .offset:         8
        .size:           8
        .value_kind:     global_buffer
      - .offset:         16
        .size:           8
        .value_kind:     by_value
      - .address_space:  global
        .offset:         24
        .size:           8
        .value_kind:     global_buffer
      - .offset:         32
        .size:           8
        .value_kind:     by_value
      - .offset:         40
        .size:           8
        .value_kind:     by_value
      - .offset:         48
        .size:           8
        .value_kind:     by_value
      - .address_space:  global
        .offset:         56
        .size:           8
        .value_kind:     global_buffer
      - .offset:         64
        .size:           8
        .value_kind:     by_value
      - .offset:         72
        .size:           8
        .value_kind:     by_value
      - .offset:         80
        .size:           8
        .value_kind:     by_value
      - .address_space:  global
        .offset:         88
        .size:           8
        .value_kind:     global_buffer
      - .offset:         96
        .size:           8
        .value_kind:     by_value
      - .address_space:  global
        .offset:         104
        .size:           8
        .value_kind:     global_buffer
      - .offset:         112
        .size:           4
        .value_kind:     by_value
      - .offset:         120
        .size:           4
        .value_kind:     hidden_block_count_x
      - .offset:         124
        .size:           4
        .value_kind:     hidden_block_count_y
      - .offset:         128
        .size:           4
        .value_kind:     hidden_block_count_z
      - .offset:         132
        .size:           2
        .value_kind:     hidden_group_size_x
      - .offset:         134
        .size:           2
        .value_kind:     hidden_group_size_y
      - .offset:         136
        .size:           2
        .value_kind:     hidden_group_size_z
      - .offset:         138
        .size:           2
        .value_kind:     hidden_remainder_x
      - .offset:         140
        .size:           2
        .value_kind:     hidden_remainder_y
      - .offset:         142
        .size:           2
        .value_kind:     hidden_remainder_z
      - .offset:         160
        .size:           8
        .value_kind:     hidden_global_offset_x
      - .offset:         168
        .size:           8
        .value_kind:     hidden_global_offset_y
      - .offset:         176
        .size:           8
        .value_kind:     hidden_global_offset_z
      - .offset:         184
        .size:           2
        .value_kind:     hidden_grid_dims
    .group_segment_fixed_size: 9600
    .kernarg_segment_align: 8
    .kernarg_segment_size: 376
    .language:       OpenCL C
    .language_version:
      - 2
      - 0
    .max_flat_workgroup_size: 256
    .name:           _ZL26rocblas_hemvn_kernel_lowerILb0ELi64ELi4ELi33ELi32ELi16ElPK19rocblas_complex_numIfEPKS3_PS1_EviT6_lT7_lT5_lS8_lS9_lS7_lT8_i
    .private_segment_fixed_size: 0
    .sgpr_count:     48
    .sgpr_spill_count: 0
    .symbol:         _ZL26rocblas_hemvn_kernel_lowerILb0ELi64ELi4ELi33ELi32ELi16ElPK19rocblas_complex_numIfEPKS3_PS1_EviT6_lT7_lT5_lS8_lS9_lS7_lT8_i.kd
    .uniform_work_group_size: 1
    .uses_dynamic_stack: false
    .vgpr_count:     117
    .vgpr_spill_count: 0
    .wavefront_size: 32
    .workgroup_processor_mode: 1
  - .args:
      - .offset:         0
        .size:           4
        .value_kind:     by_value
      - .address_space:  global
        .offset:         8
        .size:           8
        .value_kind:     global_buffer
      - .offset:         16
        .size:           8
        .value_kind:     by_value
      - .address_space:  global
        .offset:         24
        .size:           8
        .value_kind:     global_buffer
      - .offset:         32
        .size:           8
        .value_kind:     by_value
      - .offset:         40
        .size:           4
        .value_kind:     by_value
      - .offset:         48
        .size:           8
        .value_kind:     by_value
      - .address_space:  global
        .offset:         56
        .size:           8
        .value_kind:     global_buffer
      - .offset:         64
        .size:           8
        .value_kind:     by_value
      - .offset:         72
        .size:           4
        .value_kind:     by_value
      - .offset:         80
        .size:           8
        .value_kind:     by_value
      - .address_space:  global
        .offset:         88
        .size:           8
        .value_kind:     global_buffer
      - .offset:         96
        .size:           8
        .value_kind:     by_value
      - .address_space:  global
        .offset:         104
        .size:           8
        .value_kind:     global_buffer
      - .offset:         112
        .size:           4
        .value_kind:     by_value
      - .offset:         120
        .size:           4
        .value_kind:     hidden_block_count_x
      - .offset:         124
        .size:           4
        .value_kind:     hidden_block_count_y
      - .offset:         128
        .size:           4
        .value_kind:     hidden_block_count_z
      - .offset:         132
        .size:           2
        .value_kind:     hidden_group_size_x
      - .offset:         134
        .size:           2
        .value_kind:     hidden_group_size_y
      - .offset:         136
        .size:           2
        .value_kind:     hidden_group_size_z
      - .offset:         138
        .size:           2
        .value_kind:     hidden_remainder_x
      - .offset:         140
        .size:           2
        .value_kind:     hidden_remainder_y
      - .offset:         142
        .size:           2
        .value_kind:     hidden_remainder_z
      - .offset:         160
        .size:           8
        .value_kind:     hidden_global_offset_x
      - .offset:         168
        .size:           8
        .value_kind:     hidden_global_offset_y
      - .offset:         176
        .size:           8
        .value_kind:     hidden_global_offset_z
      - .offset:         184
        .size:           2
        .value_kind:     hidden_grid_dims
    .group_segment_fixed_size: 9600
    .kernarg_segment_align: 8
    .kernarg_segment_size: 376
    .language:       OpenCL C
    .language_version:
      - 2
      - 0
    .max_flat_workgroup_size: 256
    .name:           _ZL26rocblas_hemvn_kernel_lowerILb0ELi64ELi4ELi33ELi32ELi16EiPK19rocblas_complex_numIfEPKS3_PS1_EviT6_lT7_lT5_lS8_lS9_lS7_lT8_i
    .private_segment_fixed_size: 0
    .sgpr_count:     48
    .sgpr_spill_count: 0
    .symbol:         _ZL26rocblas_hemvn_kernel_lowerILb0ELi64ELi4ELi33ELi32ELi16EiPK19rocblas_complex_numIfEPKS3_PS1_EviT6_lT7_lT5_lS8_lS9_lS7_lT8_i.kd
    .uniform_work_group_size: 1
    .uses_dynamic_stack: false
    .vgpr_count:     115
    .vgpr_spill_count: 0
    .wavefront_size: 32
    .workgroup_processor_mode: 1
  - .args:
      - .offset:         0
        .size:           4
        .value_kind:     by_value
      - .offset:         4
        .size:           8
        .value_kind:     by_value
      - .offset:         16
        .size:           8
        .value_kind:     by_value
      - .address_space:  global
        .offset:         24
        .size:           8
        .value_kind:     global_buffer
      - .offset:         32
        .size:           8
        .value_kind:     by_value
      - .offset:         40
        .size:           8
        .value_kind:     by_value
      - .offset:         48
        .size:           8
        .value_kind:     by_value
      - .address_space:  global
        .offset:         56
        .size:           8
        .value_kind:     global_buffer
      - .offset:         64
        .size:           8
        .value_kind:     by_value
      - .offset:         72
        .size:           8
        .value_kind:     by_value
      - .offset:         80
        .size:           8
        .value_kind:     by_value
      - .offset:         88
        .size:           8
        .value_kind:     by_value
      - .offset:         96
        .size:           8
        .value_kind:     by_value
      - .address_space:  global
        .offset:         104
        .size:           8
        .value_kind:     global_buffer
      - .offset:         112
        .size:           4
        .value_kind:     by_value
      - .offset:         120
        .size:           4
        .value_kind:     hidden_block_count_x
      - .offset:         124
        .size:           4
        .value_kind:     hidden_block_count_y
      - .offset:         128
        .size:           4
        .value_kind:     hidden_block_count_z
      - .offset:         132
        .size:           2
        .value_kind:     hidden_group_size_x
      - .offset:         134
        .size:           2
        .value_kind:     hidden_group_size_y
      - .offset:         136
        .size:           2
        .value_kind:     hidden_group_size_z
      - .offset:         138
        .size:           2
        .value_kind:     hidden_remainder_x
      - .offset:         140
        .size:           2
        .value_kind:     hidden_remainder_y
      - .offset:         142
        .size:           2
        .value_kind:     hidden_remainder_z
      - .offset:         160
        .size:           8
        .value_kind:     hidden_global_offset_x
      - .offset:         168
        .size:           8
        .value_kind:     hidden_global_offset_y
      - .offset:         176
        .size:           8
        .value_kind:     hidden_global_offset_z
      - .offset:         184
        .size:           2
        .value_kind:     hidden_grid_dims
    .group_segment_fixed_size: 9600
    .kernarg_segment_align: 8
    .kernarg_segment_size: 376
    .language:       OpenCL C
    .language_version:
      - 2
      - 0
    .max_flat_workgroup_size: 256
    .name:           _ZL26rocblas_hemvn_kernel_lowerILb0ELi64ELi4ELi33ELi32ELi16El19rocblas_complex_numIfEPKPKS1_PS1_EviT6_lT7_lT5_lS8_lS9_lS7_lT8_i
    .private_segment_fixed_size: 0
    .sgpr_count:     48
    .sgpr_spill_count: 0
    .symbol:         _ZL26rocblas_hemvn_kernel_lowerILb0ELi64ELi4ELi33ELi32ELi16El19rocblas_complex_numIfEPKPKS1_PS1_EviT6_lT7_lT5_lS8_lS9_lS7_lT8_i.kd
    .uniform_work_group_size: 1
    .uses_dynamic_stack: false
    .vgpr_count:     117
    .vgpr_spill_count: 0
    .wavefront_size: 32
    .workgroup_processor_mode: 1
  - .args:
      - .offset:         0
        .size:           4
        .value_kind:     by_value
      - .offset:         4
        .size:           8
        .value_kind:     by_value
      - .offset:         16
        .size:           8
        .value_kind:     by_value
      - .address_space:  global
        .offset:         24
        .size:           8
        .value_kind:     global_buffer
      - .offset:         32
        .size:           8
        .value_kind:     by_value
      - .offset:         40
        .size:           4
        .value_kind:     by_value
      - .offset:         48
        .size:           8
        .value_kind:     by_value
      - .address_space:  global
        .offset:         56
        .size:           8
        .value_kind:     global_buffer
      - .offset:         64
        .size:           8
        .value_kind:     by_value
      - .offset:         72
        .size:           4
        .value_kind:     by_value
      - .offset:         80
        .size:           8
        .value_kind:     by_value
      - .offset:         88
        .size:           8
        .value_kind:     by_value
      - .offset:         96
        .size:           8
        .value_kind:     by_value
      - .address_space:  global
        .offset:         104
        .size:           8
        .value_kind:     global_buffer
      - .offset:         112
        .size:           4
        .value_kind:     by_value
      - .offset:         120
        .size:           4
        .value_kind:     hidden_block_count_x
      - .offset:         124
        .size:           4
        .value_kind:     hidden_block_count_y
      - .offset:         128
        .size:           4
        .value_kind:     hidden_block_count_z
      - .offset:         132
        .size:           2
        .value_kind:     hidden_group_size_x
      - .offset:         134
        .size:           2
        .value_kind:     hidden_group_size_y
      - .offset:         136
        .size:           2
        .value_kind:     hidden_group_size_z
      - .offset:         138
        .size:           2
        .value_kind:     hidden_remainder_x
      - .offset:         140
        .size:           2
        .value_kind:     hidden_remainder_y
      - .offset:         142
        .size:           2
        .value_kind:     hidden_remainder_z
      - .offset:         160
        .size:           8
        .value_kind:     hidden_global_offset_x
      - .offset:         168
        .size:           8
        .value_kind:     hidden_global_offset_y
      - .offset:         176
        .size:           8
        .value_kind:     hidden_global_offset_z
      - .offset:         184
        .size:           2
        .value_kind:     hidden_grid_dims
    .group_segment_fixed_size: 9600
    .kernarg_segment_align: 8
    .kernarg_segment_size: 376
    .language:       OpenCL C
    .language_version:
      - 2
      - 0
    .max_flat_workgroup_size: 256
    .name:           _ZL26rocblas_hemvn_kernel_lowerILb0ELi64ELi4ELi33ELi32ELi16Ei19rocblas_complex_numIfEPKPKS1_PS1_EviT6_lT7_lT5_lS8_lS9_lS7_lT8_i
    .private_segment_fixed_size: 0
    .sgpr_count:     48
    .sgpr_spill_count: 0
    .symbol:         _ZL26rocblas_hemvn_kernel_lowerILb0ELi64ELi4ELi33ELi32ELi16Ei19rocblas_complex_numIfEPKPKS1_PS1_EviT6_lT7_lT5_lS8_lS9_lS7_lT8_i.kd
    .uniform_work_group_size: 1
    .uses_dynamic_stack: false
    .vgpr_count:     115
    .vgpr_spill_count: 0
    .wavefront_size: 32
    .workgroup_processor_mode: 1
  - .args:
      - .offset:         0
        .size:           4
        .value_kind:     by_value
      - .address_space:  global
        .offset:         8
        .size:           8
        .value_kind:     global_buffer
      - .offset:         16
        .size:           8
        .value_kind:     by_value
      - .address_space:  global
        .offset:         24
        .size:           8
        .value_kind:     global_buffer
      - .offset:         32
        .size:           8
        .value_kind:     by_value
      - .offset:         40
        .size:           8
        .value_kind:     by_value
      - .offset:         48
        .size:           8
        .value_kind:     by_value
      - .address_space:  global
        .offset:         56
        .size:           8
        .value_kind:     global_buffer
      - .offset:         64
        .size:           8
        .value_kind:     by_value
      - .offset:         72
        .size:           8
        .value_kind:     by_value
      - .offset:         80
        .size:           8
        .value_kind:     by_value
      - .address_space:  global
        .offset:         88
        .size:           8
        .value_kind:     global_buffer
      - .offset:         96
        .size:           8
        .value_kind:     by_value
      - .address_space:  global
        .offset:         104
        .size:           8
        .value_kind:     global_buffer
      - .offset:         112
        .size:           4
        .value_kind:     by_value
      - .offset:         120
        .size:           4
        .value_kind:     hidden_block_count_x
      - .offset:         124
        .size:           4
        .value_kind:     hidden_block_count_y
      - .offset:         128
        .size:           4
        .value_kind:     hidden_block_count_z
      - .offset:         132
        .size:           2
        .value_kind:     hidden_group_size_x
      - .offset:         134
        .size:           2
        .value_kind:     hidden_group_size_y
      - .offset:         136
        .size:           2
        .value_kind:     hidden_group_size_z
      - .offset:         138
        .size:           2
        .value_kind:     hidden_remainder_x
      - .offset:         140
        .size:           2
        .value_kind:     hidden_remainder_y
      - .offset:         142
        .size:           2
        .value_kind:     hidden_remainder_z
      - .offset:         160
        .size:           8
        .value_kind:     hidden_global_offset_x
      - .offset:         168
        .size:           8
        .value_kind:     hidden_global_offset_y
      - .offset:         176
        .size:           8
        .value_kind:     hidden_global_offset_z
      - .offset:         184
        .size:           2
        .value_kind:     hidden_grid_dims
    .group_segment_fixed_size: 19200
    .kernarg_segment_align: 8
    .kernarg_segment_size: 376
    .language:       OpenCL C
    .language_version:
      - 2
      - 0
    .max_flat_workgroup_size: 256
    .name:           _ZL26rocblas_hemvn_kernel_upperILb0ELi64ELi4ELi33ELi32ELi16ElPK19rocblas_complex_numIdEPKS3_PS1_EviT6_lT7_lT5_lS8_lS9_lS7_lT8_i
    .private_segment_fixed_size: 0
    .sgpr_count:     32
    .sgpr_spill_count: 0
    .symbol:         _ZL26rocblas_hemvn_kernel_upperILb0ELi64ELi4ELi33ELi32ELi16ElPK19rocblas_complex_numIdEPKS3_PS1_EviT6_lT7_lT5_lS8_lS9_lS7_lT8_i.kd
    .uniform_work_group_size: 1
    .uses_dynamic_stack: false
    .vgpr_count:     248
    .vgpr_spill_count: 0
    .wavefront_size: 32
    .workgroup_processor_mode: 1
  - .args:
      - .offset:         0
        .size:           4
        .value_kind:     by_value
      - .address_space:  global
        .offset:         8
        .size:           8
        .value_kind:     global_buffer
      - .offset:         16
        .size:           8
        .value_kind:     by_value
      - .address_space:  global
        .offset:         24
        .size:           8
        .value_kind:     global_buffer
      - .offset:         32
        .size:           8
        .value_kind:     by_value
      - .offset:         40
        .size:           4
        .value_kind:     by_value
      - .offset:         48
        .size:           8
        .value_kind:     by_value
      - .address_space:  global
        .offset:         56
        .size:           8
        .value_kind:     global_buffer
      - .offset:         64
        .size:           8
        .value_kind:     by_value
      - .offset:         72
        .size:           4
        .value_kind:     by_value
      - .offset:         80
        .size:           8
        .value_kind:     by_value
      - .address_space:  global
        .offset:         88
        .size:           8
        .value_kind:     global_buffer
      - .offset:         96
        .size:           8
        .value_kind:     by_value
      - .address_space:  global
        .offset:         104
        .size:           8
        .value_kind:     global_buffer
      - .offset:         112
        .size:           4
        .value_kind:     by_value
      - .offset:         120
        .size:           4
        .value_kind:     hidden_block_count_x
      - .offset:         124
        .size:           4
        .value_kind:     hidden_block_count_y
      - .offset:         128
        .size:           4
        .value_kind:     hidden_block_count_z
      - .offset:         132
        .size:           2
        .value_kind:     hidden_group_size_x
      - .offset:         134
        .size:           2
        .value_kind:     hidden_group_size_y
      - .offset:         136
        .size:           2
        .value_kind:     hidden_group_size_z
      - .offset:         138
        .size:           2
        .value_kind:     hidden_remainder_x
      - .offset:         140
        .size:           2
        .value_kind:     hidden_remainder_y
      - .offset:         142
        .size:           2
        .value_kind:     hidden_remainder_z
      - .offset:         160
        .size:           8
        .value_kind:     hidden_global_offset_x
      - .offset:         168
        .size:           8
        .value_kind:     hidden_global_offset_y
      - .offset:         176
        .size:           8
        .value_kind:     hidden_global_offset_z
      - .offset:         184
        .size:           2
        .value_kind:     hidden_grid_dims
    .group_segment_fixed_size: 19200
    .kernarg_segment_align: 8
    .kernarg_segment_size: 376
    .language:       OpenCL C
    .language_version:
      - 2
      - 0
    .max_flat_workgroup_size: 256
    .name:           _ZL26rocblas_hemvn_kernel_upperILb0ELi64ELi4ELi33ELi32ELi16EiPK19rocblas_complex_numIdEPKS3_PS1_EviT6_lT7_lT5_lS8_lS9_lS7_lT8_i
    .private_segment_fixed_size: 0
    .sgpr_count:     39
    .sgpr_spill_count: 0
    .symbol:         _ZL26rocblas_hemvn_kernel_upperILb0ELi64ELi4ELi33ELi32ELi16EiPK19rocblas_complex_numIdEPKS3_PS1_EviT6_lT7_lT5_lS8_lS9_lS7_lT8_i.kd
    .uniform_work_group_size: 1
    .uses_dynamic_stack: false
    .vgpr_count:     239
    .vgpr_spill_count: 0
    .wavefront_size: 32
    .workgroup_processor_mode: 1
  - .args:
      - .offset:         0
        .size:           4
        .value_kind:     by_value
      - .offset:         8
        .size:           16
        .value_kind:     by_value
      - .offset:         24
        .size:           8
        .value_kind:     by_value
      - .address_space:  global
        .offset:         32
        .size:           8
        .value_kind:     global_buffer
      - .offset:         40
        .size:           8
        .value_kind:     by_value
      - .offset:         48
        .size:           8
        .value_kind:     by_value
      - .offset:         56
        .size:           8
        .value_kind:     by_value
      - .address_space:  global
        .offset:         64
        .size:           8
        .value_kind:     global_buffer
      - .offset:         72
        .size:           8
        .value_kind:     by_value
      - .offset:         80
        .size:           8
        .value_kind:     by_value
      - .offset:         88
        .size:           8
        .value_kind:     by_value
      - .offset:         96
        .size:           16
        .value_kind:     by_value
      - .offset:         112
        .size:           8
        .value_kind:     by_value
      - .address_space:  global
        .offset:         120
        .size:           8
        .value_kind:     global_buffer
      - .offset:         128
        .size:           4
        .value_kind:     by_value
      - .offset:         136
        .size:           4
        .value_kind:     hidden_block_count_x
      - .offset:         140
        .size:           4
        .value_kind:     hidden_block_count_y
      - .offset:         144
        .size:           4
        .value_kind:     hidden_block_count_z
      - .offset:         148
        .size:           2
        .value_kind:     hidden_group_size_x
      - .offset:         150
        .size:           2
        .value_kind:     hidden_group_size_y
      - .offset:         152
        .size:           2
        .value_kind:     hidden_group_size_z
      - .offset:         154
        .size:           2
        .value_kind:     hidden_remainder_x
      - .offset:         156
        .size:           2
        .value_kind:     hidden_remainder_y
      - .offset:         158
        .size:           2
        .value_kind:     hidden_remainder_z
      - .offset:         176
        .size:           8
        .value_kind:     hidden_global_offset_x
      - .offset:         184
        .size:           8
        .value_kind:     hidden_global_offset_y
      - .offset:         192
        .size:           8
        .value_kind:     hidden_global_offset_z
      - .offset:         200
        .size:           2
        .value_kind:     hidden_grid_dims
    .group_segment_fixed_size: 19200
    .kernarg_segment_align: 8
    .kernarg_segment_size: 392
    .language:       OpenCL C
    .language_version:
      - 2
      - 0
    .max_flat_workgroup_size: 256
    .name:           _ZL26rocblas_hemvn_kernel_upperILb0ELi64ELi4ELi33ELi32ELi16El19rocblas_complex_numIdEPKPKS1_PS1_EviT6_lT7_lT5_lS8_lS9_lS7_lT8_i
    .private_segment_fixed_size: 0
    .sgpr_count:     32
    .sgpr_spill_count: 0
    .symbol:         _ZL26rocblas_hemvn_kernel_upperILb0ELi64ELi4ELi33ELi32ELi16El19rocblas_complex_numIdEPKPKS1_PS1_EviT6_lT7_lT5_lS8_lS9_lS7_lT8_i.kd
    .uniform_work_group_size: 1
    .uses_dynamic_stack: false
    .vgpr_count:     248
    .vgpr_spill_count: 0
    .wavefront_size: 32
    .workgroup_processor_mode: 1
  - .args:
      - .offset:         0
        .size:           4
        .value_kind:     by_value
      - .offset:         8
        .size:           16
        .value_kind:     by_value
      - .offset:         24
        .size:           8
        .value_kind:     by_value
      - .address_space:  global
        .offset:         32
        .size:           8
        .value_kind:     global_buffer
      - .offset:         40
        .size:           8
        .value_kind:     by_value
      - .offset:         48
        .size:           4
        .value_kind:     by_value
      - .offset:         56
        .size:           8
        .value_kind:     by_value
      - .address_space:  global
        .offset:         64
        .size:           8
        .value_kind:     global_buffer
      - .offset:         72
        .size:           8
        .value_kind:     by_value
      - .offset:         80
        .size:           4
        .value_kind:     by_value
      - .offset:         88
        .size:           8
        .value_kind:     by_value
      - .offset:         96
        .size:           16
        .value_kind:     by_value
      - .offset:         112
        .size:           8
        .value_kind:     by_value
      - .address_space:  global
        .offset:         120
        .size:           8
        .value_kind:     global_buffer
      - .offset:         128
        .size:           4
        .value_kind:     by_value
      - .offset:         136
        .size:           4
        .value_kind:     hidden_block_count_x
      - .offset:         140
        .size:           4
        .value_kind:     hidden_block_count_y
      - .offset:         144
        .size:           4
        .value_kind:     hidden_block_count_z
      - .offset:         148
        .size:           2
        .value_kind:     hidden_group_size_x
      - .offset:         150
        .size:           2
        .value_kind:     hidden_group_size_y
      - .offset:         152
        .size:           2
        .value_kind:     hidden_group_size_z
      - .offset:         154
        .size:           2
        .value_kind:     hidden_remainder_x
      - .offset:         156
        .size:           2
        .value_kind:     hidden_remainder_y
      - .offset:         158
        .size:           2
        .value_kind:     hidden_remainder_z
      - .offset:         176
        .size:           8
        .value_kind:     hidden_global_offset_x
      - .offset:         184
        .size:           8
        .value_kind:     hidden_global_offset_y
      - .offset:         192
        .size:           8
        .value_kind:     hidden_global_offset_z
      - .offset:         200
        .size:           2
        .value_kind:     hidden_grid_dims
    .group_segment_fixed_size: 19200
    .kernarg_segment_align: 8
    .kernarg_segment_size: 392
    .language:       OpenCL C
    .language_version:
      - 2
      - 0
    .max_flat_workgroup_size: 256
    .name:           _ZL26rocblas_hemvn_kernel_upperILb0ELi64ELi4ELi33ELi32ELi16Ei19rocblas_complex_numIdEPKPKS1_PS1_EviT6_lT7_lT5_lS8_lS9_lS7_lT8_i
    .private_segment_fixed_size: 0
    .sgpr_count:     39
    .sgpr_spill_count: 0
    .symbol:         _ZL26rocblas_hemvn_kernel_upperILb0ELi64ELi4ELi33ELi32ELi16Ei19rocblas_complex_numIdEPKPKS1_PS1_EviT6_lT7_lT5_lS8_lS9_lS7_lT8_i.kd
    .uniform_work_group_size: 1
    .uses_dynamic_stack: false
    .vgpr_count:     239
    .vgpr_spill_count: 0
    .wavefront_size: 32
    .workgroup_processor_mode: 1
  - .args:
      - .offset:         0
        .size:           4
        .value_kind:     by_value
      - .address_space:  global
        .offset:         8
        .size:           8
        .value_kind:     global_buffer
      - .offset:         16
        .size:           8
        .value_kind:     by_value
      - .address_space:  global
        .offset:         24
        .size:           8
        .value_kind:     global_buffer
      - .offset:         32
        .size:           8
        .value_kind:     by_value
      - .offset:         40
        .size:           8
        .value_kind:     by_value
      - .offset:         48
        .size:           8
        .value_kind:     by_value
      - .address_space:  global
        .offset:         56
        .size:           8
        .value_kind:     global_buffer
      - .offset:         64
        .size:           8
        .value_kind:     by_value
      - .offset:         72
        .size:           8
        .value_kind:     by_value
      - .offset:         80
        .size:           8
        .value_kind:     by_value
      - .address_space:  global
        .offset:         88
        .size:           8
        .value_kind:     global_buffer
      - .offset:         96
        .size:           8
        .value_kind:     by_value
      - .address_space:  global
        .offset:         104
        .size:           8
        .value_kind:     global_buffer
      - .offset:         112
        .size:           4
        .value_kind:     by_value
      - .offset:         120
        .size:           4
        .value_kind:     hidden_block_count_x
      - .offset:         124
        .size:           4
        .value_kind:     hidden_block_count_y
      - .offset:         128
        .size:           4
        .value_kind:     hidden_block_count_z
      - .offset:         132
        .size:           2
        .value_kind:     hidden_group_size_x
      - .offset:         134
        .size:           2
        .value_kind:     hidden_group_size_y
      - .offset:         136
        .size:           2
        .value_kind:     hidden_group_size_z
      - .offset:         138
        .size:           2
        .value_kind:     hidden_remainder_x
      - .offset:         140
        .size:           2
        .value_kind:     hidden_remainder_y
      - .offset:         142
        .size:           2
        .value_kind:     hidden_remainder_z
      - .offset:         160
        .size:           8
        .value_kind:     hidden_global_offset_x
      - .offset:         168
        .size:           8
        .value_kind:     hidden_global_offset_y
      - .offset:         176
        .size:           8
        .value_kind:     hidden_global_offset_z
      - .offset:         184
        .size:           2
        .value_kind:     hidden_grid_dims
    .group_segment_fixed_size: 19200
    .kernarg_segment_align: 8
    .kernarg_segment_size: 376
    .language:       OpenCL C
    .language_version:
      - 2
      - 0
    .max_flat_workgroup_size: 256
    .name:           _ZL26rocblas_hemvn_kernel_lowerILb0ELi64ELi4ELi33ELi32ELi16ElPK19rocblas_complex_numIdEPKS3_PS1_EviT6_lT7_lT5_lS8_lS9_lS7_lT8_i
    .private_segment_fixed_size: 0
    .sgpr_count:     34
    .sgpr_spill_count: 0
    .symbol:         _ZL26rocblas_hemvn_kernel_lowerILb0ELi64ELi4ELi33ELi32ELi16ElPK19rocblas_complex_numIdEPKS3_PS1_EviT6_lT7_lT5_lS8_lS9_lS7_lT8_i.kd
    .uniform_work_group_size: 1
    .uses_dynamic_stack: false
    .vgpr_count:     211
    .vgpr_spill_count: 0
    .wavefront_size: 32
    .workgroup_processor_mode: 1
  - .args:
      - .offset:         0
        .size:           4
        .value_kind:     by_value
      - .address_space:  global
        .offset:         8
        .size:           8
        .value_kind:     global_buffer
      - .offset:         16
        .size:           8
        .value_kind:     by_value
      - .address_space:  global
        .offset:         24
        .size:           8
        .value_kind:     global_buffer
      - .offset:         32
        .size:           8
        .value_kind:     by_value
      - .offset:         40
        .size:           4
        .value_kind:     by_value
      - .offset:         48
        .size:           8
        .value_kind:     by_value
      - .address_space:  global
        .offset:         56
        .size:           8
        .value_kind:     global_buffer
      - .offset:         64
        .size:           8
        .value_kind:     by_value
      - .offset:         72
        .size:           4
        .value_kind:     by_value
      - .offset:         80
        .size:           8
        .value_kind:     by_value
      - .address_space:  global
        .offset:         88
        .size:           8
        .value_kind:     global_buffer
      - .offset:         96
        .size:           8
        .value_kind:     by_value
      - .address_space:  global
        .offset:         104
        .size:           8
        .value_kind:     global_buffer
      - .offset:         112
        .size:           4
        .value_kind:     by_value
      - .offset:         120
        .size:           4
        .value_kind:     hidden_block_count_x
      - .offset:         124
        .size:           4
        .value_kind:     hidden_block_count_y
      - .offset:         128
        .size:           4
        .value_kind:     hidden_block_count_z
      - .offset:         132
        .size:           2
        .value_kind:     hidden_group_size_x
      - .offset:         134
        .size:           2
        .value_kind:     hidden_group_size_y
      - .offset:         136
        .size:           2
        .value_kind:     hidden_group_size_z
      - .offset:         138
        .size:           2
        .value_kind:     hidden_remainder_x
      - .offset:         140
        .size:           2
        .value_kind:     hidden_remainder_y
      - .offset:         142
        .size:           2
        .value_kind:     hidden_remainder_z
      - .offset:         160
        .size:           8
        .value_kind:     hidden_global_offset_x
      - .offset:         168
        .size:           8
        .value_kind:     hidden_global_offset_y
      - .offset:         176
        .size:           8
        .value_kind:     hidden_global_offset_z
      - .offset:         184
        .size:           2
        .value_kind:     hidden_grid_dims
    .group_segment_fixed_size: 19200
    .kernarg_segment_align: 8
    .kernarg_segment_size: 376
    .language:       OpenCL C
    .language_version:
      - 2
      - 0
    .max_flat_workgroup_size: 256
    .name:           _ZL26rocblas_hemvn_kernel_lowerILb0ELi64ELi4ELi33ELi32ELi16EiPK19rocblas_complex_numIdEPKS3_PS1_EviT6_lT7_lT5_lS8_lS9_lS7_lT8_i
    .private_segment_fixed_size: 0
    .sgpr_count:     34
    .sgpr_spill_count: 0
    .symbol:         _ZL26rocblas_hemvn_kernel_lowerILb0ELi64ELi4ELi33ELi32ELi16EiPK19rocblas_complex_numIdEPKS3_PS1_EviT6_lT7_lT5_lS8_lS9_lS7_lT8_i.kd
    .uniform_work_group_size: 1
    .uses_dynamic_stack: false
    .vgpr_count:     209
    .vgpr_spill_count: 0
    .wavefront_size: 32
    .workgroup_processor_mode: 1
  - .args:
      - .offset:         0
        .size:           4
        .value_kind:     by_value
      - .offset:         8
        .size:           16
        .value_kind:     by_value
      - .offset:         24
        .size:           8
        .value_kind:     by_value
      - .address_space:  global
        .offset:         32
        .size:           8
        .value_kind:     global_buffer
      - .offset:         40
        .size:           8
        .value_kind:     by_value
      - .offset:         48
        .size:           8
        .value_kind:     by_value
      - .offset:         56
        .size:           8
        .value_kind:     by_value
      - .address_space:  global
        .offset:         64
        .size:           8
        .value_kind:     global_buffer
      - .offset:         72
        .size:           8
        .value_kind:     by_value
      - .offset:         80
        .size:           8
        .value_kind:     by_value
      - .offset:         88
        .size:           8
        .value_kind:     by_value
      - .offset:         96
        .size:           16
        .value_kind:     by_value
      - .offset:         112
        .size:           8
        .value_kind:     by_value
      - .address_space:  global
        .offset:         120
        .size:           8
        .value_kind:     global_buffer
      - .offset:         128
        .size:           4
        .value_kind:     by_value
      - .offset:         136
        .size:           4
        .value_kind:     hidden_block_count_x
      - .offset:         140
        .size:           4
        .value_kind:     hidden_block_count_y
      - .offset:         144
        .size:           4
        .value_kind:     hidden_block_count_z
      - .offset:         148
        .size:           2
        .value_kind:     hidden_group_size_x
      - .offset:         150
        .size:           2
        .value_kind:     hidden_group_size_y
      - .offset:         152
        .size:           2
        .value_kind:     hidden_group_size_z
      - .offset:         154
        .size:           2
        .value_kind:     hidden_remainder_x
      - .offset:         156
        .size:           2
        .value_kind:     hidden_remainder_y
      - .offset:         158
        .size:           2
        .value_kind:     hidden_remainder_z
      - .offset:         176
        .size:           8
        .value_kind:     hidden_global_offset_x
      - .offset:         184
        .size:           8
        .value_kind:     hidden_global_offset_y
      - .offset:         192
        .size:           8
        .value_kind:     hidden_global_offset_z
      - .offset:         200
        .size:           2
        .value_kind:     hidden_grid_dims
    .group_segment_fixed_size: 19200
    .kernarg_segment_align: 8
    .kernarg_segment_size: 392
    .language:       OpenCL C
    .language_version:
      - 2
      - 0
    .max_flat_workgroup_size: 256
    .name:           _ZL26rocblas_hemvn_kernel_lowerILb0ELi64ELi4ELi33ELi32ELi16El19rocblas_complex_numIdEPKPKS1_PS1_EviT6_lT7_lT5_lS8_lS9_lS7_lT8_i
    .private_segment_fixed_size: 0
    .sgpr_count:     34
    .sgpr_spill_count: 0
    .symbol:         _ZL26rocblas_hemvn_kernel_lowerILb0ELi64ELi4ELi33ELi32ELi16El19rocblas_complex_numIdEPKPKS1_PS1_EviT6_lT7_lT5_lS8_lS9_lS7_lT8_i.kd
    .uniform_work_group_size: 1
    .uses_dynamic_stack: false
    .vgpr_count:     179
    .vgpr_spill_count: 0
    .wavefront_size: 32
    .workgroup_processor_mode: 1
  - .args:
      - .offset:         0
        .size:           4
        .value_kind:     by_value
      - .offset:         8
        .size:           16
        .value_kind:     by_value
      - .offset:         24
        .size:           8
        .value_kind:     by_value
      - .address_space:  global
        .offset:         32
        .size:           8
        .value_kind:     global_buffer
      - .offset:         40
        .size:           8
        .value_kind:     by_value
      - .offset:         48
        .size:           4
        .value_kind:     by_value
      - .offset:         56
        .size:           8
        .value_kind:     by_value
      - .address_space:  global
        .offset:         64
        .size:           8
        .value_kind:     global_buffer
      - .offset:         72
        .size:           8
        .value_kind:     by_value
      - .offset:         80
        .size:           4
        .value_kind:     by_value
      - .offset:         88
        .size:           8
        .value_kind:     by_value
      - .offset:         96
        .size:           16
        .value_kind:     by_value
      - .offset:         112
        .size:           8
        .value_kind:     by_value
      - .address_space:  global
        .offset:         120
        .size:           8
        .value_kind:     global_buffer
      - .offset:         128
        .size:           4
        .value_kind:     by_value
      - .offset:         136
        .size:           4
        .value_kind:     hidden_block_count_x
      - .offset:         140
        .size:           4
        .value_kind:     hidden_block_count_y
      - .offset:         144
        .size:           4
        .value_kind:     hidden_block_count_z
      - .offset:         148
        .size:           2
        .value_kind:     hidden_group_size_x
      - .offset:         150
        .size:           2
        .value_kind:     hidden_group_size_y
      - .offset:         152
        .size:           2
        .value_kind:     hidden_group_size_z
      - .offset:         154
        .size:           2
        .value_kind:     hidden_remainder_x
      - .offset:         156
        .size:           2
        .value_kind:     hidden_remainder_y
      - .offset:         158
        .size:           2
        .value_kind:     hidden_remainder_z
      - .offset:         176
        .size:           8
        .value_kind:     hidden_global_offset_x
      - .offset:         184
        .size:           8
        .value_kind:     hidden_global_offset_y
      - .offset:         192
        .size:           8
        .value_kind:     hidden_global_offset_z
      - .offset:         200
        .size:           2
        .value_kind:     hidden_grid_dims
    .group_segment_fixed_size: 19200
    .kernarg_segment_align: 8
    .kernarg_segment_size: 392
    .language:       OpenCL C
    .language_version:
      - 2
      - 0
    .max_flat_workgroup_size: 256
    .name:           _ZL26rocblas_hemvn_kernel_lowerILb0ELi64ELi4ELi33ELi32ELi16Ei19rocblas_complex_numIdEPKPKS1_PS1_EviT6_lT7_lT5_lS8_lS9_lS7_lT8_i
    .private_segment_fixed_size: 0
    .sgpr_count:     32
    .sgpr_spill_count: 0
    .symbol:         _ZL26rocblas_hemvn_kernel_lowerILb0ELi64ELi4ELi33ELi32ELi16Ei19rocblas_complex_numIdEPKPKS1_PS1_EviT6_lT7_lT5_lS8_lS9_lS7_lT8_i.kd
    .uniform_work_group_size: 1
    .uses_dynamic_stack: false
    .vgpr_count:     177
    .vgpr_spill_count: 0
    .wavefront_size: 32
    .workgroup_processor_mode: 1
amdhsa.target:   amdgcn-amd-amdhsa--gfx1030
amdhsa.version:
  - 1
  - 2
...

	.end_amdgpu_metadata
